;; amdgpu-corpus repo=pytorch/pytorch kind=compiled arch=gfx1250 opt=O3
	.amdgcn_target "amdgcn-amd-amdhsa--gfx1250"
	.amdhsa_code_object_version 6
	.section	.text.unlikely._ZN2at6native12_GLOBAL__N_128vectorized_layer_norm_kernelIddLb0EEEviT0_PKT_S6_S6_PS3_S7_PS4_,"axG",@progbits,_ZN2at6native12_GLOBAL__N_128vectorized_layer_norm_kernelIddLb0EEEviT0_PKT_S6_S6_PS3_S7_PS4_,comdat
	.globl	_ZN2at6native12_GLOBAL__N_128vectorized_layer_norm_kernelIddLb0EEEviT0_PKT_S6_S6_PS3_S7_PS4_ ; -- Begin function _ZN2at6native12_GLOBAL__N_128vectorized_layer_norm_kernelIddLb0EEEviT0_PKT_S6_S6_PS3_S7_PS4_
	.p2align	8
	.type	_ZN2at6native12_GLOBAL__N_128vectorized_layer_norm_kernelIddLb0EEEviT0_PKT_S6_S6_PS3_S7_PS4_,@function
_ZN2at6native12_GLOBAL__N_128vectorized_layer_norm_kernelIddLb0EEEviT0_PKT_S6_S6_PS3_S7_PS4_: ; @_ZN2at6native12_GLOBAL__N_128vectorized_layer_norm_kernelIddLb0EEEviT0_PKT_S6_S6_PS3_S7_PS4_
; %bb.0:
	s_trap 2
	.section	.rodata,"a",@progbits
	.p2align	6, 0x0
	.amdhsa_kernel _ZN2at6native12_GLOBAL__N_128vectorized_layer_norm_kernelIddLb0EEEviT0_PKT_S6_S6_PS3_S7_PS4_
		.amdhsa_group_segment_fixed_size 0
		.amdhsa_private_segment_fixed_size 0
		.amdhsa_kernarg_size 64
		.amdhsa_user_sgpr_count 2
		.amdhsa_user_sgpr_dispatch_ptr 0
		.amdhsa_user_sgpr_queue_ptr 0
		.amdhsa_user_sgpr_kernarg_segment_ptr 1
		.amdhsa_user_sgpr_dispatch_id 0
		.amdhsa_user_sgpr_kernarg_preload_length 0
		.amdhsa_user_sgpr_kernarg_preload_offset 0
		.amdhsa_user_sgpr_private_segment_size 0
		.amdhsa_wavefront_size32 1
		.amdhsa_uses_dynamic_stack 0
		.amdhsa_enable_private_segment 0
		.amdhsa_system_sgpr_workgroup_id_x 1
		.amdhsa_system_sgpr_workgroup_id_y 0
		.amdhsa_system_sgpr_workgroup_id_z 0
		.amdhsa_system_sgpr_workgroup_info 0
		.amdhsa_system_vgpr_workitem_id 0
		.amdhsa_next_free_vgpr 1
		.amdhsa_next_free_sgpr 1
		.amdhsa_named_barrier_count 0
		.amdhsa_reserve_vcc 0
		.amdhsa_float_round_mode_32 0
		.amdhsa_float_round_mode_16_64 0
		.amdhsa_float_denorm_mode_32 3
		.amdhsa_float_denorm_mode_16_64 3
		.amdhsa_fp16_overflow 0
		.amdhsa_memory_ordered 1
		.amdhsa_forward_progress 1
		.amdhsa_inst_pref_size 1
		.amdhsa_round_robin_scheduling 0
		.amdhsa_exception_fp_ieee_invalid_op 0
		.amdhsa_exception_fp_denorm_src 0
		.amdhsa_exception_fp_ieee_div_zero 0
		.amdhsa_exception_fp_ieee_overflow 0
		.amdhsa_exception_fp_ieee_underflow 0
		.amdhsa_exception_fp_ieee_inexact 0
		.amdhsa_exception_int_div_zero 0
	.end_amdhsa_kernel
	.section	.text.unlikely._ZN2at6native12_GLOBAL__N_128vectorized_layer_norm_kernelIddLb0EEEviT0_PKT_S6_S6_PS3_S7_PS4_,"axG",@progbits,_ZN2at6native12_GLOBAL__N_128vectorized_layer_norm_kernelIddLb0EEEviT0_PKT_S6_S6_PS3_S7_PS4_,comdat
.Lfunc_end0:
	.size	_ZN2at6native12_GLOBAL__N_128vectorized_layer_norm_kernelIddLb0EEEviT0_PKT_S6_S6_PS3_S7_PS4_, .Lfunc_end0-_ZN2at6native12_GLOBAL__N_128vectorized_layer_norm_kernelIddLb0EEEviT0_PKT_S6_S6_PS3_S7_PS4_
                                        ; -- End function
	.set _ZN2at6native12_GLOBAL__N_128vectorized_layer_norm_kernelIddLb0EEEviT0_PKT_S6_S6_PS3_S7_PS4_.num_vgpr, 0
	.set _ZN2at6native12_GLOBAL__N_128vectorized_layer_norm_kernelIddLb0EEEviT0_PKT_S6_S6_PS3_S7_PS4_.num_agpr, 0
	.set _ZN2at6native12_GLOBAL__N_128vectorized_layer_norm_kernelIddLb0EEEviT0_PKT_S6_S6_PS3_S7_PS4_.numbered_sgpr, 0
	.set _ZN2at6native12_GLOBAL__N_128vectorized_layer_norm_kernelIddLb0EEEviT0_PKT_S6_S6_PS3_S7_PS4_.num_named_barrier, 0
	.set _ZN2at6native12_GLOBAL__N_128vectorized_layer_norm_kernelIddLb0EEEviT0_PKT_S6_S6_PS3_S7_PS4_.private_seg_size, 0
	.set _ZN2at6native12_GLOBAL__N_128vectorized_layer_norm_kernelIddLb0EEEviT0_PKT_S6_S6_PS3_S7_PS4_.uses_vcc, 0
	.set _ZN2at6native12_GLOBAL__N_128vectorized_layer_norm_kernelIddLb0EEEviT0_PKT_S6_S6_PS3_S7_PS4_.uses_flat_scratch, 0
	.set _ZN2at6native12_GLOBAL__N_128vectorized_layer_norm_kernelIddLb0EEEviT0_PKT_S6_S6_PS3_S7_PS4_.has_dyn_sized_stack, 0
	.set _ZN2at6native12_GLOBAL__N_128vectorized_layer_norm_kernelIddLb0EEEviT0_PKT_S6_S6_PS3_S7_PS4_.has_recursion, 0
	.set _ZN2at6native12_GLOBAL__N_128vectorized_layer_norm_kernelIddLb0EEEviT0_PKT_S6_S6_PS3_S7_PS4_.has_indirect_call, 0
	.section	.AMDGPU.csdata,"",@progbits
; Kernel info:
; codeLenInByte = 4
; TotalNumSgprs: 0
; NumVgprs: 0
; ScratchSize: 0
; MemoryBound: 0
; FloatMode: 240
; IeeeMode: 1
; LDSByteSize: 0 bytes/workgroup (compile time only)
; SGPRBlocks: 0
; VGPRBlocks: 0
; NumSGPRsForWavesPerEU: 1
; NumVGPRsForWavesPerEU: 1
; NamedBarCnt: 0
; Occupancy: 16
; WaveLimiterHint : 0
; COMPUTE_PGM_RSRC2:SCRATCH_EN: 0
; COMPUTE_PGM_RSRC2:USER_SGPR: 2
; COMPUTE_PGM_RSRC2:TRAP_HANDLER: 0
; COMPUTE_PGM_RSRC2:TGID_X_EN: 1
; COMPUTE_PGM_RSRC2:TGID_Y_EN: 0
; COMPUTE_PGM_RSRC2:TGID_Z_EN: 0
; COMPUTE_PGM_RSRC2:TIDIG_COMP_CNT: 0
	.section	.text._ZN2at6native12_GLOBAL__N_124RowwiseMomentsCUDAKernelIddLb0EEEvlT0_PKT_PS3_S7_,"axG",@progbits,_ZN2at6native12_GLOBAL__N_124RowwiseMomentsCUDAKernelIddLb0EEEvlT0_PKT_PS3_S7_,comdat
	.globl	_ZN2at6native12_GLOBAL__N_124RowwiseMomentsCUDAKernelIddLb0EEEvlT0_PKT_PS3_S7_ ; -- Begin function _ZN2at6native12_GLOBAL__N_124RowwiseMomentsCUDAKernelIddLb0EEEvlT0_PKT_PS3_S7_
	.p2align	8
	.type	_ZN2at6native12_GLOBAL__N_124RowwiseMomentsCUDAKernelIddLb0EEEvlT0_PKT_PS3_S7_,@function
_ZN2at6native12_GLOBAL__N_124RowwiseMomentsCUDAKernelIddLb0EEEvlT0_PKT_PS3_S7_: ; @_ZN2at6native12_GLOBAL__N_124RowwiseMomentsCUDAKernelIddLb0EEEvlT0_PKT_PS3_S7_
; %bb.0:
	s_clause 0x1
	s_load_b256 s[4:11], s[0:1], 0x0
	s_load_b64 s[2:3], s[0:1], 0x20
	s_bfe_u32 s13, ttmp6, 0x4000c
	s_and_b32 s12, ttmp6, 15
	s_add_co_i32 s13, s13, 1
	v_mov_b64_e32 v[14:15], 0
	v_mov_b64_e32 v[6:7], 0
	;; [unrolled: 1-line block ×3, first 2 shown]
	s_mul_i32 s13, ttmp9, s13
	v_mov_b64_e32 v[4:5], 0
	s_getreg_b32 s14, hwreg(HW_REG_IB_STS2, 6, 4)
	v_mov_b32_e32 v1, 0
	s_add_co_i32 s12, s12, s13
	s_cmp_eq_u32 s14, 0
	s_mov_b32 s13, 0
	s_cselect_b32 s12, ttmp9, s12
	s_mov_b32 s18, exec_lo
	s_wait_kmcnt 0x0
	v_cmpx_gt_i64_e64 s[4:5], v[0:1]
	s_cbranch_execz .LBB1_4
; %bb.1:
	s_load_b32 s14, s[0:1], 0x34
	s_mul_u64 s[20:21], s[4:5], s[12:13]
	v_dual_mov_b32 v7, v1 :: v_dual_lshlrev_b32 v6, 3, v0
	s_lshl_b64 s[20:21], s[20:21], 3
	v_mov_b64_e32 v[2:3], 0
	s_add_nc_u64 s[8:9], s[8:9], s[20:21]
	v_mov_b64_e32 v[4:5], 0
	v_add_nc_u64_e32 v[8:9], s[8:9], v[6:7]
	v_mov_b64_e32 v[10:11], v[0:1]
	s_mov_b32 s15, s13
	s_mov_b32 s17, s13
	s_mov_b64 s[8:9], 0
	s_mov_b32 s19, s13
	s_wait_kmcnt 0x0
	s_and_b32 s14, s14, 0xffff
	s_delay_alu instid0(SALU_CYCLE_1)
	s_lshl_b32 s16, s14, 3
.LBB1_2:                                ; =>This Inner Loop Header: Depth=1
	global_load_b64 v[12:13], v[8:9], off
	s_add_nc_u64 s[8:9], s[8:9], 1
	v_add_nc_u64_e32 v[10:11], s[14:15], v[10:11]
	v_cvt_f64_u32_e32 v[6:7], s9
	v_cvt_f64_u32_e32 v[14:15], s8
	s_wait_xcnt 0x0
	v_add_nc_u64_e32 v[8:9], s[16:17], v[8:9]
	s_delay_alu instid0(VALU_DEP_3) | instskip(NEXT) | instid1(VALU_DEP_1)
	v_ldexp_f64 v[6:7], v[6:7], 32
	v_add_f64_e32 v[6:7], v[6:7], v[14:15]
	s_wait_loadcnt 0x0
	v_add_f64_e64 v[14:15], v[12:13], -v[4:5]
	s_delay_alu instid0(VALU_DEP_1) | instskip(SKIP_1) | instid1(VALU_DEP_2)
	v_div_scale_f64 v[16:17], null, v[6:7], v[6:7], v[14:15]
	v_div_scale_f64 v[22:23], vcc_lo, v[14:15], v[6:7], v[14:15]
	v_rcp_f64_e32 v[18:19], v[16:17]
	v_nop
	s_delay_alu instid0(TRANS32_DEP_1) | instskip(NEXT) | instid1(VALU_DEP_1)
	v_fma_f64 v[20:21], -v[16:17], v[18:19], 1.0
	v_fmac_f64_e32 v[18:19], v[18:19], v[20:21]
	s_delay_alu instid0(VALU_DEP_1) | instskip(NEXT) | instid1(VALU_DEP_1)
	v_fma_f64 v[20:21], -v[16:17], v[18:19], 1.0
	v_fmac_f64_e32 v[18:19], v[18:19], v[20:21]
	s_delay_alu instid0(VALU_DEP_1) | instskip(NEXT) | instid1(VALU_DEP_1)
	v_mul_f64_e32 v[20:21], v[22:23], v[18:19]
	v_fma_f64 v[16:17], -v[16:17], v[20:21], v[22:23]
	s_delay_alu instid0(VALU_DEP_1) | instskip(SKIP_2) | instid1(VALU_DEP_2)
	v_div_fmas_f64 v[16:17], v[16:17], v[18:19], v[20:21]
	v_cmp_le_i64_e32 vcc_lo, s[4:5], v[10:11]
	s_or_b32 s19, vcc_lo, s19
	v_div_fixup_f64 v[16:17], v[16:17], v[6:7], v[14:15]
	s_delay_alu instid0(VALU_DEP_1) | instskip(NEXT) | instid1(VALU_DEP_1)
	v_add_f64_e32 v[4:5], v[4:5], v[16:17]
	v_add_f64_e64 v[12:13], v[12:13], -v[4:5]
	s_delay_alu instid0(VALU_DEP_1)
	v_fmac_f64_e32 v[2:3], v[14:15], v[12:13]
	v_mov_b64_e32 v[14:15], s[8:9]
	s_and_not1_b32 exec_lo, exec_lo, s19
	s_cbranch_execnz .LBB1_2
; %bb.3:
	s_or_b32 exec_lo, exec_lo, s19
.LBB1_4:
	s_delay_alu instid0(SALU_CYCLE_1) | instskip(SKIP_2) | instid1(VALU_DEP_1)
	s_or_b32 exec_lo, exec_lo, s18
	v_mbcnt_lo_u32_b32 v22, -1, 0
	s_mov_b32 s4, exec_lo
	v_lshl_or_b32 v1, v22, 2, 64
	ds_bpermute_b32 v10, v1, v4
	ds_bpermute_b32 v11, v1, v5
	;; [unrolled: 1-line block ×8, first 2 shown]
	v_cmpx_neq_f64_e32 0, v[6:7]
	s_cbranch_execz .LBB1_8
; %bb.5:
	s_mov_b32 s5, exec_lo
	s_wait_dscnt 0x0
	v_cmpx_neq_f64_e32 0, v[12:13]
	s_cbranch_execz .LBB1_7
; %bb.6:
	v_add_f64_e32 v[16:17], v[6:7], v[12:13]
	v_add_f64_e64 v[10:11], v[10:11], -v[4:5]
	v_add_f64_e32 v[2:3], v[2:3], v[8:9]
	s_delay_alu instid0(VALU_DEP_3) | instskip(SKIP_1) | instid1(VALU_DEP_2)
	v_div_scale_f64 v[14:15], null, v[16:17], v[16:17], v[12:13]
	v_div_scale_f64 v[24:25], vcc_lo, v[12:13], v[16:17], v[12:13]
	v_rcp_f64_e32 v[18:19], v[14:15]
	v_nop
	s_delay_alu instid0(TRANS32_DEP_1) | instskip(NEXT) | instid1(VALU_DEP_1)
	v_fma_f64 v[20:21], -v[14:15], v[18:19], 1.0
	v_fmac_f64_e32 v[18:19], v[18:19], v[20:21]
	s_delay_alu instid0(VALU_DEP_1) | instskip(NEXT) | instid1(VALU_DEP_1)
	v_fma_f64 v[20:21], -v[14:15], v[18:19], 1.0
	v_fmac_f64_e32 v[18:19], v[18:19], v[20:21]
	s_delay_alu instid0(VALU_DEP_1) | instskip(NEXT) | instid1(VALU_DEP_1)
	v_mul_f64_e32 v[20:21], v[24:25], v[18:19]
	v_fma_f64 v[14:15], -v[14:15], v[20:21], v[24:25]
	s_delay_alu instid0(VALU_DEP_1) | instskip(SKIP_1) | instid1(VALU_DEP_2)
	v_div_fmas_f64 v[14:15], v[14:15], v[18:19], v[20:21]
	v_mul_f64_e32 v[18:19], v[10:11], v[10:11]
	v_div_fixup_f64 v[8:9], v[14:15], v[16:17], v[12:13]
	s_delay_alu instid0(VALU_DEP_2) | instskip(SKIP_1) | instid1(VALU_DEP_3)
	v_mul_f64_e32 v[6:7], v[6:7], v[18:19]
	v_mov_b64_e32 v[14:15], -1
	v_fmac_f64_e32 v[4:5], v[10:11], v[8:9]
	s_delay_alu instid0(VALU_DEP_3)
	v_fmac_f64_e32 v[2:3], v[6:7], v[8:9]
	v_mov_b64_e32 v[6:7], v[16:17]
.LBB1_7:
	s_or_b32 exec_lo, exec_lo, s5
	s_delay_alu instid0(VALU_DEP_1) | instskip(SKIP_1) | instid1(VALU_DEP_4)
	v_mov_b64_e32 v[12:13], v[6:7]
	v_mov_b64_e32 v[16:17], v[14:15]
	;; [unrolled: 1-line block ×4, first 2 shown]
.LBB1_8:
	s_or_b32 exec_lo, exec_lo, s4
	v_cmp_gt_u32_e32 vcc_lo, 24, v22
	s_mov_b32 s4, exec_lo
	v_cndmask_b32_e64 v2, 0, 8, vcc_lo
	s_delay_alu instid0(VALU_DEP_1)
	v_add_lshl_u32 v20, v2, v22, 2
	s_wait_dscnt 0x7
	ds_bpermute_b32 v6, v20, v10
	s_wait_dscnt 0x7
	ds_bpermute_b32 v7, v20, v11
	;; [unrolled: 2-line block ×8, first 2 shown]
	v_cmpx_neq_f64_e32 0, v[12:13]
	s_cbranch_execz .LBB1_12
; %bb.9:
	s_mov_b32 s5, exec_lo
	s_wait_dscnt 0x0
	v_cmpx_neq_f64_e32 0, v[14:15]
	s_cbranch_execz .LBB1_11
; %bb.10:
	v_add_f64_e32 v[4:5], v[12:13], v[14:15]
	v_add_f64_e64 v[6:7], v[6:7], -v[10:11]
	v_add_f64_e32 v[8:9], v[8:9], v[2:3]
	s_delay_alu instid0(VALU_DEP_3) | instskip(SKIP_1) | instid1(VALU_DEP_2)
	v_div_scale_f64 v[16:17], null, v[4:5], v[4:5], v[14:15]
	v_div_scale_f64 v[26:27], vcc_lo, v[14:15], v[4:5], v[14:15]
	v_rcp_f64_e32 v[18:19], v[16:17]
	v_nop
	s_delay_alu instid0(TRANS32_DEP_1) | instskip(NEXT) | instid1(VALU_DEP_1)
	v_fma_f64 v[24:25], -v[16:17], v[18:19], 1.0
	v_fmac_f64_e32 v[18:19], v[18:19], v[24:25]
	s_delay_alu instid0(VALU_DEP_1) | instskip(NEXT) | instid1(VALU_DEP_1)
	v_fma_f64 v[24:25], -v[16:17], v[18:19], 1.0
	v_fmac_f64_e32 v[18:19], v[18:19], v[24:25]
	s_delay_alu instid0(VALU_DEP_1) | instskip(NEXT) | instid1(VALU_DEP_1)
	v_mul_f64_e32 v[24:25], v[26:27], v[18:19]
	v_fma_f64 v[16:17], -v[16:17], v[24:25], v[26:27]
	s_delay_alu instid0(VALU_DEP_1) | instskip(SKIP_1) | instid1(VALU_DEP_2)
	v_div_fmas_f64 v[16:17], v[16:17], v[18:19], v[24:25]
	v_mul_f64_e32 v[18:19], v[6:7], v[6:7]
	v_div_fixup_f64 v[2:3], v[16:17], v[4:5], v[14:15]
	s_delay_alu instid0(VALU_DEP_2) | instskip(SKIP_1) | instid1(VALU_DEP_3)
	v_mul_f64_e32 v[12:13], v[12:13], v[18:19]
	v_mov_b64_e32 v[16:17], -1
	v_fmac_f64_e32 v[10:11], v[6:7], v[2:3]
	s_delay_alu instid0(VALU_DEP_3)
	v_fmac_f64_e32 v[8:9], v[12:13], v[2:3]
	v_mov_b64_e32 v[12:13], v[4:5]
.LBB1_11:
	s_or_b32 exec_lo, exec_lo, s5
	s_delay_alu instid0(VALU_DEP_1) | instskip(SKIP_1) | instid1(VALU_DEP_4)
	v_mov_b64_e32 v[14:15], v[12:13]
	v_mov_b64_e32 v[18:19], v[16:17]
	;; [unrolled: 1-line block ×4, first 2 shown]
.LBB1_12:
	s_or_b32 exec_lo, exec_lo, s4
	v_cmp_gt_u32_e32 vcc_lo, 28, v22
	s_mov_b32 s4, exec_lo
	v_cndmask_b32_e64 v4, 0, 4, vcc_lo
	s_delay_alu instid0(VALU_DEP_1)
	v_add_lshl_u32 v21, v4, v22, 2
	s_wait_dscnt 0x7
	ds_bpermute_b32 v8, v21, v6
	s_wait_dscnt 0x7
	ds_bpermute_b32 v9, v21, v7
	;; [unrolled: 2-line block ×8, first 2 shown]
	v_cmpx_neq_f64_e32 0, v[14:15]
	s_cbranch_execz .LBB1_16
; %bb.13:
	s_mov_b32 s5, exec_lo
	s_wait_dscnt 0x0
	v_cmpx_neq_f64_e32 0, v[10:11]
	s_cbranch_execz .LBB1_15
; %bb.14:
	v_add_f64_e32 v[12:13], v[14:15], v[10:11]
	v_add_f64_e64 v[8:9], v[8:9], -v[6:7]
	v_add_f64_e32 v[2:3], v[2:3], v[4:5]
	s_delay_alu instid0(VALU_DEP_3) | instskip(SKIP_1) | instid1(VALU_DEP_2)
	v_div_scale_f64 v[16:17], null, v[12:13], v[12:13], v[10:11]
	v_div_scale_f64 v[26:27], vcc_lo, v[10:11], v[12:13], v[10:11]
	v_rcp_f64_e32 v[18:19], v[16:17]
	v_nop
	s_delay_alu instid0(TRANS32_DEP_1) | instskip(NEXT) | instid1(VALU_DEP_1)
	v_fma_f64 v[24:25], -v[16:17], v[18:19], 1.0
	v_fmac_f64_e32 v[18:19], v[18:19], v[24:25]
	s_delay_alu instid0(VALU_DEP_1) | instskip(NEXT) | instid1(VALU_DEP_1)
	v_fma_f64 v[24:25], -v[16:17], v[18:19], 1.0
	v_fmac_f64_e32 v[18:19], v[18:19], v[24:25]
	s_delay_alu instid0(VALU_DEP_1) | instskip(NEXT) | instid1(VALU_DEP_1)
	v_mul_f64_e32 v[24:25], v[26:27], v[18:19]
	v_fma_f64 v[16:17], -v[16:17], v[24:25], v[26:27]
	s_delay_alu instid0(VALU_DEP_1) | instskip(SKIP_1) | instid1(VALU_DEP_2)
	v_div_fmas_f64 v[16:17], v[16:17], v[18:19], v[24:25]
	v_mul_f64_e32 v[18:19], v[8:9], v[8:9]
	v_div_fixup_f64 v[4:5], v[16:17], v[12:13], v[10:11]
	s_delay_alu instid0(VALU_DEP_2) | instskip(SKIP_2) | instid1(VALU_DEP_4)
	v_mul_f64_e32 v[10:11], v[14:15], v[18:19]
	v_mov_b64_e32 v[18:19], -1
	v_mov_b64_e32 v[14:15], v[12:13]
	v_fmac_f64_e32 v[6:7], v[8:9], v[4:5]
	s_delay_alu instid0(VALU_DEP_4)
	v_fmac_f64_e32 v[2:3], v[10:11], v[4:5]
.LBB1_15:
	s_or_b32 exec_lo, exec_lo, s5
	s_delay_alu instid0(VALU_DEP_3) | instskip(SKIP_1) | instid1(VALU_DEP_3)
	v_mov_b64_e32 v[10:11], v[14:15]
	v_mov_b64_e32 v[16:17], v[18:19]
	;; [unrolled: 1-line block ×4, first 2 shown]
.LBB1_16:
	s_or_b32 exec_lo, exec_lo, s4
	v_cmp_gt_u32_e32 vcc_lo, 30, v22
	s_mov_b32 s4, exec_lo
	v_cndmask_b32_e64 v2, 0, 2, vcc_lo
	s_delay_alu instid0(VALU_DEP_1)
	v_add_lshl_u32 v18, v2, v22, 2
	s_wait_dscnt 0x7
	ds_bpermute_b32 v6, v18, v8
	s_wait_dscnt 0x7
	ds_bpermute_b32 v7, v18, v9
	;; [unrolled: 2-line block ×8, first 2 shown]
	v_cmpx_neq_f64_e32 0, v[10:11]
	s_cbranch_execz .LBB1_20
; %bb.17:
	s_mov_b32 s5, exec_lo
	s_wait_dscnt 0x0
	v_cmpx_neq_f64_e32 0, v[12:13]
	s_cbranch_execz .LBB1_19
; %bb.18:
	v_add_f64_e32 v[14:15], v[10:11], v[12:13]
	v_add_f64_e64 v[6:7], v[6:7], -v[8:9]
	v_add_f64_e32 v[4:5], v[4:5], v[2:3]
	s_delay_alu instid0(VALU_DEP_3) | instskip(SKIP_1) | instid1(VALU_DEP_2)
	v_div_scale_f64 v[16:17], null, v[14:15], v[14:15], v[12:13]
	v_div_scale_f64 v[28:29], vcc_lo, v[12:13], v[14:15], v[12:13]
	v_rcp_f64_e32 v[24:25], v[16:17]
	v_nop
	s_delay_alu instid0(TRANS32_DEP_1) | instskip(NEXT) | instid1(VALU_DEP_1)
	v_fma_f64 v[26:27], -v[16:17], v[24:25], 1.0
	v_fmac_f64_e32 v[24:25], v[24:25], v[26:27]
	s_delay_alu instid0(VALU_DEP_1) | instskip(NEXT) | instid1(VALU_DEP_1)
	v_fma_f64 v[26:27], -v[16:17], v[24:25], 1.0
	v_fmac_f64_e32 v[24:25], v[24:25], v[26:27]
	s_delay_alu instid0(VALU_DEP_1) | instskip(NEXT) | instid1(VALU_DEP_1)
	v_mul_f64_e32 v[26:27], v[28:29], v[24:25]
	v_fma_f64 v[16:17], -v[16:17], v[26:27], v[28:29]
	s_delay_alu instid0(VALU_DEP_1) | instskip(SKIP_1) | instid1(VALU_DEP_2)
	v_div_fmas_f64 v[16:17], v[16:17], v[24:25], v[26:27]
	v_mul_f64_e32 v[24:25], v[6:7], v[6:7]
	v_div_fixup_f64 v[2:3], v[16:17], v[14:15], v[12:13]
	s_delay_alu instid0(VALU_DEP_2) | instskip(SKIP_1) | instid1(VALU_DEP_3)
	v_mul_f64_e32 v[10:11], v[10:11], v[24:25]
	v_mov_b64_e32 v[16:17], -1
	v_fmac_f64_e32 v[8:9], v[6:7], v[2:3]
	s_delay_alu instid0(VALU_DEP_3)
	v_fmac_f64_e32 v[4:5], v[10:11], v[2:3]
	v_mov_b64_e32 v[10:11], v[14:15]
.LBB1_19:
	s_or_b32 exec_lo, exec_lo, s5
	s_delay_alu instid0(VALU_DEP_1) | instskip(SKIP_1) | instid1(VALU_DEP_4)
	v_mov_b64_e32 v[12:13], v[10:11]
	v_mov_b64_e32 v[14:15], v[16:17]
	;; [unrolled: 1-line block ×4, first 2 shown]
.LBB1_20:
	s_or_b32 exec_lo, exec_lo, s4
	v_cmp_ne_u32_e32 vcc_lo, 31, v22
	s_mov_b32 s4, exec_lo
	v_add_co_ci_u32_e64 v4, null, 0, v22, vcc_lo
	s_delay_alu instid0(VALU_DEP_1)
	v_lshlrev_b32_e32 v19, 2, v4
	s_wait_dscnt 0x7
	ds_bpermute_b32 v10, v19, v6
	s_wait_dscnt 0x7
	ds_bpermute_b32 v11, v19, v7
	;; [unrolled: 2-line block ×8, first 2 shown]
	v_cmpx_neq_f64_e32 0, v[12:13]
	s_cbranch_execz .LBB1_24
; %bb.21:
	s_mov_b32 s5, exec_lo
	s_wait_dscnt 0x0
	v_cmpx_neq_f64_e32 0, v[4:5]
	s_cbranch_execz .LBB1_23
; %bb.22:
	v_add_f64_e32 v[16:17], v[12:13], v[4:5]
	v_add_f64_e64 v[10:11], v[10:11], -v[6:7]
	v_add_f64_e32 v[2:3], v[2:3], v[8:9]
	s_delay_alu instid0(VALU_DEP_3) | instskip(SKIP_1) | instid1(VALU_DEP_2)
	v_div_scale_f64 v[14:15], null, v[16:17], v[16:17], v[4:5]
	v_div_scale_f64 v[26:27], vcc_lo, v[4:5], v[16:17], v[4:5]
	v_rcp_f64_e32 v[22:23], v[14:15]
	v_nop
	s_delay_alu instid0(TRANS32_DEP_1) | instskip(NEXT) | instid1(VALU_DEP_1)
	v_fma_f64 v[24:25], -v[14:15], v[22:23], 1.0
	v_fmac_f64_e32 v[22:23], v[22:23], v[24:25]
	s_delay_alu instid0(VALU_DEP_1) | instskip(NEXT) | instid1(VALU_DEP_1)
	v_fma_f64 v[24:25], -v[14:15], v[22:23], 1.0
	v_fmac_f64_e32 v[22:23], v[22:23], v[24:25]
	s_delay_alu instid0(VALU_DEP_1) | instskip(NEXT) | instid1(VALU_DEP_1)
	v_mul_f64_e32 v[24:25], v[26:27], v[22:23]
	v_fma_f64 v[14:15], -v[14:15], v[24:25], v[26:27]
	s_delay_alu instid0(VALU_DEP_1) | instskip(SKIP_1) | instid1(VALU_DEP_2)
	v_div_fmas_f64 v[14:15], v[14:15], v[22:23], v[24:25]
	v_mul_f64_e32 v[22:23], v[10:11], v[10:11]
	v_div_fixup_f64 v[4:5], v[14:15], v[16:17], v[4:5]
	s_delay_alu instid0(VALU_DEP_2) | instskip(SKIP_2) | instid1(VALU_DEP_4)
	v_mul_f64_e32 v[8:9], v[12:13], v[22:23]
	v_mov_b64_e32 v[14:15], -1
	v_mov_b64_e32 v[12:13], v[16:17]
	v_fmac_f64_e32 v[6:7], v[10:11], v[4:5]
	s_delay_alu instid0(VALU_DEP_4)
	v_fmac_f64_e32 v[2:3], v[8:9], v[4:5]
.LBB1_23:
	s_or_b32 exec_lo, exec_lo, s5
	s_delay_alu instid0(VALU_DEP_3) | instskip(SKIP_1) | instid1(VALU_DEP_3)
	v_mov_b64_e32 v[4:5], v[12:13]
	v_mov_b64_e32 v[16:17], v[14:15]
	;; [unrolled: 1-line block ×4, first 2 shown]
.LBB1_24:
	s_or_b32 exec_lo, exec_lo, s4
	v_and_b32_e32 v6, 31, v0
	s_mov_b32 s4, exec_lo
	s_wait_dscnt 0x0
	s_barrier_signal -1
	s_barrier_wait -1
	v_cmpx_eq_u32_e32 0, v6
	s_cbranch_execz .LBB1_26
; %bb.25:
	ds_store_2addr_b64 v0, v[10:11], v[8:9] offset1:1
	ds_store_2addr_b64 v0, v[16:17], v[4:5] offset0:2 offset1:3
.LBB1_26:
	s_or_b32 exec_lo, exec_lo, s4
	s_wait_dscnt 0x0
	s_barrier_signal -1
	s_barrier_wait -1
	s_load_b32 s0, s[0:1], 0x34
	v_mov_b64_e32 v[4:5], 0
	v_mov_b64_e32 v[2:3], 0
	v_lshlrev_b32_e32 v8, 5, v6
	s_wait_kmcnt 0x0
	s_bfe_u32 s0, s0, 0xb0005
	s_delay_alu instid0(SALU_CYCLE_1)
	v_cmp_gt_u32_e32 vcc_lo, s0, v0
	s_and_saveexec_b32 s0, vcc_lo
	s_cbranch_execnz .LBB1_55
; %bb.27:
	s_or_b32 exec_lo, exec_lo, s0
	s_and_saveexec_b32 s0, vcc_lo
	s_cbranch_execnz .LBB1_56
.LBB1_28:
	s_or_b32 exec_lo, exec_lo, s0
	v_mov_b64_e32 v[6:7], 0
	s_and_saveexec_b32 s0, vcc_lo
.LBB1_29:
	ds_load_b64 v[6:7], v8 offset:24
.LBB1_30:
	s_or_b32 exec_lo, exec_lo, s0
	s_delay_alu instid0(SALU_CYCLE_1)
	s_mov_b32 s0, exec_lo
	v_cmpx_gt_u32_e32 32, v0
	s_cbranch_execz .LBB1_52
; %bb.31:
	s_wait_dscnt 0x0
	ds_bpermute_b32 v10, v1, v2
	ds_bpermute_b32 v11, v1, v3
	;; [unrolled: 1-line block ×6, first 2 shown]
	s_mov_b32 s1, exec_lo
	v_cmpx_neq_f64_e32 0, v[6:7]
	s_cbranch_execz .LBB1_35
; %bb.32:
	s_mov_b32 s4, exec_lo
	s_wait_dscnt 0x0
	v_cmpx_neq_f64_e32 0, v[12:13]
	s_cbranch_execz .LBB1_34
; %bb.33:
	v_add_f64_e32 v[14:15], v[6:7], v[12:13]
	v_add_f64_e64 v[10:11], v[10:11], -v[2:3]
	v_add_f64_e32 v[4:5], v[4:5], v[8:9]
	s_delay_alu instid0(VALU_DEP_3) | instskip(SKIP_1) | instid1(VALU_DEP_2)
	v_div_scale_f64 v[16:17], null, v[14:15], v[14:15], v[12:13]
	v_div_scale_f64 v[26:27], vcc_lo, v[12:13], v[14:15], v[12:13]
	v_rcp_f64_e32 v[22:23], v[16:17]
	v_nop
	s_delay_alu instid0(TRANS32_DEP_1) | instskip(NEXT) | instid1(VALU_DEP_1)
	v_fma_f64 v[24:25], -v[16:17], v[22:23], 1.0
	v_fmac_f64_e32 v[22:23], v[22:23], v[24:25]
	s_delay_alu instid0(VALU_DEP_1) | instskip(NEXT) | instid1(VALU_DEP_1)
	v_fma_f64 v[24:25], -v[16:17], v[22:23], 1.0
	v_fmac_f64_e32 v[22:23], v[22:23], v[24:25]
	s_delay_alu instid0(VALU_DEP_1) | instskip(NEXT) | instid1(VALU_DEP_1)
	v_mul_f64_e32 v[24:25], v[26:27], v[22:23]
	v_fma_f64 v[16:17], -v[16:17], v[24:25], v[26:27]
	s_delay_alu instid0(VALU_DEP_1) | instskip(SKIP_1) | instid1(VALU_DEP_2)
	v_div_fmas_f64 v[16:17], v[16:17], v[22:23], v[24:25]
	v_mul_f64_e32 v[22:23], v[10:11], v[10:11]
	v_div_fixup_f64 v[8:9], v[16:17], v[14:15], v[12:13]
	s_delay_alu instid0(VALU_DEP_2) | instskip(NEXT) | instid1(VALU_DEP_2)
	v_mul_f64_e32 v[6:7], v[6:7], v[22:23]
	v_fmac_f64_e32 v[2:3], v[10:11], v[8:9]
	s_delay_alu instid0(VALU_DEP_2)
	v_fmac_f64_e32 v[4:5], v[6:7], v[8:9]
	v_mov_b64_e32 v[6:7], v[14:15]
.LBB1_34:
	s_or_b32 exec_lo, exec_lo, s4
	s_delay_alu instid0(VALU_DEP_1) | instskip(NEXT) | instid1(VALU_DEP_3)
	v_mov_b64_e32 v[12:13], v[6:7]
	v_mov_b64_e32 v[8:9], v[4:5]
	;; [unrolled: 1-line block ×3, first 2 shown]
.LBB1_35:
	s_or_b32 exec_lo, exec_lo, s1
	s_wait_dscnt 0x5
	ds_bpermute_b32 v6, v20, v10
	s_wait_dscnt 0x5
	ds_bpermute_b32 v7, v20, v11
	s_wait_dscnt 0x5
	ds_bpermute_b32 v2, v20, v8
	s_wait_dscnt 0x5
	ds_bpermute_b32 v3, v20, v9
	s_wait_dscnt 0x5
	ds_bpermute_b32 v14, v20, v12
	s_wait_dscnt 0x5
	ds_bpermute_b32 v15, v20, v13
	s_mov_b32 s1, exec_lo
	v_cmpx_neq_f64_e32 0, v[12:13]
	s_cbranch_execz .LBB1_39
; %bb.36:
	s_mov_b32 s4, exec_lo
	s_wait_dscnt 0x0
	v_cmpx_neq_f64_e32 0, v[14:15]
	s_cbranch_execz .LBB1_38
; %bb.37:
	v_add_f64_e32 v[4:5], v[12:13], v[14:15]
	v_add_f64_e64 v[6:7], v[6:7], -v[10:11]
	v_add_f64_e32 v[8:9], v[8:9], v[2:3]
	s_delay_alu instid0(VALU_DEP_3) | instskip(SKIP_1) | instid1(VALU_DEP_2)
	v_div_scale_f64 v[16:17], null, v[4:5], v[4:5], v[14:15]
	v_div_scale_f64 v[26:27], vcc_lo, v[14:15], v[4:5], v[14:15]
	v_rcp_f64_e32 v[22:23], v[16:17]
	v_nop
	s_delay_alu instid0(TRANS32_DEP_1) | instskip(NEXT) | instid1(VALU_DEP_1)
	v_fma_f64 v[24:25], -v[16:17], v[22:23], 1.0
	v_fmac_f64_e32 v[22:23], v[22:23], v[24:25]
	s_delay_alu instid0(VALU_DEP_1) | instskip(NEXT) | instid1(VALU_DEP_1)
	v_fma_f64 v[24:25], -v[16:17], v[22:23], 1.0
	v_fmac_f64_e32 v[22:23], v[22:23], v[24:25]
	s_delay_alu instid0(VALU_DEP_1) | instskip(NEXT) | instid1(VALU_DEP_1)
	v_mul_f64_e32 v[24:25], v[26:27], v[22:23]
	v_fma_f64 v[16:17], -v[16:17], v[24:25], v[26:27]
	s_delay_alu instid0(VALU_DEP_1) | instskip(SKIP_1) | instid1(VALU_DEP_2)
	v_div_fmas_f64 v[16:17], v[16:17], v[22:23], v[24:25]
	v_mul_f64_e32 v[22:23], v[6:7], v[6:7]
	v_div_fixup_f64 v[2:3], v[16:17], v[4:5], v[14:15]
	s_delay_alu instid0(VALU_DEP_2) | instskip(NEXT) | instid1(VALU_DEP_2)
	v_mul_f64_e32 v[12:13], v[12:13], v[22:23]
	v_fmac_f64_e32 v[10:11], v[6:7], v[2:3]
	s_delay_alu instid0(VALU_DEP_2)
	v_fmac_f64_e32 v[8:9], v[12:13], v[2:3]
	v_mov_b64_e32 v[12:13], v[4:5]
.LBB1_38:
	s_or_b32 exec_lo, exec_lo, s4
	s_delay_alu instid0(VALU_DEP_1) | instskip(NEXT) | instid1(VALU_DEP_3)
	v_mov_b64_e32 v[14:15], v[12:13]
	v_mov_b64_e32 v[2:3], v[8:9]
	;; [unrolled: 1-line block ×3, first 2 shown]
.LBB1_39:
	s_or_b32 exec_lo, exec_lo, s1
	s_wait_dscnt 0x5
	ds_bpermute_b32 v12, v21, v6
	s_wait_dscnt 0x5
	ds_bpermute_b32 v13, v21, v7
	s_wait_dscnt 0x5
	ds_bpermute_b32 v4, v21, v2
	s_wait_dscnt 0x5
	ds_bpermute_b32 v5, v21, v3
	s_wait_dscnt 0x5
	ds_bpermute_b32 v16, v21, v14
	s_wait_dscnt 0x5
	ds_bpermute_b32 v17, v21, v15
	s_mov_b32 s1, exec_lo
	v_cmpx_neq_f64_e32 0, v[14:15]
	s_cbranch_execz .LBB1_43
; %bb.40:
	s_mov_b32 s4, exec_lo
	s_wait_dscnt 0x0
	v_cmpx_neq_f64_e32 0, v[16:17]
	s_cbranch_execz .LBB1_42
; %bb.41:
	v_add_f64_e32 v[8:9], v[14:15], v[16:17]
	v_add_f64_e64 v[12:13], v[12:13], -v[6:7]
	v_add_f64_e32 v[2:3], v[2:3], v[4:5]
	s_delay_alu instid0(VALU_DEP_3) | instskip(SKIP_1) | instid1(VALU_DEP_2)
	v_div_scale_f64 v[10:11], null, v[8:9], v[8:9], v[16:17]
	v_div_scale_f64 v[24:25], vcc_lo, v[16:17], v[8:9], v[16:17]
	v_rcp_f64_e32 v[20:21], v[10:11]
	v_nop
	s_delay_alu instid0(TRANS32_DEP_1) | instskip(NEXT) | instid1(VALU_DEP_1)
	v_fma_f64 v[22:23], -v[10:11], v[20:21], 1.0
	v_fmac_f64_e32 v[20:21], v[20:21], v[22:23]
	s_delay_alu instid0(VALU_DEP_1) | instskip(NEXT) | instid1(VALU_DEP_1)
	v_fma_f64 v[22:23], -v[10:11], v[20:21], 1.0
	v_fmac_f64_e32 v[20:21], v[20:21], v[22:23]
	s_delay_alu instid0(VALU_DEP_1) | instskip(NEXT) | instid1(VALU_DEP_1)
	v_mul_f64_e32 v[22:23], v[24:25], v[20:21]
	v_fma_f64 v[10:11], -v[10:11], v[22:23], v[24:25]
	s_delay_alu instid0(VALU_DEP_1) | instskip(SKIP_1) | instid1(VALU_DEP_2)
	v_div_fmas_f64 v[10:11], v[10:11], v[20:21], v[22:23]
	v_mul_f64_e32 v[20:21], v[12:13], v[12:13]
	v_div_fixup_f64 v[4:5], v[10:11], v[8:9], v[16:17]
	s_delay_alu instid0(VALU_DEP_2) | instskip(SKIP_1) | instid1(VALU_DEP_3)
	v_mul_f64_e32 v[10:11], v[14:15], v[20:21]
	v_mov_b64_e32 v[14:15], v[8:9]
	v_fmac_f64_e32 v[6:7], v[12:13], v[4:5]
	s_delay_alu instid0(VALU_DEP_3)
	v_fmac_f64_e32 v[2:3], v[10:11], v[4:5]
.LBB1_42:
	s_or_b32 exec_lo, exec_lo, s4
	s_delay_alu instid0(VALU_DEP_3) | instskip(NEXT) | instid1(VALU_DEP_2)
	v_mov_b64_e32 v[16:17], v[14:15]
	v_mov_b64_e32 v[4:5], v[2:3]
	s_delay_alu instid0(VALU_DEP_4)
	v_mov_b64_e32 v[12:13], v[6:7]
.LBB1_43:
	s_or_b32 exec_lo, exec_lo, s1
	s_wait_dscnt 0x5
	ds_bpermute_b32 v14, v18, v12
	s_wait_dscnt 0x5
	ds_bpermute_b32 v15, v18, v13
	s_wait_dscnt 0x5
	ds_bpermute_b32 v8, v18, v4
	s_wait_dscnt 0x5
	ds_bpermute_b32 v9, v18, v5
	s_wait_dscnt 0x5
	ds_bpermute_b32 v10, v18, v16
	s_wait_dscnt 0x5
	ds_bpermute_b32 v11, v18, v17
	s_mov_b32 s1, exec_lo
	v_cmpx_neq_f64_e32 0, v[16:17]
	s_cbranch_execz .LBB1_47
; %bb.44:
	s_mov_b32 s4, exec_lo
	s_wait_dscnt 0x0
	v_cmpx_neq_f64_e32 0, v[10:11]
	s_cbranch_execz .LBB1_46
; %bb.45:
	v_add_f64_e32 v[2:3], v[16:17], v[10:11]
	v_add_f64_e64 v[14:15], v[14:15], -v[12:13]
	v_add_f64_e32 v[4:5], v[4:5], v[8:9]
	s_delay_alu instid0(VALU_DEP_3) | instskip(SKIP_1) | instid1(VALU_DEP_2)
	v_div_scale_f64 v[6:7], null, v[2:3], v[2:3], v[10:11]
	v_div_scale_f64 v[24:25], vcc_lo, v[10:11], v[2:3], v[10:11]
	v_rcp_f64_e32 v[20:21], v[6:7]
	v_nop
	s_delay_alu instid0(TRANS32_DEP_1) | instskip(NEXT) | instid1(VALU_DEP_1)
	v_fma_f64 v[22:23], -v[6:7], v[20:21], 1.0
	v_fmac_f64_e32 v[20:21], v[20:21], v[22:23]
	s_delay_alu instid0(VALU_DEP_1) | instskip(NEXT) | instid1(VALU_DEP_1)
	v_fma_f64 v[22:23], -v[6:7], v[20:21], 1.0
	v_fmac_f64_e32 v[20:21], v[20:21], v[22:23]
	s_delay_alu instid0(VALU_DEP_1) | instskip(NEXT) | instid1(VALU_DEP_1)
	v_mul_f64_e32 v[22:23], v[24:25], v[20:21]
	v_fma_f64 v[6:7], -v[6:7], v[22:23], v[24:25]
	s_delay_alu instid0(VALU_DEP_1) | instskip(SKIP_1) | instid1(VALU_DEP_2)
	v_div_fmas_f64 v[6:7], v[6:7], v[20:21], v[22:23]
	v_mul_f64_e32 v[20:21], v[14:15], v[14:15]
	v_div_fixup_f64 v[6:7], v[6:7], v[2:3], v[10:11]
	s_delay_alu instid0(VALU_DEP_2) | instskip(SKIP_1) | instid1(VALU_DEP_3)
	v_mul_f64_e32 v[8:9], v[16:17], v[20:21]
	v_mov_b64_e32 v[16:17], v[2:3]
	v_fmac_f64_e32 v[12:13], v[14:15], v[6:7]
	s_delay_alu instid0(VALU_DEP_3)
	v_fmac_f64_e32 v[4:5], v[8:9], v[6:7]
.LBB1_46:
	s_or_b32 exec_lo, exec_lo, s4
	s_delay_alu instid0(VALU_DEP_3) | instskip(NEXT) | instid1(VALU_DEP_2)
	v_mov_b64_e32 v[10:11], v[16:17]
	v_mov_b64_e32 v[8:9], v[4:5]
	s_delay_alu instid0(VALU_DEP_4)
	v_mov_b64_e32 v[14:15], v[12:13]
.LBB1_47:
	;; [unrolled: 57-line block ×3, first 2 shown]
	s_or_b32 exec_lo, exec_lo, s1
.LBB1_52:
	s_delay_alu instid0(SALU_CYCLE_1) | instskip(NEXT) | instid1(SALU_CYCLE_1)
	s_or_b32 exec_lo, exec_lo, s0
	s_mov_b32 s0, exec_lo
	v_cmpx_eq_u32_e32 0, v0
	s_cbranch_execz .LBB1_54
; %bb.53:
	s_wait_dscnt 0x0
	v_max_num_f64_e32 v[0:1], v[6:7], v[6:7]
	s_lshl_b64 s[0:1], s[12:13], 3
	s_delay_alu instid0(SALU_CYCLE_1) | instskip(SKIP_1) | instid1(VALU_DEP_1)
	s_add_nc_u64 s[4:5], s[10:11], s[0:1]
	s_add_nc_u64 s[0:1], s[2:3], s[0:1]
	v_max_num_f64_e32 v[0:1], 0, v[0:1]
	s_delay_alu instid0(VALU_DEP_1) | instskip(SKIP_1) | instid1(VALU_DEP_2)
	v_div_scale_f64 v[6:7], null, v[0:1], v[0:1], v[4:5]
	v_div_scale_f64 v[12:13], vcc_lo, v[4:5], v[0:1], v[4:5]
	v_rcp_f64_e32 v[8:9], v[6:7]
	v_nop
	s_delay_alu instid0(TRANS32_DEP_1) | instskip(NEXT) | instid1(VALU_DEP_1)
	v_fma_f64 v[10:11], -v[6:7], v[8:9], 1.0
	v_fmac_f64_e32 v[8:9], v[8:9], v[10:11]
	s_delay_alu instid0(VALU_DEP_1) | instskip(NEXT) | instid1(VALU_DEP_1)
	v_fma_f64 v[10:11], -v[6:7], v[8:9], 1.0
	v_fmac_f64_e32 v[8:9], v[8:9], v[10:11]
	s_delay_alu instid0(VALU_DEP_1) | instskip(NEXT) | instid1(VALU_DEP_1)
	v_mul_f64_e32 v[10:11], v[12:13], v[8:9]
	v_fma_f64 v[6:7], -v[6:7], v[10:11], v[12:13]
	s_delay_alu instid0(VALU_DEP_1) | instskip(SKIP_1) | instid1(VALU_DEP_2)
	v_div_fmas_f64 v[6:7], v[6:7], v[8:9], v[10:11]
	v_mov_b64_e32 v[8:9], 0.5
	v_div_fixup_f64 v[0:1], v[6:7], v[0:1], v[4:5]
	s_delay_alu instid0(VALU_DEP_1) | instskip(NEXT) | instid1(VALU_DEP_1)
	v_add_f64_e32 v[0:1], s[6:7], v[0:1]
	v_rsq_f64_e32 v[4:5], v[0:1]
	v_nop
	s_delay_alu instid0(TRANS32_DEP_1) | instskip(SKIP_1) | instid1(VALU_DEP_2)
	v_mul_f64_e64 v[0:1], v[4:5], -v[0:1]
	v_cmp_class_f64_e64 vcc_lo, v[4:5], 0x180
	v_fma_f64 v[0:1], v[0:1], v[4:5], 1.0
	s_delay_alu instid0(VALU_DEP_1) | instskip(SKIP_1) | instid1(VALU_DEP_1)
	v_mul_f64_e32 v[6:7], v[4:5], v[0:1]
	v_fmamk_f64 v[0:1], v[0:1], 0x3fd80000, v[8:9]
	v_dual_fma_f64 v[0:1], v[6:7], v[0:1], v[4:5] :: v_dual_mov_b32 v6, 0
	s_delay_alu instid0(VALU_DEP_1)
	v_dual_cndmask_b32 v1, v5, v1 :: v_dual_cndmask_b32 v0, v4, v0
	s_clause 0x1
	global_store_b64 v6, v[2:3], s[4:5]
	global_store_b64 v6, v[0:1], s[0:1]
.LBB1_54:
	s_endpgm
.LBB1_55:
	ds_load_b64 v[2:3], v8
	s_or_b32 exec_lo, exec_lo, s0
	s_and_saveexec_b32 s0, vcc_lo
	s_cbranch_execz .LBB1_28
.LBB1_56:
	ds_load_b64 v[4:5], v8 offset:8
	s_or_b32 exec_lo, exec_lo, s0
	v_mov_b64_e32 v[6:7], 0
	s_and_saveexec_b32 s0, vcc_lo
	s_cbranch_execnz .LBB1_29
	s_branch .LBB1_30
	.section	.rodata,"a",@progbits
	.p2align	6, 0x0
	.amdhsa_kernel _ZN2at6native12_GLOBAL__N_124RowwiseMomentsCUDAKernelIddLb0EEEvlT0_PKT_PS3_S7_
		.amdhsa_group_segment_fixed_size 1024
		.amdhsa_private_segment_fixed_size 0
		.amdhsa_kernarg_size 296
		.amdhsa_user_sgpr_count 2
		.amdhsa_user_sgpr_dispatch_ptr 0
		.amdhsa_user_sgpr_queue_ptr 0
		.amdhsa_user_sgpr_kernarg_segment_ptr 1
		.amdhsa_user_sgpr_dispatch_id 0
		.amdhsa_user_sgpr_kernarg_preload_length 0
		.amdhsa_user_sgpr_kernarg_preload_offset 0
		.amdhsa_user_sgpr_private_segment_size 0
		.amdhsa_wavefront_size32 1
		.amdhsa_uses_dynamic_stack 0
		.amdhsa_enable_private_segment 0
		.amdhsa_system_sgpr_workgroup_id_x 1
		.amdhsa_system_sgpr_workgroup_id_y 0
		.amdhsa_system_sgpr_workgroup_id_z 0
		.amdhsa_system_sgpr_workgroup_info 0
		.amdhsa_system_vgpr_workitem_id 0
		.amdhsa_next_free_vgpr 30
		.amdhsa_next_free_sgpr 22
		.amdhsa_named_barrier_count 0
		.amdhsa_reserve_vcc 1
		.amdhsa_float_round_mode_32 0
		.amdhsa_float_round_mode_16_64 0
		.amdhsa_float_denorm_mode_32 3
		.amdhsa_float_denorm_mode_16_64 3
		.amdhsa_fp16_overflow 0
		.amdhsa_memory_ordered 1
		.amdhsa_forward_progress 1
		.amdhsa_inst_pref_size 30
		.amdhsa_round_robin_scheduling 0
		.amdhsa_exception_fp_ieee_invalid_op 0
		.amdhsa_exception_fp_denorm_src 0
		.amdhsa_exception_fp_ieee_div_zero 0
		.amdhsa_exception_fp_ieee_overflow 0
		.amdhsa_exception_fp_ieee_underflow 0
		.amdhsa_exception_fp_ieee_inexact 0
		.amdhsa_exception_int_div_zero 0
	.end_amdhsa_kernel
	.section	.text._ZN2at6native12_GLOBAL__N_124RowwiseMomentsCUDAKernelIddLb0EEEvlT0_PKT_PS3_S7_,"axG",@progbits,_ZN2at6native12_GLOBAL__N_124RowwiseMomentsCUDAKernelIddLb0EEEvlT0_PKT_PS3_S7_,comdat
.Lfunc_end1:
	.size	_ZN2at6native12_GLOBAL__N_124RowwiseMomentsCUDAKernelIddLb0EEEvlT0_PKT_PS3_S7_, .Lfunc_end1-_ZN2at6native12_GLOBAL__N_124RowwiseMomentsCUDAKernelIddLb0EEEvlT0_PKT_PS3_S7_
                                        ; -- End function
	.set _ZN2at6native12_GLOBAL__N_124RowwiseMomentsCUDAKernelIddLb0EEEvlT0_PKT_PS3_S7_.num_vgpr, 30
	.set _ZN2at6native12_GLOBAL__N_124RowwiseMomentsCUDAKernelIddLb0EEEvlT0_PKT_PS3_S7_.num_agpr, 0
	.set _ZN2at6native12_GLOBAL__N_124RowwiseMomentsCUDAKernelIddLb0EEEvlT0_PKT_PS3_S7_.numbered_sgpr, 22
	.set _ZN2at6native12_GLOBAL__N_124RowwiseMomentsCUDAKernelIddLb0EEEvlT0_PKT_PS3_S7_.num_named_barrier, 0
	.set _ZN2at6native12_GLOBAL__N_124RowwiseMomentsCUDAKernelIddLb0EEEvlT0_PKT_PS3_S7_.private_seg_size, 0
	.set _ZN2at6native12_GLOBAL__N_124RowwiseMomentsCUDAKernelIddLb0EEEvlT0_PKT_PS3_S7_.uses_vcc, 1
	.set _ZN2at6native12_GLOBAL__N_124RowwiseMomentsCUDAKernelIddLb0EEEvlT0_PKT_PS3_S7_.uses_flat_scratch, 0
	.set _ZN2at6native12_GLOBAL__N_124RowwiseMomentsCUDAKernelIddLb0EEEvlT0_PKT_PS3_S7_.has_dyn_sized_stack, 0
	.set _ZN2at6native12_GLOBAL__N_124RowwiseMomentsCUDAKernelIddLb0EEEvlT0_PKT_PS3_S7_.has_recursion, 0
	.set _ZN2at6native12_GLOBAL__N_124RowwiseMomentsCUDAKernelIddLb0EEEvlT0_PKT_PS3_S7_.has_indirect_call, 0
	.section	.AMDGPU.csdata,"",@progbits
; Kernel info:
; codeLenInByte = 3744
; TotalNumSgprs: 24
; NumVgprs: 30
; ScratchSize: 0
; MemoryBound: 0
; FloatMode: 240
; IeeeMode: 1
; LDSByteSize: 1024 bytes/workgroup (compile time only)
; SGPRBlocks: 0
; VGPRBlocks: 1
; NumSGPRsForWavesPerEU: 24
; NumVGPRsForWavesPerEU: 30
; NamedBarCnt: 0
; Occupancy: 16
; WaveLimiterHint : 0
; COMPUTE_PGM_RSRC2:SCRATCH_EN: 0
; COMPUTE_PGM_RSRC2:USER_SGPR: 2
; COMPUTE_PGM_RSRC2:TRAP_HANDLER: 0
; COMPUTE_PGM_RSRC2:TGID_X_EN: 1
; COMPUTE_PGM_RSRC2:TGID_Y_EN: 0
; COMPUTE_PGM_RSRC2:TGID_Z_EN: 0
; COMPUTE_PGM_RSRC2:TIDIG_COMP_CNT: 0
	.section	.text._ZN2at6native12_GLOBAL__N_126LayerNormForwardCUDAKernelIddLb0EEEvlPKT_PKT0_S8_S5_S5_PS3_,"axG",@progbits,_ZN2at6native12_GLOBAL__N_126LayerNormForwardCUDAKernelIddLb0EEEvlPKT_PKT0_S8_S5_S5_PS3_,comdat
	.globl	_ZN2at6native12_GLOBAL__N_126LayerNormForwardCUDAKernelIddLb0EEEvlPKT_PKT0_S8_S5_S5_PS3_ ; -- Begin function _ZN2at6native12_GLOBAL__N_126LayerNormForwardCUDAKernelIddLb0EEEvlPKT_PKT0_S8_S5_S5_PS3_
	.p2align	8
	.type	_ZN2at6native12_GLOBAL__N_126LayerNormForwardCUDAKernelIddLb0EEEvlPKT_PKT0_S8_S5_S5_PS3_,@function
_ZN2at6native12_GLOBAL__N_126LayerNormForwardCUDAKernelIddLb0EEEvlPKT_PKT0_S8_S5_S5_PS3_: ; @_ZN2at6native12_GLOBAL__N_126LayerNormForwardCUDAKernelIddLb0EEEvlPKT_PKT0_S8_S5_S5_PS3_
; %bb.0:
	s_load_b256 s[4:11], s[0:1], 0x0
	v_mov_b32_e32 v1, 0
	s_mov_b32 s2, exec_lo
	s_wait_kmcnt 0x0
	s_delay_alu instid0(VALU_DEP_1)
	v_cmpx_gt_i64_e64 s[4:5], v[0:1]
	s_cbranch_execz .LBB2_8
; %bb.1:
	s_clause 0x1
	s_load_b256 s[12:19], s[0:1], 0x20
	s_load_b32 s2, s[0:1], 0x44
	s_bfe_u32 s3, ttmp6, 0x4000c
	s_wait_xcnt 0x0
	s_and_b32 s0, ttmp6, 15
	s_add_co_i32 s3, s3, 1
	s_wait_kmcnt 0x0
	s_getreg_b32 s18, hwreg(HW_REG_IB_STS2, 6, 4)
	s_mul_i32 s3, ttmp9, s3
	s_mov_b32 s1, 0
	s_add_co_i32 s0, s0, s3
	s_cmp_eq_u32 s18, 0
	v_mov_b64_e32 v[4:5], v[0:1]
	s_cselect_b32 s0, ttmp9, s0
	v_dual_mov_b32 v3, v1 :: v_dual_lshlrev_b32 v2, 3, v0
	s_mul_u64 s[20:21], s[4:5], s[0:1]
	s_mov_b32 s3, s1
	s_cmp_lg_u64 s[12:13], 0
	s_cselect_b32 s18, -1, 0
	s_cmp_lg_u64 s[14:15], 0
	s_cselect_b32 s19, -1, 0
	s_lshl_b64 s[22:23], s[0:1], 3
	s_and_b32 s2, s2, 0xffff
	s_lshl_b64 s[20:21], s[20:21], 3
	s_add_nc_u64 s[8:9], s[8:9], s[22:23]
	s_add_nc_u64 s[10:11], s[10:11], s[22:23]
	;; [unrolled: 1-line block ×3, first 2 shown]
	s_lshl_b32 s0, s2, 3
	s_add_nc_u64 s[16:17], s[16:17], s[20:21]
	s_mov_b32 s20, s1
	s_branch .LBB2_4
.LBB2_2:                                ;   in Loop: Header=BB2_4 Depth=1
	v_add_nc_u64_e32 v[8:9], s[14:15], v[2:3]
	global_load_b64 v[8:9], v[8:9], off
.LBB2_3:                                ;   in Loop: Header=BB2_4 Depth=1
	v_add_nc_u64_e32 v[10:11], s[6:7], v[2:3]
	v_add_nc_u64_e32 v[4:5], s[2:3], v[4:5]
	global_load_b64 v[12:13], v[10:11], off
	s_clause 0x1
	global_load_b64 v[14:15], v1, s[8:9]
	global_load_b64 v[16:17], v1, s[10:11]
	v_cmp_le_i64_e32 vcc_lo, s[4:5], v[4:5]
	s_or_b32 s20, vcc_lo, s20
	s_wait_loadcnt 0x1
	s_wait_xcnt 0x2
	v_add_f64_e64 v[10:11], v[12:13], -v[14:15]
	s_wait_loadcnt 0x0
	s_delay_alu instid0(VALU_DEP_1) | instskip(NEXT) | instid1(VALU_DEP_1)
	v_mul_f64_e32 v[10:11], v[10:11], v[16:17]
	v_fmac_f64_e32 v[8:9], v[6:7], v[10:11]
	v_add_nc_u64_e32 v[6:7], s[16:17], v[2:3]
	v_add_nc_u64_e32 v[2:3], s[0:1], v[2:3]
	global_store_b64 v[6:7], v[8:9], off
	s_wait_xcnt 0x0
	s_and_not1_b32 exec_lo, exec_lo, s20
	s_cbranch_execz .LBB2_8
.LBB2_4:                                ; =>This Inner Loop Header: Depth=1
	s_and_not1_b32 vcc_lo, exec_lo, s18
	s_cbranch_vccnz .LBB2_6
; %bb.5:                                ;   in Loop: Header=BB2_4 Depth=1
	v_add_nc_u64_e32 v[6:7], s[12:13], v[2:3]
	global_load_b64 v[6:7], v[6:7], off
	s_and_not1_b32 vcc_lo, exec_lo, s19
	s_cbranch_vccz .LBB2_2
	s_branch .LBB2_7
.LBB2_6:                                ;   in Loop: Header=BB2_4 Depth=1
	v_mov_b64_e32 v[6:7], 1.0
	s_and_not1_b32 vcc_lo, exec_lo, s19
	s_cbranch_vccz .LBB2_2
.LBB2_7:                                ;   in Loop: Header=BB2_4 Depth=1
	v_mov_b64_e32 v[8:9], 0
	s_branch .LBB2_3
.LBB2_8:
	s_endpgm
	.section	.rodata,"a",@progbits
	.p2align	6, 0x0
	.amdhsa_kernel _ZN2at6native12_GLOBAL__N_126LayerNormForwardCUDAKernelIddLb0EEEvlPKT_PKT0_S8_S5_S5_PS3_
		.amdhsa_group_segment_fixed_size 0
		.amdhsa_private_segment_fixed_size 0
		.amdhsa_kernarg_size 312
		.amdhsa_user_sgpr_count 2
		.amdhsa_user_sgpr_dispatch_ptr 0
		.amdhsa_user_sgpr_queue_ptr 0
		.amdhsa_user_sgpr_kernarg_segment_ptr 1
		.amdhsa_user_sgpr_dispatch_id 0
		.amdhsa_user_sgpr_kernarg_preload_length 0
		.amdhsa_user_sgpr_kernarg_preload_offset 0
		.amdhsa_user_sgpr_private_segment_size 0
		.amdhsa_wavefront_size32 1
		.amdhsa_uses_dynamic_stack 0
		.amdhsa_enable_private_segment 0
		.amdhsa_system_sgpr_workgroup_id_x 1
		.amdhsa_system_sgpr_workgroup_id_y 0
		.amdhsa_system_sgpr_workgroup_id_z 0
		.amdhsa_system_sgpr_workgroup_info 0
		.amdhsa_system_vgpr_workitem_id 0
		.amdhsa_next_free_vgpr 18
		.amdhsa_next_free_sgpr 24
		.amdhsa_named_barrier_count 0
		.amdhsa_reserve_vcc 1
		.amdhsa_float_round_mode_32 0
		.amdhsa_float_round_mode_16_64 0
		.amdhsa_float_denorm_mode_32 3
		.amdhsa_float_denorm_mode_16_64 3
		.amdhsa_fp16_overflow 0
		.amdhsa_memory_ordered 1
		.amdhsa_forward_progress 1
		.amdhsa_inst_pref_size 3
		.amdhsa_round_robin_scheduling 0
		.amdhsa_exception_fp_ieee_invalid_op 0
		.amdhsa_exception_fp_denorm_src 0
		.amdhsa_exception_fp_ieee_div_zero 0
		.amdhsa_exception_fp_ieee_overflow 0
		.amdhsa_exception_fp_ieee_underflow 0
		.amdhsa_exception_fp_ieee_inexact 0
		.amdhsa_exception_int_div_zero 0
	.end_amdhsa_kernel
	.section	.text._ZN2at6native12_GLOBAL__N_126LayerNormForwardCUDAKernelIddLb0EEEvlPKT_PKT0_S8_S5_S5_PS3_,"axG",@progbits,_ZN2at6native12_GLOBAL__N_126LayerNormForwardCUDAKernelIddLb0EEEvlPKT_PKT0_S8_S5_S5_PS3_,comdat
.Lfunc_end2:
	.size	_ZN2at6native12_GLOBAL__N_126LayerNormForwardCUDAKernelIddLb0EEEvlPKT_PKT0_S8_S5_S5_PS3_, .Lfunc_end2-_ZN2at6native12_GLOBAL__N_126LayerNormForwardCUDAKernelIddLb0EEEvlPKT_PKT0_S8_S5_S5_PS3_
                                        ; -- End function
	.set _ZN2at6native12_GLOBAL__N_126LayerNormForwardCUDAKernelIddLb0EEEvlPKT_PKT0_S8_S5_S5_PS3_.num_vgpr, 18
	.set _ZN2at6native12_GLOBAL__N_126LayerNormForwardCUDAKernelIddLb0EEEvlPKT_PKT0_S8_S5_S5_PS3_.num_agpr, 0
	.set _ZN2at6native12_GLOBAL__N_126LayerNormForwardCUDAKernelIddLb0EEEvlPKT_PKT0_S8_S5_S5_PS3_.numbered_sgpr, 24
	.set _ZN2at6native12_GLOBAL__N_126LayerNormForwardCUDAKernelIddLb0EEEvlPKT_PKT0_S8_S5_S5_PS3_.num_named_barrier, 0
	.set _ZN2at6native12_GLOBAL__N_126LayerNormForwardCUDAKernelIddLb0EEEvlPKT_PKT0_S8_S5_S5_PS3_.private_seg_size, 0
	.set _ZN2at6native12_GLOBAL__N_126LayerNormForwardCUDAKernelIddLb0EEEvlPKT_PKT0_S8_S5_S5_PS3_.uses_vcc, 1
	.set _ZN2at6native12_GLOBAL__N_126LayerNormForwardCUDAKernelIddLb0EEEvlPKT_PKT0_S8_S5_S5_PS3_.uses_flat_scratch, 0
	.set _ZN2at6native12_GLOBAL__N_126LayerNormForwardCUDAKernelIddLb0EEEvlPKT_PKT0_S8_S5_S5_PS3_.has_dyn_sized_stack, 0
	.set _ZN2at6native12_GLOBAL__N_126LayerNormForwardCUDAKernelIddLb0EEEvlPKT_PKT0_S8_S5_S5_PS3_.has_recursion, 0
	.set _ZN2at6native12_GLOBAL__N_126LayerNormForwardCUDAKernelIddLb0EEEvlPKT_PKT0_S8_S5_S5_PS3_.has_indirect_call, 0
	.section	.AMDGPU.csdata,"",@progbits
; Kernel info:
; codeLenInByte = 380
; TotalNumSgprs: 26
; NumVgprs: 18
; ScratchSize: 0
; MemoryBound: 0
; FloatMode: 240
; IeeeMode: 1
; LDSByteSize: 0 bytes/workgroup (compile time only)
; SGPRBlocks: 0
; VGPRBlocks: 1
; NumSGPRsForWavesPerEU: 26
; NumVGPRsForWavesPerEU: 18
; NamedBarCnt: 0
; Occupancy: 16
; WaveLimiterHint : 0
; COMPUTE_PGM_RSRC2:SCRATCH_EN: 0
; COMPUTE_PGM_RSRC2:USER_SGPR: 2
; COMPUTE_PGM_RSRC2:TRAP_HANDLER: 0
; COMPUTE_PGM_RSRC2:TGID_X_EN: 1
; COMPUTE_PGM_RSRC2:TGID_Y_EN: 0
; COMPUTE_PGM_RSRC2:TGID_Z_EN: 0
; COMPUTE_PGM_RSRC2:TIDIG_COMP_CNT: 0
	.section	.text._ZN2at6native12_GLOBAL__N_128vectorized_layer_norm_kernelIffLb0EEEviT0_PKT_S6_S6_PS3_S7_PS4_,"axG",@progbits,_ZN2at6native12_GLOBAL__N_128vectorized_layer_norm_kernelIffLb0EEEviT0_PKT_S6_S6_PS3_S7_PS4_,comdat
	.globl	_ZN2at6native12_GLOBAL__N_128vectorized_layer_norm_kernelIffLb0EEEviT0_PKT_S6_S6_PS3_S7_PS4_ ; -- Begin function _ZN2at6native12_GLOBAL__N_128vectorized_layer_norm_kernelIffLb0EEEviT0_PKT_S6_S6_PS3_S7_PS4_
	.p2align	8
	.type	_ZN2at6native12_GLOBAL__N_128vectorized_layer_norm_kernelIffLb0EEEviT0_PKT_S6_S6_PS3_S7_PS4_,@function
_ZN2at6native12_GLOBAL__N_128vectorized_layer_norm_kernelIffLb0EEEviT0_PKT_S6_S6_PS3_S7_PS4_: ; @_ZN2at6native12_GLOBAL__N_128vectorized_layer_norm_kernelIffLb0EEEviT0_PKT_S6_S6_PS3_S7_PS4_
; %bb.0:
	s_clause 0x1
	s_load_b32 s3, s[0:1], 0x44
	s_load_b128 s[12:15], s[0:1], 0x0
	s_bfe_u32 s4, ttmp6, 0x4000c
	s_and_b32 s2, ttmp6, 15
	s_add_co_i32 s4, s4, 1
	s_getreg_b32 s5, hwreg(HW_REG_IB_STS2, 6, 4)
	s_mul_i32 s4, ttmp9, s4
	v_bfe_u32 v13, v0, 10, 10
	s_add_co_i32 s2, s2, s4
	s_cmp_eq_u32 s5, 0
	v_and_b32_e32 v15, 0x3ff, v0
	s_cselect_b32 s16, ttmp9, s2
	v_dual_mov_b32 v5, 0 :: v_dual_mov_b32 v9, 0
	s_mov_b32 s17, 0
	s_wait_kmcnt 0x0
	s_and_b32 s6, s3, 0xffff
	s_ashr_i32 s5, s12, 31
	v_mul_u32_u24_e32 v0, s6, v13
	s_lshr_b32 s2, s5, 30
	v_mad_u32_u24 v14, v13, s6, v15
	s_add_co_i32 s2, s12, s2
	s_mov_b32 s4, s12
	s_ashr_i32 s22, s2, 2
	v_add_lshl_u32 v8, v0, v15, 4
	v_cmp_gt_i32_e64 s2, s22, v14
	v_mov_b32_e32 v0, 0
	s_lshr_b32 s8, s3, 16
	s_mul_u64 s[20:21], s[4:5], s[16:17]
	s_mul_i32 s18, s8, s6
	s_and_saveexec_b32 s9, s2
	s_cbranch_execz .LBB3_4
; %bb.1:
	v_mov_b32_e32 v9, 0
	s_lshl_b64 s[4:5], s[20:21], 2
	s_ashr_i32 s19, s18, 31
	s_add_nc_u64 s[4:5], s[14:15], s[4:5]
	s_lshl_b64 s[6:7], s[18:19], 4
	v_add_nc_u64_e32 v[0:1], s[4:5], v[8:9]
	s_mov_b32 s10, 0
	s_mov_b32 s11, s17
	s_delay_alu instid0(VALU_DEP_1)
	v_add_nc_u64_e32 v[2:3], 8, v[0:1]
	v_dual_mov_b32 v1, v14 :: v_dual_mov_b32 v0, v9
.LBB3_2:                                ; =>This Inner Loop Header: Depth=1
	global_load_b128 v[4:7], v[2:3], off offset:-8
	s_add_f32 s19, s11, 1.0
	s_wait_xcnt 0x0
	v_add_nc_u64_e32 v[2:3], s[6:7], v[2:3]
	s_delay_alu instid0(SALU_CYCLE_1) | instskip(SKIP_2) | instid1(SALU_CYCLE_1)
	s_add_f32 s23, s19, 1.0
	v_div_scale_f32 v10, null, s19, s19, 1.0
	v_div_scale_f32 v11, vcc_lo, 1.0, s19, 1.0
	s_add_f32 s24, s23, 1.0
	v_div_scale_f32 v12, null, s23, s23, 1.0
	v_xor_b32_e32 v17, 0x80000000, v10
	v_rcp_f32_e32 v10, v10
	v_div_scale_f32 v18, null, s24, s24, 1.0
	s_delay_alu instid0(VALU_DEP_3) | instskip(SKIP_2) | instid1(VALU_DEP_2)
	v_xor_b32_e32 v20, 0x80000000, v12
	v_rcp_f32_e32 v12, v12
	s_add_f32 s11, s24, 1.0
	v_rcp_f32_e32 v24, v18
	s_delay_alu instid0(TRANS32_DEP_3) | instskip(SKIP_2) | instid1(TRANS32_DEP_2)
	v_fma_f32 v21, v17, v10, 1.0
	v_xor_b32_e32 v18, 0x80000000, v18
	v_div_scale_f32 v22, null, s11, s11, 1.0
	v_fma_f32 v25, v20, v12, 1.0
	v_div_scale_f32 v16, s3, 1.0, s23, 1.0
	s_delay_alu instid0(TRANS32_DEP_1) | instid1(VALU_DEP_4)
	v_fma_f32 v26, v18, v24, 1.0
	v_fmac_f32_e32 v10, v21, v10
	v_rcp_f32_e32 v21, v22
	v_nop
	v_xor_b32_e32 v22, 0x80000000, v22
	v_div_scale_f32 v19, s4, 1.0, s24, 1.0
	v_fmac_f32_e32 v24, v26, v24
	v_dual_fmac_f32 v12, v25, v12 :: v_dual_mul_f32 v25, v11, v10
	s_delay_alu instid0(TRANS32_DEP_1) | instid1(VALU_DEP_4)
	v_fma_f32 v27, v22, v21, 1.0
	v_div_scale_f32 v23, s5, 1.0, s11, 1.0
	s_delay_alu instid0(VALU_DEP_3) | instskip(NEXT) | instid1(VALU_DEP_3)
	v_dual_mul_f32 v26, v16, v12 :: v_dual_fma_f32 v28, v17, v25, v11
	v_fmac_f32_e32 v21, v27, v21
	s_delay_alu instid0(VALU_DEP_2) | instskip(NEXT) | instid1(VALU_DEP_2)
	v_dual_mul_f32 v27, v19, v24 :: v_dual_fma_f32 v29, v20, v26, v16
	v_dual_fmac_f32 v25, v28, v10 :: v_dual_mul_f32 v28, v23, v21
	s_delay_alu instid0(VALU_DEP_2) | instskip(NEXT) | instid1(VALU_DEP_2)
	v_fma_f32 v30, v18, v27, v19
	v_fmac_f32_e32 v11, v17, v25
	s_delay_alu instid0(VALU_DEP_3) | instskip(NEXT) | instid1(VALU_DEP_3)
	v_fma_f32 v17, v22, v28, v23
	v_fmac_f32_e32 v27, v30, v24
	s_delay_alu instid0(VALU_DEP_3) | instskip(NEXT) | instid1(VALU_DEP_3)
	v_div_fmas_f32 v10, v11, v10, v25
	v_fmac_f32_e32 v28, v17, v21
	s_mov_b32 vcc_lo, s3
	s_delay_alu instid0(VALU_DEP_3) | instskip(NEXT) | instid1(VALU_DEP_3)
	v_fmac_f32_e32 v19, v18, v27
	v_div_fixup_f32 v11, v10, s19, 1.0
	s_delay_alu instid0(VALU_DEP_3) | instskip(SKIP_2) | instid1(VALU_DEP_1)
	v_fmac_f32_e32 v23, v22, v28
	s_wait_loadcnt 0x0
	v_sub_f32_e32 v10, v4, v0
	v_dual_fmac_f32 v26, v29, v12 :: v_dual_fmac_f32 v0, v11, v10
	s_delay_alu instid0(VALU_DEP_1) | instskip(NEXT) | instid1(VALU_DEP_1)
	v_fmac_f32_e32 v16, v20, v26
	v_div_fmas_f32 v12, v16, v12, v26
	s_delay_alu instid0(VALU_DEP_3)
	v_pk_add_f32 v[16:17], v[4:5], v[0:1] op_sel_hi:[1,0] neg_lo:[0,1] neg_hi:[0,1]
	s_mov_b32 vcc_lo, s4
	v_add_nc_u32_e32 v1, s18, v1
	v_div_fmas_f32 v4, v19, v24, v27
	v_div_fixup_f32 v11, v12, s23, 1.0
	s_mov_b32 vcc_lo, s5
	v_div_fmas_f32 v12, v23, v21, v28
	v_cmp_le_i32_e32 vcc_lo, s22, v1
	s_delay_alu instid0(VALU_DEP_3) | instskip(SKIP_1) | instid1(VALU_DEP_4)
	v_fmac_f32_e32 v0, v11, v17
	v_div_fixup_f32 v11, v4, s24, 1.0
	v_div_fixup_f32 v12, v12, s11, 1.0
	s_or_b32 s10, vcc_lo, s10
	s_delay_alu instid0(VALU_DEP_3) | instskip(NEXT) | instid1(VALU_DEP_1)
	v_dual_sub_f32 v18, v6, v0 :: v_dual_mov_b32 v4, v0
	v_dual_fmac_f32 v4, v11, v18 :: v_dual_sub_f32 v11, v5, v0
	s_delay_alu instid0(VALU_DEP_1) | instskip(NEXT) | instid1(VALU_DEP_2)
	v_sub_f32_e32 v19, v7, v4
	v_pk_mul_f32 v[10:11], v[16:17], v[10:11]
	s_delay_alu instid0(VALU_DEP_1) | instskip(NEXT) | instid1(VALU_DEP_1)
	v_dual_fma_f32 v0, v12, v19, v4 :: v_dual_add_f32 v9, v9, v10
	v_dual_mov_b32 v5, v0 :: v_dual_add_f32 v9, v9, v11
	s_delay_alu instid0(VALU_DEP_1) | instskip(NEXT) | instid1(VALU_DEP_1)
	v_pk_add_f32 v[4:5], v[6:7], v[4:5] neg_lo:[0,1] neg_hi:[0,1]
	v_pk_mul_f32 v[6:7], v[18:19], v[4:5]
	s_delay_alu instid0(VALU_DEP_1) | instskip(NEXT) | instid1(VALU_DEP_1)
	v_dual_mov_b32 v5, s11 :: v_dual_add_f32 v4, v9, v6
	v_add_f32_e32 v9, v4, v7
	s_and_not1_b32 exec_lo, exec_lo, s10
	s_cbranch_execnz .LBB3_2
; %bb.3:
	s_or_b32 exec_lo, exec_lo, s10
.LBB3_4:
	s_delay_alu instid0(SALU_CYCLE_1) | instskip(SKIP_3) | instid1(VALU_DEP_2)
	s_or_b32 exec_lo, exec_lo, s9
	v_mbcnt_lo_u32_b32 v16, -1, 0
	s_mov_b32 s3, exec_lo
	v_dual_mov_b32 v4, 0 :: v_dual_mov_b32 v2, 0
	v_dual_mov_b32 v3, 0 :: v_dual_lshlrev_b32 v1, 2, v16
	s_delay_alu instid0(VALU_DEP_1)
	v_or_b32_e32 v1, 64, v1
	ds_bpermute_b32 v10, v1, v5
	ds_bpermute_b32 v6, v1, v0
	;; [unrolled: 1-line block ×3, first 2 shown]
	s_wait_dscnt 0x2
	v_add_f32_e32 v1, v5, v10
	s_delay_alu instid0(VALU_DEP_1)
	v_cmpx_lt_f32_e32 0, v1
	s_cbranch_execz .LBB3_6
; %bb.5:
	v_div_scale_f32 v2, null, v1, v1, 1.0
	v_div_scale_f32 v12, vcc_lo, 1.0, v1, 1.0
	s_wait_dscnt 0x0
	v_add_f32_e32 v19, v9, v11
	s_delay_alu instid0(VALU_DEP_3) | instskip(SKIP_1) | instid1(TRANS32_DEP_1)
	v_rcp_f32_e32 v3, v2
	v_nop
	v_fma_f32 v7, -v2, v3, 1.0
	s_delay_alu instid0(VALU_DEP_1) | instskip(NEXT) | instid1(VALU_DEP_1)
	v_fmac_f32_e32 v3, v7, v3
	v_mul_f32_e32 v7, v12, v3
	s_delay_alu instid0(VALU_DEP_1) | instskip(NEXT) | instid1(VALU_DEP_1)
	v_fma_f32 v17, -v2, v7, v12
	v_fmac_f32_e32 v7, v17, v3
	s_delay_alu instid0(VALU_DEP_1) | instskip(NEXT) | instid1(VALU_DEP_1)
	v_fma_f32 v2, -v2, v7, v12
	v_div_fmas_f32 v2, v2, v3, v7
	v_sub_f32_e32 v3, v0, v6
	s_delay_alu instid0(VALU_DEP_2) | instskip(NEXT) | instid1(VALU_DEP_1)
	v_div_fixup_f32 v2, v2, v1, 1.0
	v_dual_mul_f32 v3, v3, v3 :: v_dual_mul_f32 v7, v5, v2
	s_delay_alu instid0(VALU_DEP_1) | instskip(NEXT) | instid1(VALU_DEP_2)
	v_pk_mul_f32 v[2:3], v[2:3], v[10:11] op_sel_hi:[1,0]
	v_mul_f32_e32 v18, v0, v7
	s_delay_alu instid0(VALU_DEP_1)
	v_pk_fma_f32 v[2:3], v[2:3], v[6:7], v[18:19]
.LBB3_6:
	s_or_b32 exec_lo, exec_lo, s3
	v_cmp_gt_u32_e32 vcc_lo, 24, v16
	s_mov_b32 s3, exec_lo
	v_cndmask_b32_e64 v0, 0, 8, vcc_lo
	s_delay_alu instid0(VALU_DEP_1)
	v_add_lshl_u32 v5, v0, v16, 2
	ds_bpermute_b32 v10, v5, v1
	ds_bpermute_b32 v0, v5, v2
	;; [unrolled: 1-line block ×3, first 2 shown]
	s_wait_dscnt 0x2
	v_dual_mov_b32 v5, 0 :: v_dual_add_f32 v9, v1, v10
	s_delay_alu instid0(VALU_DEP_1)
	v_cmpx_lt_f32_e32 0, v9
	s_cbranch_execz .LBB3_8
; %bb.7:
	v_div_scale_f32 v4, null, v9, v9, 1.0
	v_div_scale_f32 v11, vcc_lo, 1.0, v9, 1.0
	s_delay_alu instid0(VALU_DEP_2) | instskip(SKIP_1) | instid1(TRANS32_DEP_1)
	v_rcp_f32_e32 v5, v4
	v_nop
	v_fma_f32 v6, -v4, v5, 1.0
	s_delay_alu instid0(VALU_DEP_1) | instskip(NEXT) | instid1(VALU_DEP_1)
	v_fmac_f32_e32 v5, v6, v5
	v_mul_f32_e32 v6, v11, v5
	s_delay_alu instid0(VALU_DEP_1) | instskip(NEXT) | instid1(VALU_DEP_1)
	v_fma_f32 v12, -v4, v6, v11
	v_fmac_f32_e32 v6, v12, v5
	s_delay_alu instid0(VALU_DEP_1) | instskip(NEXT) | instid1(VALU_DEP_1)
	v_fma_f32 v4, -v4, v6, v11
	v_div_fmas_f32 v4, v4, v5, v6
	s_wait_dscnt 0x1
	v_sub_f32_e32 v5, v2, v0
	s_delay_alu instid0(VALU_DEP_2) | instskip(NEXT) | instid1(VALU_DEP_2)
	v_div_fixup_f32 v4, v4, v9, 1.0
	v_mul_f32_e32 v5, v5, v5
	s_delay_alu instid0(VALU_DEP_2) | instskip(NEXT) | instid1(VALU_DEP_2)
	v_mul_f32_e32 v6, v1, v4
	v_pk_mul_f32 v[4:5], v[4:5], v[10:11] op_sel_hi:[1,0]
	s_wait_dscnt 0x0
	s_delay_alu instid0(VALU_DEP_2) | instskip(SKIP_1) | instid1(VALU_DEP_2)
	v_pk_add_f32 v[18:19], v[2:3], v[6:7]
	v_pk_mul_f32 v[2:3], v[2:3], v[6:7]
	v_dual_mov_b32 v1, v6 :: v_dual_mov_b32 v3, v19
	s_delay_alu instid0(VALU_DEP_1)
	v_pk_fma_f32 v[4:5], v[4:5], v[0:1], v[2:3]
.LBB3_8:
	s_or_b32 exec_lo, exec_lo, s3
	v_cmp_gt_u32_e32 vcc_lo, 28, v16
	s_mov_b32 s3, exec_lo
	v_dual_mov_b32 v1, 0 :: v_dual_mov_b32 v2, 0
	s_wait_dscnt 0x1
	v_cndmask_b32_e64 v0, 0, 4, vcc_lo
	s_delay_alu instid0(VALU_DEP_1)
	v_add_lshl_u32 v0, v0, v16, 2
	ds_bpermute_b32 v12, v0, v9
	ds_bpermute_b32 v6, v0, v4
	;; [unrolled: 1-line block ×3, first 2 shown]
	s_wait_dscnt 0x2
	v_dual_mov_b32 v0, 0 :: v_dual_add_f32 v17, v9, v12
	s_delay_alu instid0(VALU_DEP_1)
	v_cmpx_lt_f32_e32 0, v17
	s_cbranch_execz .LBB3_10
; %bb.9:
	v_div_scale_f32 v0, null, v17, v17, 1.0
	v_div_scale_f32 v7, vcc_lo, 1.0, v17, 1.0
	s_delay_alu instid0(VALU_DEP_2) | instskip(SKIP_1) | instid1(TRANS32_DEP_1)
	v_rcp_f32_e32 v1, v0
	v_nop
	v_fma_f32 v3, -v0, v1, 1.0
	s_delay_alu instid0(VALU_DEP_1) | instskip(NEXT) | instid1(VALU_DEP_1)
	v_fmac_f32_e32 v1, v3, v1
	v_mul_f32_e32 v3, v7, v1
	s_delay_alu instid0(VALU_DEP_1) | instskip(NEXT) | instid1(VALU_DEP_1)
	v_fma_f32 v10, -v0, v3, v7
	v_fmac_f32_e32 v3, v10, v1
	s_delay_alu instid0(VALU_DEP_1) | instskip(NEXT) | instid1(VALU_DEP_1)
	v_fma_f32 v0, -v0, v3, v7
	v_div_fmas_f32 v0, v0, v1, v3
	s_wait_dscnt 0x1
	v_sub_f32_e32 v1, v4, v6
	s_delay_alu instid0(VALU_DEP_2) | instskip(NEXT) | instid1(VALU_DEP_2)
	v_div_fixup_f32 v0, v0, v17, 1.0
	v_mul_f32_e32 v1, v1, v1
	s_delay_alu instid0(VALU_DEP_2) | instskip(NEXT) | instid1(VALU_DEP_2)
	v_mul_f32_e32 v10, v9, v0
	v_pk_mul_f32 v[0:1], v[0:1], v[12:13] op_sel_hi:[1,0]
	s_wait_dscnt 0x0
	s_delay_alu instid0(VALU_DEP_2) | instskip(SKIP_1) | instid1(VALU_DEP_2)
	v_pk_add_f32 v[18:19], v[4:5], v[10:11]
	v_pk_mul_f32 v[4:5], v[4:5], v[10:11]
	v_dual_mov_b32 v7, v10 :: v_dual_mov_b32 v5, v19
	s_delay_alu instid0(VALU_DEP_1)
	v_pk_fma_f32 v[0:1], v[0:1], v[6:7], v[4:5]
.LBB3_10:
	s_or_b32 exec_lo, exec_lo, s3
	v_cmp_gt_u32_e32 vcc_lo, 30, v16
	s_mov_b32 s3, exec_lo
	v_cndmask_b32_e64 v3, 0, 2, vcc_lo
	s_delay_alu instid0(VALU_DEP_1)
	v_add_lshl_u32 v3, v3, v16, 2
	ds_bpermute_b32 v10, v3, v17
	ds_bpermute_b32 v4, v3, v0
	ds_bpermute_b32 v7, v3, v1
	s_wait_dscnt 0x2
	v_dual_mov_b32 v3, 0 :: v_dual_add_f32 v11, v17, v10
	s_delay_alu instid0(VALU_DEP_1)
	v_cmpx_lt_f32_e32 0, v11
	s_cbranch_execz .LBB3_12
; %bb.11:
	v_div_scale_f32 v2, null, v11, v11, 1.0
	v_div_scale_f32 v6, vcc_lo, 1.0, v11, 1.0
	s_delay_alu instid0(VALU_DEP_2) | instskip(SKIP_1) | instid1(TRANS32_DEP_1)
	v_rcp_f32_e32 v3, v2
	v_nop
	v_fma_f32 v5, -v2, v3, 1.0
	s_delay_alu instid0(VALU_DEP_1) | instskip(NEXT) | instid1(VALU_DEP_1)
	v_fmac_f32_e32 v3, v5, v3
	v_mul_f32_e32 v5, v6, v3
	s_delay_alu instid0(VALU_DEP_1) | instskip(NEXT) | instid1(VALU_DEP_1)
	v_fma_f32 v9, -v2, v5, v6
	v_fmac_f32_e32 v5, v9, v3
	s_delay_alu instid0(VALU_DEP_1) | instskip(NEXT) | instid1(VALU_DEP_1)
	v_fma_f32 v2, -v2, v5, v6
	v_div_fmas_f32 v2, v2, v3, v5
	s_wait_dscnt 0x1
	v_sub_f32_e32 v3, v0, v4
	s_delay_alu instid0(VALU_DEP_2) | instskip(NEXT) | instid1(VALU_DEP_1)
	v_div_fixup_f32 v2, v2, v11, 1.0
	v_dual_mul_f32 v3, v3, v3 :: v_dual_mul_f32 v6, v17, v2
	s_delay_alu instid0(VALU_DEP_1) | instskip(SKIP_1) | instid1(VALU_DEP_2)
	v_pk_mul_f32 v[2:3], v[2:3], v[10:11] op_sel_hi:[1,0]
	s_wait_dscnt 0x0
	v_pk_add_f32 v[18:19], v[0:1], v[6:7]
	v_pk_mul_f32 v[0:1], v[0:1], v[6:7]
	s_delay_alu instid0(VALU_DEP_2) | instskip(NEXT) | instid1(VALU_DEP_1)
	v_dual_mov_b32 v5, v6 :: v_dual_mov_b32 v1, v19
	v_pk_fma_f32 v[2:3], v[2:3], v[4:5], v[0:1]
.LBB3_12:
	s_or_b32 exec_lo, exec_lo, s3
	v_cmp_ne_u32_e32 vcc_lo, 31, v16
	s_mov_b32 s3, exec_lo
	v_mov_b32_e32 v1, 0
	v_add_co_ci_u32_e64 v0, null, 0, v16, vcc_lo
	s_delay_alu instid0(VALU_DEP_1)
	v_lshlrev_b32_e32 v0, 2, v0
	ds_bpermute_b32 v10, v0, v11
	s_wait_dscnt 0x0
	v_add_f32_e32 v9, v11, v10
	ds_bpermute_b32 v4, v0, v2
	ds_bpermute_b32 v7, v0, v3
	v_mov_b32_e32 v0, 0
	v_cmpx_lt_f32_e32 0, v9
	s_cbranch_execz .LBB3_14
; %bb.13:
	v_div_scale_f32 v0, null, v9, v9, 1.0
	v_div_scale_f32 v6, vcc_lo, 1.0, v9, 1.0
	s_delay_alu instid0(VALU_DEP_2) | instskip(SKIP_1) | instid1(TRANS32_DEP_1)
	v_rcp_f32_e32 v1, v0
	v_nop
	v_fma_f32 v5, -v0, v1, 1.0
	s_delay_alu instid0(VALU_DEP_1) | instskip(NEXT) | instid1(VALU_DEP_1)
	v_fmac_f32_e32 v1, v5, v1
	v_mul_f32_e32 v5, v6, v1
	s_delay_alu instid0(VALU_DEP_1) | instskip(NEXT) | instid1(VALU_DEP_1)
	v_fma_f32 v12, -v0, v5, v6
	v_fmac_f32_e32 v5, v12, v1
	s_delay_alu instid0(VALU_DEP_1) | instskip(NEXT) | instid1(VALU_DEP_1)
	v_fma_f32 v0, -v0, v5, v6
	v_div_fmas_f32 v0, v0, v1, v5
	s_wait_dscnt 0x1
	v_sub_f32_e32 v1, v2, v4
	s_delay_alu instid0(VALU_DEP_2) | instskip(NEXT) | instid1(VALU_DEP_1)
	v_div_fixup_f32 v0, v0, v9, 1.0
	v_dual_mul_f32 v1, v1, v1 :: v_dual_mul_f32 v6, v11, v0
	s_delay_alu instid0(VALU_DEP_1) | instskip(SKIP_1) | instid1(VALU_DEP_2)
	v_pk_mul_f32 v[0:1], v[0:1], v[10:11] op_sel_hi:[1,0]
	s_wait_dscnt 0x0
	v_pk_add_f32 v[16:17], v[2:3], v[6:7]
	v_pk_mul_f32 v[2:3], v[2:3], v[6:7]
	s_delay_alu instid0(VALU_DEP_2) | instskip(NEXT) | instid1(VALU_DEP_1)
	v_dual_mov_b32 v5, v6 :: v_dual_mov_b32 v3, v17
	v_pk_fma_f32 v[0:1], v[0:1], v[4:5], v[2:3]
.LBB3_14:
	s_or_b32 exec_lo, exec_lo, s3
	s_cmp_lt_u32 s8, 2
	s_cbranch_scc0 .LBB3_16
; %bb.15:
	v_mov_b32_e32 v2, 0
	s_cvt_f32_i32 s3, s12
	ds_bpermute_b32 v3, v2, v1
	s_wait_dscnt 0x0
	v_div_scale_f32 v4, null, s3, s3, v3
	s_delay_alu instid0(VALU_DEP_1) | instskip(SKIP_1) | instid1(TRANS32_DEP_1)
	v_rcp_f32_e32 v5, v4
	v_nop
	v_fma_f32 v6, -v4, v5, 1.0
	s_delay_alu instid0(VALU_DEP_1) | instskip(SKIP_3) | instid1(VALU_DEP_1)
	v_fmac_f32_e32 v5, v6, v5
	v_div_scale_f32 v6, vcc_lo, v3, s3, v3
	ds_bpermute_b32 v10, v2, v0
	v_mul_f32_e32 v7, v6, v5
	v_fma_f32 v11, -v4, v7, v6
	s_delay_alu instid0(VALU_DEP_1) | instskip(NEXT) | instid1(VALU_DEP_1)
	v_fmac_f32_e32 v7, v11, v5
	v_fma_f32 v2, -v4, v7, v6
	s_delay_alu instid0(VALU_DEP_1) | instskip(NEXT) | instid1(VALU_DEP_1)
	v_div_fmas_f32 v2, v2, v5, v7
	v_div_fixup_f32 v11, v2, s3, v3
	s_cbranch_execz .LBB3_17
	s_branch .LBB3_29
.LBB3_16:
                                        ; implicit-def: $vgpr10_vgpr11
.LBB3_17:
	v_lshlrev_b32_e32 v2, 3, v13
	s_lshl_b32 s3, s8, 2
	s_delay_alu instid0(SALU_CYCLE_1)
	s_add_co_i32 s5, s3, 0
	v_cmp_eq_u32_e64 s3, 0, v15
	s_wait_dscnt 0x1
	v_lshl_add_u32 v4, v13, 2, s5
	v_add_nc_u32_e32 v5, 0, v2
.LBB3_18:                               ; =>This Inner Loop Header: Depth=1
	s_lshr_b32 s6, s8, 1
	s_and_b32 s4, s8, 0xfffe
	v_cmp_le_u32_e32 vcc_lo, s6, v13
	v_cmp_gt_u32_e64 s4, s4, v13
	s_and_b32 s7, s3, vcc_lo
	s_delay_alu instid0(SALU_CYCLE_1) | instskip(NEXT) | instid1(SALU_CYCLE_1)
	s_and_b32 s7, s7, s4
	s_and_saveexec_b32 s4, s7
	s_cbranch_execz .LBB3_20
; %bb.19:                               ;   in Loop: Header=BB3_18 Depth=1
	v_subrev_nc_u32_e32 v2, s6, v13
	s_delay_alu instid0(VALU_DEP_1)
	v_lshl_add_u32 v3, v2, 3, 0
	v_lshl_add_u32 v2, v2, 2, s5
	ds_store_2addr_b32 v3, v0, v1 offset1:1
	ds_store_b32 v2, v9
.LBB3_20:                               ;   in Loop: Header=BB3_18 Depth=1
	s_or_b32 exec_lo, exec_lo, s4
	v_cmp_gt_u32_e32 vcc_lo, s6, v13
	s_wait_dscnt 0x0
	s_barrier_signal -1
	s_barrier_wait -1
	s_and_b32 s7, s3, vcc_lo
	s_delay_alu instid0(SALU_CYCLE_1)
	s_and_saveexec_b32 s4, s7
	s_cbranch_execz .LBB3_24
; %bb.21:                               ;   in Loop: Header=BB3_18 Depth=1
	ds_load_b32 v7, v4
	v_mov_b32_e32 v2, 0
	s_mov_b32 s7, exec_lo
	s_wait_dscnt 0x0
	v_dual_mov_b32 v3, 0 :: v_dual_add_f32 v6, v9, v7
	s_delay_alu instid0(VALU_DEP_1)
	v_cmpx_lt_f32_e32 0, v6
	s_cbranch_execz .LBB3_23
; %bb.22:                               ;   in Loop: Header=BB3_18 Depth=1
	v_div_scale_f32 v10, null, v6, v6, 1.0
	v_div_scale_f32 v12, vcc_lo, 1.0, v6, 1.0
	s_delay_alu instid0(VALU_DEP_2) | instskip(SKIP_1) | instid1(TRANS32_DEP_1)
	v_rcp_f32_e32 v11, v10
	v_nop
	v_fma_f32 v2, -v10, v11, 1.0
	s_delay_alu instid0(VALU_DEP_1) | instskip(SKIP_2) | instid1(VALU_DEP_1)
	v_fmac_f32_e32 v11, v2, v11
	ds_load_2addr_b32 v[2:3], v5 offset1:1
	v_mul_f32_e32 v16, v12, v11
	v_fma_f32 v17, -v10, v16, v12
	s_delay_alu instid0(VALU_DEP_1) | instskip(NEXT) | instid1(VALU_DEP_1)
	v_fmac_f32_e32 v16, v17, v11
	v_fma_f32 v10, -v10, v16, v12
	s_delay_alu instid0(VALU_DEP_1) | instskip(SKIP_2) | instid1(VALU_DEP_2)
	v_div_fmas_f32 v10, v10, v11, v16
	s_wait_dscnt 0x0
	v_sub_f32_e32 v11, v0, v2
	v_div_fixup_f32 v10, v10, v6, 1.0
	s_delay_alu instid0(VALU_DEP_2) | instskip(NEXT) | instid1(VALU_DEP_2)
	v_mul_f32_e32 v11, v11, v11
	v_dual_mul_f32 v12, v7, v10 :: v_dual_add_f32 v3, v1, v3
	s_delay_alu instid0(VALU_DEP_2) | instskip(NEXT) | instid1(VALU_DEP_2)
	v_dual_mul_f32 v10, v9, v10 :: v_dual_mul_f32 v1, v7, v11
	v_mul_f32_e32 v2, v12, v2
	s_delay_alu instid0(VALU_DEP_1)
	v_pk_fma_f32 v[2:3], v[0:1], v[10:11], v[2:3] op_sel_hi:[1,0,1]
.LBB3_23:                               ;   in Loop: Header=BB3_18 Depth=1
	s_or_b32 exec_lo, exec_lo, s7
	s_delay_alu instid0(VALU_DEP_1) | instskip(NEXT) | instid1(VALU_DEP_2)
	v_dual_mov_b32 v9, v6 :: v_dual_mov_b32 v0, v2
	v_mov_b32_e32 v1, v3
.LBB3_24:                               ;   in Loop: Header=BB3_18 Depth=1
	s_or_b32 exec_lo, exec_lo, s4
	s_cmp_lt_u32 s8, 4
	s_barrier_signal -1
	s_barrier_wait -1
	s_cbranch_scc1 .LBB3_26
; %bb.25:                               ;   in Loop: Header=BB3_18 Depth=1
	s_mov_b32 s8, s6
	s_branch .LBB3_18
.LBB3_26:
	v_or_b32_e32 v2, v15, v13
	s_mov_b32 s3, exec_lo
	s_delay_alu instid0(VALU_DEP_1)
	v_cmpx_eq_u32_e32 0, v2
	s_cbranch_execz .LBB3_28
; %bb.27:
	s_cvt_f32_i32 s4, s12
	s_delay_alu instid0(SALU_CYCLE_3) | instskip(SKIP_1) | instid1(VALU_DEP_2)
	v_div_scale_f32 v2, null, s4, s4, v1
	v_div_scale_f32 v5, vcc_lo, v1, s4, v1
	v_rcp_f32_e32 v3, v2
	v_nop
	s_delay_alu instid0(TRANS32_DEP_1) | instskip(NEXT) | instid1(VALU_DEP_1)
	v_fma_f32 v4, -v2, v3, 1.0
	v_fmac_f32_e32 v3, v4, v3
	s_delay_alu instid0(VALU_DEP_1) | instskip(NEXT) | instid1(VALU_DEP_1)
	v_mul_f32_e32 v4, v5, v3
	v_fma_f32 v6, -v2, v4, v5
	s_delay_alu instid0(VALU_DEP_1) | instskip(NEXT) | instid1(VALU_DEP_1)
	v_fmac_f32_e32 v4, v6, v3
	v_fma_f32 v2, -v2, v4, v5
	s_delay_alu instid0(VALU_DEP_1) | instskip(NEXT) | instid1(VALU_DEP_1)
	v_div_fmas_f32 v2, v2, v3, v4
	v_div_fixup_f32 v1, v2, s4, v1
	v_mov_b32_e32 v2, 0
	ds_store_2addr_b32 v2, v0, v1 offset1:1
.LBB3_28:
	s_or_b32 exec_lo, exec_lo, s3
	v_mov_b32_e32 v0, 0
	s_wait_dscnt 0x0
	s_barrier_signal -1
	s_barrier_wait -1
	ds_load_2addr_b32 v[10:11], v0 offset1:1
.LBB3_29:
	s_wait_dscnt 0x0
	s_delay_alu instid0(VALU_DEP_1) | instskip(SKIP_3) | instid1(VALU_DEP_1)
	v_add_f32_e32 v0, s13, v11
	s_clause 0x1
	s_load_b256 s[4:11], s[0:1], 0x10
	s_load_b64 s[12:13], s[0:1], 0x30
	v_mul_f32_e32 v1, 0x4b800000, v0
	v_cmp_gt_f32_e32 vcc_lo, 0x800000, v0
	s_delay_alu instid0(VALU_DEP_2) | instskip(NEXT) | instid1(VALU_DEP_1)
	v_cndmask_b32_e32 v0, v0, v1, vcc_lo
	v_rsq_f32_e32 v0, v0
	v_nop
	s_delay_alu instid0(TRANS32_DEP_1) | instskip(NEXT) | instid1(VALU_DEP_1)
	v_mul_f32_e32 v1, 0x45800000, v0
	v_cndmask_b32_e32 v12, v0, v1, vcc_lo
	s_and_saveexec_b32 s23, s2
	s_cbranch_execz .LBB3_44
; %bb.30:
	s_wait_kmcnt 0x0
	s_cmp_eq_u64 s[4:5], 0
	v_dual_mov_b32 v13, v12 :: v_dual_mov_b32 v11, v10
	s_cselect_b32 s24, -1, 0
	s_cmp_eq_u64 s[6:7], 0
	v_dual_mov_b32 v9, 0 :: v_dual_mov_b32 v16, v14
	s_cselect_b32 s2, -1, 0
	s_lshl_b64 s[26:27], s[20:21], 2
	v_cndmask_b32_e64 v15, 0, 1, s2
	s_add_nc_u64 s[0:1], s[12:13], s[26:27]
	s_ashr_i32 s19, s18, 31
	s_add_nc_u64 s[12:13], s[14:15], s[26:27]
	s_or_b32 s20, s24, s2
	s_lshl_b64 s[2:3], s[18:19], 4
	s_add_nc_u64 s[12:13], s[12:13], 8
	s_add_nc_u64 s[4:5], s[4:5], 8
	s_mov_b32 s14, 0
	s_branch .LBB3_32
.LBB3_31:                               ;   in Loop: Header=BB3_32 Depth=1
	v_add_nc_u32_e32 v16, s18, v16
	s_wait_loadcnt 0x0
	s_wait_xcnt 0x0
	v_add_nc_u64_e32 v[0:1], s[0:1], v[8:9]
	v_add_nc_u64_e32 v[8:9], s[2:3], v[8:9]
	v_cmp_le_i32_e32 vcc_lo, s22, v16
	global_store_b128 v[0:1], v[4:7], off
	s_or_b32 s14, vcc_lo, s14
	s_wait_xcnt 0x0
	s_and_not1_b32 exec_lo, exec_lo, s14
	s_cbranch_execz .LBB3_44
.LBB3_32:                               ; =>This Inner Loop Header: Depth=1
	v_add_nc_u64_e32 v[0:1], s[12:13], v[8:9]
	s_and_b32 vcc_lo, exec_lo, s20
	s_mov_b32 s15, -1
                                        ; implicit-def: $vgpr6_vgpr7
	global_load_b128 v[0:3], v[0:1], off offset:-8
	s_cbranch_vccz .LBB3_42
; %bb.33:                               ;   in Loop: Header=BB3_32 Depth=1
	s_and_b32 vcc_lo, exec_lo, s24
                                        ; implicit-def: $vgpr6_vgpr7
	s_cbranch_vccz .LBB3_39
; %bb.34:                               ;   in Loop: Header=BB3_32 Depth=1
	v_cmp_ne_u32_e32 vcc_lo, 1, v15
                                        ; implicit-def: $vgpr6_vgpr7
	s_cbranch_vccnz .LBB3_36
; %bb.35:                               ;   in Loop: Header=BB3_32 Depth=1
	s_wait_loadcnt 0x0
	v_pk_add_f32 v[4:5], v[0:1], v[10:11] neg_lo:[0,1] neg_hi:[0,1]
	v_pk_add_f32 v[6:7], v[2:3], v[10:11] neg_lo:[0,1] neg_hi:[0,1]
	s_mov_b32 s15, 0
	s_delay_alu instid0(VALU_DEP_2) | instskip(NEXT) | instid1(VALU_DEP_2)
	v_pk_mul_f32 v[4:5], v[12:13], v[4:5]
	v_pk_mul_f32 v[6:7], v[12:13], v[6:7]
.LBB3_36:                               ;   in Loop: Header=BB3_32 Depth=1
	s_and_not1_b32 vcc_lo, exec_lo, s15
	s_cbranch_vccnz .LBB3_38
; %bb.37:                               ;   in Loop: Header=BB3_32 Depth=1
	v_add_nc_u64_e32 v[4:5], s[6:7], v[8:9]
	s_wait_loadcnt 0x0
	v_pk_add_f32 v[18:19], v[0:1], v[10:11] neg_lo:[0,1] neg_hi:[0,1]
	v_pk_add_f32 v[20:21], v[2:3], v[10:11] neg_lo:[0,1] neg_hi:[0,1]
	global_load_b128 v[4:7], v[4:5], off
	s_wait_loadcnt 0x0
	s_wait_xcnt 0x0
	v_pk_fma_f32 v[4:5], v[12:13], v[18:19], v[4:5]
	v_pk_fma_f32 v[6:7], v[12:13], v[20:21], v[6:7]
.LBB3_38:                               ;   in Loop: Header=BB3_32 Depth=1
	s_mov_b32 s15, 0
.LBB3_39:                               ;   in Loop: Header=BB3_32 Depth=1
	s_delay_alu instid0(SALU_CYCLE_1)
	s_and_not1_b32 vcc_lo, exec_lo, s15
	s_cbranch_vccnz .LBB3_41
; %bb.40:                               ;   in Loop: Header=BB3_32 Depth=1
	v_add_nc_u64_e32 v[4:5], s[4:5], v[8:9]
	s_wait_loadcnt 0x0
	v_pk_add_f32 v[18:19], v[0:1], v[10:11] neg_lo:[0,1] neg_hi:[0,1]
	v_pk_add_f32 v[20:21], v[2:3], v[10:11] neg_lo:[0,1] neg_hi:[0,1]
	s_delay_alu instid0(VALU_DEP_2)
	v_pk_mul_f32 v[18:19], v[12:13], v[18:19]
	global_load_b128 v[4:7], v[4:5], off offset:-8
	v_pk_mul_f32 v[20:21], v[12:13], v[20:21]
	s_wait_loadcnt 0x0
	s_wait_xcnt 0x0
	v_pk_mul_f32 v[4:5], v[18:19], v[4:5]
	s_delay_alu instid0(VALU_DEP_2)
	v_pk_mul_f32 v[6:7], v[20:21], v[6:7]
.LBB3_41:                               ;   in Loop: Header=BB3_32 Depth=1
	s_mov_b32 s15, 0
.LBB3_42:                               ;   in Loop: Header=BB3_32 Depth=1
	s_delay_alu instid0(SALU_CYCLE_1)
	s_and_not1_b32 vcc_lo, exec_lo, s15
	s_cbranch_vccnz .LBB3_31
; %bb.43:                               ;   in Loop: Header=BB3_32 Depth=1
	v_add_nc_u64_e32 v[22:23], s[4:5], v[8:9]
	v_add_nc_u64_e32 v[24:25], s[6:7], v[8:9]
	s_wait_loadcnt 0x0
	s_wait_xcnt 0x0
	v_pk_add_f32 v[0:1], v[0:1], v[10:11] neg_lo:[0,1] neg_hi:[0,1]
	v_pk_add_f32 v[2:3], v[2:3], v[10:11] neg_lo:[0,1] neg_hi:[0,1]
	global_load_b128 v[4:7], v[22:23], off offset:-8
	global_load_b128 v[18:21], v[24:25], off
	v_pk_mul_f32 v[0:1], v[12:13], v[0:1]
	v_pk_mul_f32 v[2:3], v[12:13], v[2:3]
	s_wait_loadcnt 0x0
	s_delay_alu instid0(VALU_DEP_2) | instskip(NEXT) | instid1(VALU_DEP_2)
	v_pk_fma_f32 v[4:5], v[0:1], v[4:5], v[18:19]
	v_pk_fma_f32 v[6:7], v[2:3], v[6:7], v[20:21]
	s_branch .LBB3_31
.LBB3_44:
	s_or_b32 exec_lo, exec_lo, s23
	s_wait_xcnt 0x0
	s_mov_b32 s0, exec_lo
	v_cmpx_eq_u32_e32 0, v14
	s_cbranch_execz .LBB3_46
; %bb.45:
	v_mov_b32_e32 v0, 0
	s_lshl_b64 s[0:1], s[16:17], 2
	s_wait_kmcnt 0x0
	s_add_nc_u64 s[2:3], s[8:9], s[0:1]
	s_add_nc_u64 s[0:1], s[10:11], s[0:1]
	s_clause 0x1
	global_store_b32 v0, v10, s[2:3]
	global_store_b32 v0, v12, s[0:1]
.LBB3_46:
	s_endpgm
	.section	.rodata,"a",@progbits
	.p2align	6, 0x0
	.amdhsa_kernel _ZN2at6native12_GLOBAL__N_128vectorized_layer_norm_kernelIffLb0EEEviT0_PKT_S6_S6_PS3_S7_PS4_
		.amdhsa_group_segment_fixed_size 0
		.amdhsa_private_segment_fixed_size 0
		.amdhsa_kernarg_size 312
		.amdhsa_user_sgpr_count 2
		.amdhsa_user_sgpr_dispatch_ptr 0
		.amdhsa_user_sgpr_queue_ptr 0
		.amdhsa_user_sgpr_kernarg_segment_ptr 1
		.amdhsa_user_sgpr_dispatch_id 0
		.amdhsa_user_sgpr_kernarg_preload_length 0
		.amdhsa_user_sgpr_kernarg_preload_offset 0
		.amdhsa_user_sgpr_private_segment_size 0
		.amdhsa_wavefront_size32 1
		.amdhsa_uses_dynamic_stack 0
		.amdhsa_enable_private_segment 0
		.amdhsa_system_sgpr_workgroup_id_x 1
		.amdhsa_system_sgpr_workgroup_id_y 0
		.amdhsa_system_sgpr_workgroup_id_z 0
		.amdhsa_system_sgpr_workgroup_info 0
		.amdhsa_system_vgpr_workitem_id 1
		.amdhsa_next_free_vgpr 31
		.amdhsa_next_free_sgpr 28
		.amdhsa_named_barrier_count 0
		.amdhsa_reserve_vcc 1
		.amdhsa_float_round_mode_32 0
		.amdhsa_float_round_mode_16_64 0
		.amdhsa_float_denorm_mode_32 3
		.amdhsa_float_denorm_mode_16_64 3
		.amdhsa_fp16_overflow 0
		.amdhsa_memory_ordered 1
		.amdhsa_forward_progress 1
		.amdhsa_inst_pref_size 27
		.amdhsa_round_robin_scheduling 0
		.amdhsa_exception_fp_ieee_invalid_op 0
		.amdhsa_exception_fp_denorm_src 0
		.amdhsa_exception_fp_ieee_div_zero 0
		.amdhsa_exception_fp_ieee_overflow 0
		.amdhsa_exception_fp_ieee_underflow 0
		.amdhsa_exception_fp_ieee_inexact 0
		.amdhsa_exception_int_div_zero 0
	.end_amdhsa_kernel
	.section	.text._ZN2at6native12_GLOBAL__N_128vectorized_layer_norm_kernelIffLb0EEEviT0_PKT_S6_S6_PS3_S7_PS4_,"axG",@progbits,_ZN2at6native12_GLOBAL__N_128vectorized_layer_norm_kernelIffLb0EEEviT0_PKT_S6_S6_PS3_S7_PS4_,comdat
.Lfunc_end3:
	.size	_ZN2at6native12_GLOBAL__N_128vectorized_layer_norm_kernelIffLb0EEEviT0_PKT_S6_S6_PS3_S7_PS4_, .Lfunc_end3-_ZN2at6native12_GLOBAL__N_128vectorized_layer_norm_kernelIffLb0EEEviT0_PKT_S6_S6_PS3_S7_PS4_
                                        ; -- End function
	.set _ZN2at6native12_GLOBAL__N_128vectorized_layer_norm_kernelIffLb0EEEviT0_PKT_S6_S6_PS3_S7_PS4_.num_vgpr, 31
	.set _ZN2at6native12_GLOBAL__N_128vectorized_layer_norm_kernelIffLb0EEEviT0_PKT_S6_S6_PS3_S7_PS4_.num_agpr, 0
	.set _ZN2at6native12_GLOBAL__N_128vectorized_layer_norm_kernelIffLb0EEEviT0_PKT_S6_S6_PS3_S7_PS4_.numbered_sgpr, 28
	.set _ZN2at6native12_GLOBAL__N_128vectorized_layer_norm_kernelIffLb0EEEviT0_PKT_S6_S6_PS3_S7_PS4_.num_named_barrier, 0
	.set _ZN2at6native12_GLOBAL__N_128vectorized_layer_norm_kernelIffLb0EEEviT0_PKT_S6_S6_PS3_S7_PS4_.private_seg_size, 0
	.set _ZN2at6native12_GLOBAL__N_128vectorized_layer_norm_kernelIffLb0EEEviT0_PKT_S6_S6_PS3_S7_PS4_.uses_vcc, 1
	.set _ZN2at6native12_GLOBAL__N_128vectorized_layer_norm_kernelIffLb0EEEviT0_PKT_S6_S6_PS3_S7_PS4_.uses_flat_scratch, 0
	.set _ZN2at6native12_GLOBAL__N_128vectorized_layer_norm_kernelIffLb0EEEviT0_PKT_S6_S6_PS3_S7_PS4_.has_dyn_sized_stack, 0
	.set _ZN2at6native12_GLOBAL__N_128vectorized_layer_norm_kernelIffLb0EEEviT0_PKT_S6_S6_PS3_S7_PS4_.has_recursion, 0
	.set _ZN2at6native12_GLOBAL__N_128vectorized_layer_norm_kernelIffLb0EEEviT0_PKT_S6_S6_PS3_S7_PS4_.has_indirect_call, 0
	.section	.AMDGPU.csdata,"",@progbits
; Kernel info:
; codeLenInByte = 3424
; TotalNumSgprs: 30
; NumVgprs: 31
; ScratchSize: 0
; MemoryBound: 0
; FloatMode: 240
; IeeeMode: 1
; LDSByteSize: 0 bytes/workgroup (compile time only)
; SGPRBlocks: 0
; VGPRBlocks: 1
; NumSGPRsForWavesPerEU: 30
; NumVGPRsForWavesPerEU: 31
; NamedBarCnt: 0
; Occupancy: 16
; WaveLimiterHint : 0
; COMPUTE_PGM_RSRC2:SCRATCH_EN: 0
; COMPUTE_PGM_RSRC2:USER_SGPR: 2
; COMPUTE_PGM_RSRC2:TRAP_HANDLER: 0
; COMPUTE_PGM_RSRC2:TGID_X_EN: 1
; COMPUTE_PGM_RSRC2:TGID_Y_EN: 0
; COMPUTE_PGM_RSRC2:TGID_Z_EN: 0
; COMPUTE_PGM_RSRC2:TIDIG_COMP_CNT: 1
	.section	.text._ZN2at6native12_GLOBAL__N_124RowwiseMomentsCUDAKernelIffLb0EEEvlT0_PKT_PS3_S7_,"axG",@progbits,_ZN2at6native12_GLOBAL__N_124RowwiseMomentsCUDAKernelIffLb0EEEvlT0_PKT_PS3_S7_,comdat
	.globl	_ZN2at6native12_GLOBAL__N_124RowwiseMomentsCUDAKernelIffLb0EEEvlT0_PKT_PS3_S7_ ; -- Begin function _ZN2at6native12_GLOBAL__N_124RowwiseMomentsCUDAKernelIffLb0EEEvlT0_PKT_PS3_S7_
	.p2align	8
	.type	_ZN2at6native12_GLOBAL__N_124RowwiseMomentsCUDAKernelIffLb0EEEvlT0_PKT_PS3_S7_,@function
_ZN2at6native12_GLOBAL__N_124RowwiseMomentsCUDAKernelIffLb0EEEvlT0_PKT_PS3_S7_: ; @_ZN2at6native12_GLOBAL__N_124RowwiseMomentsCUDAKernelIffLb0EEEvlT0_PKT_PS3_S7_
; %bb.0:
	s_clause 0x2
	s_load_b64 s[10:11], s[0:1], 0x0
	s_load_b128 s[4:7], s[0:1], 0x10
	s_load_b64 s[2:3], s[0:1], 0x20
	s_bfe_u32 s8, ttmp6, 0x4000c
	s_and_b32 s9, ttmp6, 15
	s_add_co_i32 s8, s8, 1
	v_mov_b64_e32 v[6:7], 0
	s_mul_i32 s8, ttmp9, s8
	v_mov_b64_e32 v[2:3], 0
	s_getreg_b32 s12, hwreg(HW_REG_IB_STS2, 6, 4)
	v_mov_b32_e32 v1, 0
	s_add_co_i32 s8, s9, s8
	s_cmp_eq_u32 s12, 0
	s_mov_b32 s9, 0
	s_cselect_b32 s8, ttmp9, s8
	s_mov_b32 s16, exec_lo
	s_wait_kmcnt 0x0
	v_cmpx_gt_i64_e64 s[10:11], v[0:1]
	s_cbranch_execz .LBB4_4
; %bb.1:
	s_load_b32 s12, s[0:1], 0x34
	s_mul_u64 s[14:15], s[10:11], s[8:9]
	v_dual_mov_b32 v5, 0 :: v_dual_lshlrev_b32 v4, 2, v0
	s_lshl_b64 s[18:19], s[14:15], 2
	v_mov_b64_e32 v[8:9], v[0:1]
	s_add_nc_u64 s[4:5], s[4:5], s[18:19]
	s_mov_b32 s13, s9
	v_add_nc_u64_e32 v[10:11], s[4:5], v[4:5]
	v_mov_b32_e32 v3, v5
	s_mov_b32 s15, s9
	s_mov_b64 s[4:5], 0
	s_mov_b32 s17, s9
	s_wait_kmcnt 0x0
	s_and_b32 s12, s12, 0xffff
	s_delay_alu instid0(SALU_CYCLE_1)
	s_lshl_b32 s14, s12, 2
.LBB4_2:                                ; =>This Inner Loop Header: Depth=1
	global_load_b32 v2, v[10:11], off
	s_add_nc_u64 s[4:5], s[4:5], 1
	v_add_nc_u64_e32 v[8:9], s[12:13], v[8:9]
	s_clz_i32_u32 s18, s5
	s_wait_xcnt 0x0
	v_add_nc_u64_e32 v[10:11], s[14:15], v[10:11]
	s_min_u32 s20, s18, 32
	s_delay_alu instid0(SALU_CYCLE_1) | instskip(NEXT) | instid1(SALU_CYCLE_1)
	s_lshl_b64 s[18:19], s[4:5], s20
	s_min_u32 s18, s18, 1
	s_delay_alu instid0(SALU_CYCLE_1) | instskip(SKIP_2) | instid1(SALU_CYCLE_3)
	s_or_b32 s18, s19, s18
	s_sub_co_i32 s19, 32, s20
	s_cvt_f32_u32 s18, s18
	v_ldexp_f32 v1, s18, s19
	s_wait_loadcnt 0x0
	v_sub_f32_e32 v4, v2, v3
	s_delay_alu instid0(VALU_DEP_1) | instskip(SKIP_1) | instid1(VALU_DEP_2)
	v_div_scale_f32 v6, null, v1, v1, v4
	v_div_scale_f32 v13, vcc_lo, v4, v1, v4
	v_rcp_f32_e32 v7, v6
	v_nop
	s_delay_alu instid0(TRANS32_DEP_1) | instskip(NEXT) | instid1(VALU_DEP_1)
	v_fma_f32 v12, -v6, v7, 1.0
	v_fmac_f32_e32 v7, v12, v7
	s_delay_alu instid0(VALU_DEP_1) | instskip(NEXT) | instid1(VALU_DEP_1)
	v_mul_f32_e32 v12, v13, v7
	v_fma_f32 v14, -v6, v12, v13
	s_delay_alu instid0(VALU_DEP_1) | instskip(NEXT) | instid1(VALU_DEP_1)
	v_fmac_f32_e32 v12, v14, v7
	v_fma_f32 v6, -v6, v12, v13
	s_delay_alu instid0(VALU_DEP_1) | instskip(SKIP_1) | instid1(VALU_DEP_2)
	v_div_fmas_f32 v6, v6, v7, v12
	v_cmp_le_i64_e32 vcc_lo, s[10:11], v[8:9]
	v_div_fixup_f32 v6, v6, v1, v4
	s_or_b32 s17, vcc_lo, s17
	s_delay_alu instid0(VALU_DEP_1) | instskip(SKIP_1) | instid1(VALU_DEP_2)
	v_add_f32_e32 v3, v3, v6
	v_mov_b64_e32 v[6:7], s[4:5]
	v_sub_f32_e32 v2, v2, v3
	s_delay_alu instid0(VALU_DEP_1)
	v_fmac_f32_e32 v5, v4, v2
	s_and_not1_b32 exec_lo, exec_lo, s17
	s_cbranch_execnz .LBB4_2
; %bb.3:
	s_or_b32 exec_lo, exec_lo, s17
	s_delay_alu instid0(VALU_DEP_1)
	v_mov_b32_e32 v2, v5
.LBB4_4:
	s_or_b32 exec_lo, exec_lo, s16
	v_mbcnt_lo_u32_b32 v13, -1, 0
	s_mov_b32 s4, exec_lo
	s_delay_alu instid0(VALU_DEP_1)
	v_lshl_or_b32 v10, v13, 2, 64
	ds_bpermute_b32 v5, v10, v3
	ds_bpermute_b32 v4, v10, v2
	;; [unrolled: 1-line block ×5, first 2 shown]
	v_cmpx_neq_f32_e32 0, v1
	s_cbranch_execz .LBB4_8
; %bb.5:
	s_mov_b32 s5, exec_lo
	s_wait_dscnt 0x0
	v_cmpx_neq_f32_e32 0, v11
	s_cbranch_execz .LBB4_7
; %bb.6:
	v_add_f32_e32 v12, v1, v11
	s_delay_alu instid0(VALU_DEP_1) | instskip(SKIP_1) | instid1(VALU_DEP_2)
	v_div_scale_f32 v6, null, v12, v12, v11
	v_div_scale_f32 v14, vcc_lo, v11, v12, v11
	v_rcp_f32_e32 v7, v6
	v_nop
	s_delay_alu instid0(TRANS32_DEP_1) | instskip(NEXT) | instid1(VALU_DEP_1)
	v_fma_f32 v8, -v6, v7, 1.0
	v_fmac_f32_e32 v7, v8, v7
	s_delay_alu instid0(VALU_DEP_1) | instskip(NEXT) | instid1(VALU_DEP_1)
	v_mul_f32_e32 v15, v14, v7
	v_fma_f32 v8, -v6, v15, v14
	s_delay_alu instid0(VALU_DEP_1) | instskip(SKIP_2) | instid1(VALU_DEP_3)
	v_fmac_f32_e32 v15, v8, v7
	v_pk_add_f32 v[8:9], v[4:5], v[2:3] neg_lo:[0,1] neg_hi:[0,1]
	v_pk_add_f32 v[4:5], v[2:3], v[4:5]
	v_dual_mov_b32 v5, v3 :: v_dual_fma_f32 v6, -v6, v15, v14
	s_delay_alu instid0(VALU_DEP_3) | instskip(NEXT) | instid1(VALU_DEP_2)
	v_mul_f32_e32 v8, v9, v9
	v_div_fmas_f32 v6, v6, v7, v15
	s_delay_alu instid0(VALU_DEP_2) | instskip(NEXT) | instid1(VALU_DEP_2)
	v_dual_mul_f32 v8, v1, v8 :: v_dual_mov_b32 v1, v12
	v_div_fixup_f32 v2, v6, v12, v11
	v_mov_b64_e32 v[6:7], -1
	s_delay_alu instid0(VALU_DEP_2)
	v_pk_fma_f32 v[2:3], v[8:9], v[2:3], v[4:5] op_sel_hi:[1,0,1]
.LBB4_7:
	s_or_b32 exec_lo, exec_lo, s5
	s_delay_alu instid0(VALU_DEP_2) | instskip(NEXT) | instid1(VALU_DEP_2)
	v_mov_b64_e32 v[8:9], v[6:7]
	v_mov_b64_e32 v[4:5], v[2:3]
	v_mov_b32_e32 v11, v1
.LBB4_8:
	s_or_b32 exec_lo, exec_lo, s4
	v_cmp_gt_u32_e32 vcc_lo, 24, v13
	s_mov_b32 s4, exec_lo
	v_cndmask_b32_e64 v1, 0, 8, vcc_lo
	s_delay_alu instid0(VALU_DEP_1)
	v_add_lshl_u32 v1, v1, v13, 2
	s_wait_dscnt 0x4
	ds_bpermute_b32 v3, v1, v5
	s_wait_dscnt 0x4
	ds_bpermute_b32 v2, v1, v4
	;; [unrolled: 2-line block ×5, first 2 shown]
	v_cmpx_neq_f32_e32 0, v11
	s_cbranch_execz .LBB4_12
; %bb.9:
	s_mov_b32 s5, exec_lo
	s_wait_dscnt 0x0
	v_cmpx_neq_f32_e32 0, v12
	s_cbranch_execz .LBB4_11
; %bb.10:
	v_add_f32_e32 v14, v11, v12
	s_delay_alu instid0(VALU_DEP_1) | instskip(NEXT) | instid1(VALU_DEP_1)
	v_div_scale_f32 v8, null, v14, v14, v12
	v_rcp_f32_e32 v9, v8
	v_nop
	s_delay_alu instid0(TRANS32_DEP_1) | instskip(NEXT) | instid1(VALU_DEP_1)
	v_fma_f32 v6, -v8, v9, 1.0
	v_fmac_f32_e32 v9, v6, v9
	v_div_scale_f32 v15, vcc_lo, v12, v14, v12
	s_delay_alu instid0(VALU_DEP_1) | instskip(NEXT) | instid1(VALU_DEP_1)
	v_mul_f32_e32 v16, v15, v9
	v_fma_f32 v6, -v8, v16, v15
	s_delay_alu instid0(VALU_DEP_1) | instskip(SKIP_2) | instid1(VALU_DEP_3)
	v_fmac_f32_e32 v16, v6, v9
	v_pk_add_f32 v[6:7], v[2:3], v[4:5] neg_lo:[0,1] neg_hi:[0,1]
	v_pk_add_f32 v[2:3], v[4:5], v[2:3]
	v_dual_mov_b32 v3, v5 :: v_dual_fma_f32 v6, -v8, v16, v15
	s_delay_alu instid0(VALU_DEP_3) | instskip(NEXT) | instid1(VALU_DEP_2)
	v_mul_f32_e32 v8, v7, v7
	v_div_fmas_f32 v9, v6, v9, v16
	s_delay_alu instid0(VALU_DEP_2) | instskip(NEXT) | instid1(VALU_DEP_2)
	v_dual_mul_f32 v6, v11, v8 :: v_dual_mov_b32 v11, v14
	v_div_fixup_f32 v4, v9, v14, v12
	v_mov_b64_e32 v[8:9], -1
	s_delay_alu instid0(VALU_DEP_2)
	v_pk_fma_f32 v[4:5], v[6:7], v[4:5], v[2:3] op_sel_hi:[1,0,1]
.LBB4_11:
	s_or_b32 exec_lo, exec_lo, s5
	s_delay_alu instid0(VALU_DEP_2) | instskip(NEXT) | instid1(VALU_DEP_2)
	v_mov_b64_e32 v[6:7], v[8:9]
	v_mov_b64_e32 v[2:3], v[4:5]
	v_mov_b32_e32 v12, v11
.LBB4_12:
	s_or_b32 exec_lo, exec_lo, s4
	v_cmp_gt_u32_e32 vcc_lo, 28, v13
	s_mov_b32 s4, exec_lo
	v_cndmask_b32_e64 v4, 0, 4, vcc_lo
	s_delay_alu instid0(VALU_DEP_1)
	v_add_lshl_u32 v11, v4, v13, 2
	s_wait_dscnt 0x4
	ds_bpermute_b32 v5, v11, v3
	s_wait_dscnt 0x4
	ds_bpermute_b32 v4, v11, v2
	;; [unrolled: 2-line block ×5, first 2 shown]
	v_cmpx_neq_f32_e32 0, v12
	s_cbranch_execz .LBB4_16
; %bb.13:
	s_mov_b32 s5, exec_lo
	s_wait_dscnt 0x0
	v_cmpx_neq_f32_e32 0, v14
	s_cbranch_execz .LBB4_15
; %bb.14:
	v_add_f32_e32 v15, v12, v14
	s_delay_alu instid0(VALU_DEP_1) | instskip(SKIP_1) | instid1(VALU_DEP_2)
	v_div_scale_f32 v6, null, v15, v15, v14
	v_div_scale_f32 v16, vcc_lo, v14, v15, v14
	v_rcp_f32_e32 v7, v6
	v_nop
	s_delay_alu instid0(TRANS32_DEP_1) | instskip(NEXT) | instid1(VALU_DEP_1)
	v_fma_f32 v8, -v6, v7, 1.0
	v_fmac_f32_e32 v7, v8, v7
	s_delay_alu instid0(VALU_DEP_1) | instskip(NEXT) | instid1(VALU_DEP_1)
	v_mul_f32_e32 v17, v16, v7
	v_fma_f32 v8, -v6, v17, v16
	s_delay_alu instid0(VALU_DEP_1) | instskip(SKIP_2) | instid1(VALU_DEP_3)
	v_fmac_f32_e32 v17, v8, v7
	v_pk_add_f32 v[8:9], v[4:5], v[2:3] neg_lo:[0,1] neg_hi:[0,1]
	v_pk_add_f32 v[4:5], v[2:3], v[4:5]
	v_dual_mov_b32 v5, v3 :: v_dual_fma_f32 v6, -v6, v17, v16
	s_delay_alu instid0(VALU_DEP_3) | instskip(NEXT) | instid1(VALU_DEP_2)
	v_mul_f32_e32 v8, v9, v9
	v_div_fmas_f32 v6, v6, v7, v17
	s_delay_alu instid0(VALU_DEP_2) | instskip(NEXT) | instid1(VALU_DEP_2)
	v_dual_mul_f32 v8, v12, v8 :: v_dual_mov_b32 v12, v15
	v_div_fixup_f32 v2, v6, v15, v14
	v_mov_b64_e32 v[6:7], -1
	s_delay_alu instid0(VALU_DEP_2)
	v_pk_fma_f32 v[2:3], v[8:9], v[2:3], v[4:5] op_sel_hi:[1,0,1]
.LBB4_15:
	s_or_b32 exec_lo, exec_lo, s5
	s_delay_alu instid0(VALU_DEP_2) | instskip(NEXT) | instid1(VALU_DEP_2)
	v_mov_b64_e32 v[8:9], v[6:7]
	v_mov_b64_e32 v[4:5], v[2:3]
	v_mov_b32_e32 v14, v12
.LBB4_16:
	s_or_b32 exec_lo, exec_lo, s4
	v_cmp_gt_u32_e32 vcc_lo, 30, v13
	s_mov_b32 s4, exec_lo
	v_cndmask_b32_e64 v2, 0, 2, vcc_lo
	s_delay_alu instid0(VALU_DEP_1)
	v_add_lshl_u32 v12, v2, v13, 2
	s_wait_dscnt 0x4
	ds_bpermute_b32 v3, v12, v5
	s_wait_dscnt 0x4
	ds_bpermute_b32 v2, v12, v4
	;; [unrolled: 2-line block ×5, first 2 shown]
	v_cmpx_neq_f32_e32 0, v14
	s_cbranch_execz .LBB4_20
; %bb.17:
	s_mov_b32 s5, exec_lo
	s_wait_dscnt 0x0
	v_cmpx_neq_f32_e32 0, v15
	s_cbranch_execz .LBB4_19
; %bb.18:
	v_add_f32_e32 v16, v14, v15
	s_delay_alu instid0(VALU_DEP_1) | instskip(SKIP_1) | instid1(VALU_DEP_2)
	v_div_scale_f32 v8, null, v16, v16, v15
	v_div_scale_f32 v17, vcc_lo, v15, v16, v15
	v_rcp_f32_e32 v9, v8
	v_nop
	s_delay_alu instid0(TRANS32_DEP_1) | instskip(NEXT) | instid1(VALU_DEP_1)
	v_fma_f32 v6, -v8, v9, 1.0
	v_fmac_f32_e32 v9, v6, v9
	s_delay_alu instid0(VALU_DEP_1) | instskip(NEXT) | instid1(VALU_DEP_1)
	v_mul_f32_e32 v18, v17, v9
	v_fma_f32 v6, -v8, v18, v17
	s_delay_alu instid0(VALU_DEP_1) | instskip(SKIP_2) | instid1(VALU_DEP_3)
	v_fmac_f32_e32 v18, v6, v9
	v_pk_add_f32 v[6:7], v[2:3], v[4:5] neg_lo:[0,1] neg_hi:[0,1]
	v_pk_add_f32 v[2:3], v[4:5], v[2:3]
	v_dual_mov_b32 v3, v5 :: v_dual_fma_f32 v6, -v8, v18, v17
	s_delay_alu instid0(VALU_DEP_3) | instskip(NEXT) | instid1(VALU_DEP_2)
	v_mul_f32_e32 v8, v7, v7
	v_div_fmas_f32 v9, v6, v9, v18
	s_delay_alu instid0(VALU_DEP_2) | instskip(NEXT) | instid1(VALU_DEP_2)
	v_dual_mul_f32 v6, v14, v8 :: v_dual_mov_b32 v14, v16
	v_div_fixup_f32 v4, v9, v16, v15
	v_mov_b64_e32 v[8:9], -1
	s_delay_alu instid0(VALU_DEP_2)
	v_pk_fma_f32 v[4:5], v[6:7], v[4:5], v[2:3] op_sel_hi:[1,0,1]
.LBB4_19:
	s_or_b32 exec_lo, exec_lo, s5
	s_delay_alu instid0(VALU_DEP_2) | instskip(NEXT) | instid1(VALU_DEP_2)
	v_mov_b64_e32 v[6:7], v[8:9]
	v_mov_b64_e32 v[2:3], v[4:5]
	v_mov_b32_e32 v15, v14
.LBB4_20:
	s_or_b32 exec_lo, exec_lo, s4
	v_cmp_ne_u32_e32 vcc_lo, 31, v13
	s_mov_b32 s4, exec_lo
	v_add_co_ci_u32_e64 v4, null, 0, v13, vcc_lo
	s_delay_alu instid0(VALU_DEP_1)
	v_lshlrev_b32_e32 v13, 2, v4
	s_wait_dscnt 0x4
	ds_bpermute_b32 v5, v13, v3
	s_wait_dscnt 0x4
	ds_bpermute_b32 v4, v13, v2
	;; [unrolled: 2-line block ×5, first 2 shown]
	v_cmpx_neq_f32_e32 0, v15
	s_cbranch_execz .LBB4_24
; %bb.21:
	s_mov_b32 s5, exec_lo
	s_wait_dscnt 0x0
	v_cmpx_neq_f32_e32 0, v14
	s_cbranch_execz .LBB4_23
; %bb.22:
	v_add_f32_e32 v16, v15, v14
	s_delay_alu instid0(VALU_DEP_1) | instskip(NEXT) | instid1(VALU_DEP_1)
	v_div_scale_f32 v6, null, v16, v16, v14
	v_rcp_f32_e32 v7, v6
	v_nop
	s_delay_alu instid0(TRANS32_DEP_1) | instskip(NEXT) | instid1(VALU_DEP_1)
	v_fma_f32 v8, -v6, v7, 1.0
	v_fmac_f32_e32 v7, v8, v7
	v_div_scale_f32 v17, vcc_lo, v14, v16, v14
	s_delay_alu instid0(VALU_DEP_1) | instskip(NEXT) | instid1(VALU_DEP_1)
	v_mul_f32_e32 v18, v17, v7
	v_fma_f32 v8, -v6, v18, v17
	s_delay_alu instid0(VALU_DEP_1) | instskip(SKIP_2) | instid1(VALU_DEP_2)
	v_fmac_f32_e32 v18, v8, v7
	v_pk_add_f32 v[8:9], v[4:5], v[2:3] neg_lo:[0,1] neg_hi:[0,1]
	v_pk_add_f32 v[4:5], v[2:3], v[4:5]
	v_dual_mov_b32 v5, v3 :: v_dual_mul_f32 v8, v9, v9
	s_delay_alu instid0(VALU_DEP_1) | instskip(SKIP_1) | instid1(VALU_DEP_2)
	v_dual_fma_f32 v6, -v6, v18, v17 :: v_dual_mul_f32 v8, v15, v8
	v_mov_b32_e32 v15, v16
	v_div_fmas_f32 v6, v6, v7, v18
	s_delay_alu instid0(VALU_DEP_1) | instskip(SKIP_1) | instid1(VALU_DEP_2)
	v_div_fixup_f32 v2, v6, v16, v14
	v_mov_b64_e32 v[6:7], -1
	v_pk_fma_f32 v[2:3], v[8:9], v[2:3], v[4:5] op_sel_hi:[1,0,1]
.LBB4_23:
	s_or_b32 exec_lo, exec_lo, s5
	s_delay_alu instid0(VALU_DEP_2) | instskip(NEXT) | instid1(VALU_DEP_2)
	v_mov_b64_e32 v[8:9], v[6:7]
	v_mov_b64_e32 v[4:5], v[2:3]
	v_mov_b32_e32 v14, v15
.LBB4_24:
	s_or_b32 exec_lo, exec_lo, s4
	v_and_b32_e32 v2, 31, v0
	s_mov_b32 s4, exec_lo
	s_wait_dscnt 0x0
	s_barrier_signal -1
	s_barrier_wait -1
	v_cmpx_eq_u32_e32 0, v2
	s_cbranch_execz .LBB4_26
; %bb.25:
	v_dual_mov_b32 v6, v5 :: v_dual_lshrrev_b32 v3, 5, v0
	v_mov_b32_e32 v7, v4
	s_delay_alu instid0(VALU_DEP_2)
	v_mul_u32_u24_e32 v3, 24, v3
	ds_store_2addr_b64 v3, v[6:7], v[8:9] offset1:1
	ds_store_b32 v3, v14 offset:16
.LBB4_26:
	s_or_b32 exec_lo, exec_lo, s4
	s_wait_dscnt 0x0
	s_barrier_signal -1
	s_barrier_wait -1
	s_load_b32 s4, s[0:1], 0x34
	v_mul_u32_u24_e32 v4, 24, v2
	v_dual_mov_b32 v2, 0 :: v_dual_mov_b32 v3, 0
	s_wait_kmcnt 0x0
	s_bfe_u32 s4, s4, 0xb0005
	s_delay_alu instid0(SALU_CYCLE_1)
	v_cmp_gt_u32_e32 vcc_lo, s4, v0
	s_and_saveexec_b32 s4, vcc_lo
	s_cbranch_execnz .LBB4_55
; %bb.27:
	s_or_b32 exec_lo, exec_lo, s4
	s_and_saveexec_b32 s4, vcc_lo
	s_cbranch_execnz .LBB4_56
.LBB4_28:
	s_or_b32 exec_lo, exec_lo, s4
	v_mov_b32_e32 v8, 0
	s_and_saveexec_b32 s4, vcc_lo
.LBB4_29:
	ds_load_b32 v8, v4 offset:16
.LBB4_30:
	s_or_b32 exec_lo, exec_lo, s4
	s_delay_alu instid0(SALU_CYCLE_1)
	s_mov_b32 s4, exec_lo
	v_cmpx_gt_u32_e32 32, v0
	s_cbranch_execz .LBB4_52
; %bb.31:
	s_wait_dscnt 0x0
	ds_bpermute_b32 v5, v10, v3
	ds_bpermute_b32 v4, v10, v2
	;; [unrolled: 1-line block ×3, first 2 shown]
	s_mov_b32 s5, exec_lo
	v_cmpx_neq_f32_e32 0, v8
	s_cbranch_execz .LBB4_35
; %bb.32:
	s_mov_b32 s10, exec_lo
	s_wait_dscnt 0x0
	v_cmpx_neq_f32_e32 0, v6
	s_cbranch_execz .LBB4_34
; %bb.33:
	v_add_f32_e32 v7, v8, v6
	s_delay_alu instid0(VALU_DEP_1) | instskip(SKIP_1) | instid1(VALU_DEP_2)
	v_div_scale_f32 v9, null, v7, v7, v6
	v_div_scale_f32 v15, vcc_lo, v6, v7, v6
	v_rcp_f32_e32 v10, v9
	v_nop
	s_delay_alu instid0(TRANS32_DEP_1) | instskip(NEXT) | instid1(VALU_DEP_1)
	v_fma_f32 v14, -v9, v10, 1.0
	v_fmac_f32_e32 v10, v14, v10
	s_delay_alu instid0(VALU_DEP_1) | instskip(NEXT) | instid1(VALU_DEP_1)
	v_mul_f32_e32 v16, v15, v10
	v_fma_f32 v14, -v9, v16, v15
	s_delay_alu instid0(VALU_DEP_1) | instskip(NEXT) | instid1(VALU_DEP_1)
	v_fmac_f32_e32 v16, v14, v10
	v_fma_f32 v9, -v9, v16, v15
	v_pk_add_f32 v[14:15], v[4:5], v[2:3] neg_lo:[0,1] neg_hi:[0,1]
	v_add_f32_e32 v2, v2, v4
	s_delay_alu instid0(VALU_DEP_3) | instskip(NEXT) | instid1(VALU_DEP_3)
	v_div_fmas_f32 v5, v9, v10, v16
	v_mul_f32_e32 v9, v15, v15
	s_delay_alu instid0(VALU_DEP_2) | instskip(NEXT) | instid1(VALU_DEP_2)
	v_div_fixup_f32 v14, v5, v7, v6
	v_dual_mul_f32 v4, v8, v9 :: v_dual_mov_b32 v8, v7
	s_delay_alu instid0(VALU_DEP_2) | instskip(NEXT) | instid1(VALU_DEP_1)
	v_mov_b32_e32 v5, v14
	v_pk_fma_f32 v[2:3], v[14:15], v[4:5], v[2:3]
.LBB4_34:
	s_or_b32 exec_lo, exec_lo, s10
	s_delay_alu instid0(VALU_DEP_1)
	v_mov_b64_e32 v[4:5], v[2:3]
	v_mov_b32_e32 v6, v8
.LBB4_35:
	s_or_b32 exec_lo, exec_lo, s5
	s_wait_dscnt 0x2
	ds_bpermute_b32 v3, v1, v5
	s_wait_dscnt 0x2
	ds_bpermute_b32 v2, v1, v4
	;; [unrolled: 2-line block ×3, first 2 shown]
	s_mov_b32 s5, exec_lo
	v_cmpx_neq_f32_e32 0, v6
	s_cbranch_execz .LBB4_39
; %bb.36:
	s_mov_b32 s10, exec_lo
	s_wait_dscnt 0x0
	v_cmpx_neq_f32_e32 0, v1
	s_cbranch_execz .LBB4_38
; %bb.37:
	v_add_f32_e32 v7, v6, v1
	s_delay_alu instid0(VALU_DEP_1) | instskip(NEXT) | instid1(VALU_DEP_1)
	v_div_scale_f32 v10, null, v7, v7, v1
	v_rcp_f32_e32 v14, v10
	v_nop
	s_delay_alu instid0(TRANS32_DEP_1) | instskip(NEXT) | instid1(VALU_DEP_1)
	v_fma_f32 v8, -v10, v14, 1.0
	v_fmac_f32_e32 v14, v8, v14
	v_div_scale_f32 v15, vcc_lo, v1, v7, v1
	s_delay_alu instid0(VALU_DEP_1) | instskip(NEXT) | instid1(VALU_DEP_1)
	v_mul_f32_e32 v16, v15, v14
	v_fma_f32 v8, -v10, v16, v15
	s_delay_alu instid0(VALU_DEP_1) | instskip(SKIP_2) | instid1(VALU_DEP_3)
	v_fmac_f32_e32 v16, v8, v14
	v_pk_add_f32 v[8:9], v[2:3], v[4:5] neg_lo:[0,1] neg_hi:[0,1]
	v_pk_add_f32 v[2:3], v[4:5], v[2:3]
	v_dual_mov_b32 v3, v5 :: v_dual_fma_f32 v8, -v10, v16, v15
	s_delay_alu instid0(VALU_DEP_3) | instskip(NEXT) | instid1(VALU_DEP_2)
	v_mul_f32_e32 v10, v9, v9
	v_div_fmas_f32 v14, v8, v14, v16
	s_delay_alu instid0(VALU_DEP_2) | instskip(NEXT) | instid1(VALU_DEP_2)
	v_dual_mul_f32 v8, v6, v10 :: v_dual_mov_b32 v6, v7
	v_div_fixup_f32 v4, v14, v7, v1
	s_delay_alu instid0(VALU_DEP_1)
	v_pk_fma_f32 v[4:5], v[8:9], v[4:5], v[2:3] op_sel_hi:[1,0,1]
.LBB4_38:
	s_or_b32 exec_lo, exec_lo, s10
	s_delay_alu instid0(VALU_DEP_1)
	v_mov_b64_e32 v[2:3], v[4:5]
	v_mov_b32_e32 v1, v6
.LBB4_39:
	s_or_b32 exec_lo, exec_lo, s5
	s_wait_dscnt 0x2
	ds_bpermute_b32 v5, v11, v3
	s_wait_dscnt 0x2
	ds_bpermute_b32 v4, v11, v2
	;; [unrolled: 2-line block ×3, first 2 shown]
	s_mov_b32 s5, exec_lo
	v_cmpx_neq_f32_e32 0, v1
	s_cbranch_execz .LBB4_43
; %bb.40:
	s_mov_b32 s10, exec_lo
	s_wait_dscnt 0x0
	v_cmpx_neq_f32_e32 0, v8
	s_cbranch_execz .LBB4_42
; %bb.41:
	v_add_f32_e32 v9, v1, v8
	s_delay_alu instid0(VALU_DEP_1) | instskip(NEXT) | instid1(VALU_DEP_1)
	v_div_scale_f32 v10, null, v9, v9, v8
	v_rcp_f32_e32 v11, v10
	v_nop
	s_delay_alu instid0(TRANS32_DEP_1) | instskip(NEXT) | instid1(VALU_DEP_1)
	v_fma_f32 v6, -v10, v11, 1.0
	v_fmac_f32_e32 v11, v6, v11
	v_div_scale_f32 v14, vcc_lo, v8, v9, v8
	s_delay_alu instid0(VALU_DEP_1) | instskip(NEXT) | instid1(VALU_DEP_1)
	v_mul_f32_e32 v15, v14, v11
	v_fma_f32 v6, -v10, v15, v14
	s_delay_alu instid0(VALU_DEP_1) | instskip(SKIP_2) | instid1(VALU_DEP_3)
	v_fmac_f32_e32 v15, v6, v11
	v_pk_add_f32 v[6:7], v[4:5], v[2:3] neg_lo:[0,1] neg_hi:[0,1]
	v_pk_add_f32 v[4:5], v[2:3], v[4:5]
	v_dual_mov_b32 v5, v3 :: v_dual_fma_f32 v6, -v10, v15, v14
	s_delay_alu instid0(VALU_DEP_3) | instskip(NEXT) | instid1(VALU_DEP_2)
	v_mul_f32_e32 v10, v7, v7
	v_div_fmas_f32 v11, v6, v11, v15
	s_delay_alu instid0(VALU_DEP_2) | instskip(SKIP_1) | instid1(VALU_DEP_3)
	v_mul_f32_e32 v6, v1, v10
	v_mov_b32_e32 v1, v9
	v_div_fixup_f32 v2, v11, v9, v8
	s_delay_alu instid0(VALU_DEP_1)
	v_pk_fma_f32 v[2:3], v[6:7], v[2:3], v[4:5] op_sel_hi:[1,0,1]
.LBB4_42:
	s_or_b32 exec_lo, exec_lo, s10
	s_delay_alu instid0(VALU_DEP_1)
	v_mov_b64_e32 v[4:5], v[2:3]
	v_mov_b32_e32 v8, v1
.LBB4_43:
	s_or_b32 exec_lo, exec_lo, s5
	s_wait_dscnt 0x2
	ds_bpermute_b32 v7, v12, v5
	s_wait_dscnt 0x2
	ds_bpermute_b32 v6, v12, v4
	;; [unrolled: 2-line block ×3, first 2 shown]
	s_mov_b32 s5, exec_lo
	v_cmpx_neq_f32_e32 0, v8
	s_cbranch_execz .LBB4_47
; %bb.44:
	s_mov_b32 s10, exec_lo
	s_wait_dscnt 0x0
	v_cmpx_neq_f32_e32 0, v1
	s_cbranch_execz .LBB4_46
; %bb.45:
	v_add_f32_e32 v9, v8, v1
	s_delay_alu instid0(VALU_DEP_1) | instskip(NEXT) | instid1(VALU_DEP_1)
	v_div_scale_f32 v10, null, v9, v9, v1
	v_rcp_f32_e32 v11, v10
	v_nop
	s_delay_alu instid0(TRANS32_DEP_1) | instskip(NEXT) | instid1(VALU_DEP_1)
	v_fma_f32 v2, -v10, v11, 1.0
	v_fmac_f32_e32 v11, v2, v11
	v_div_scale_f32 v12, vcc_lo, v1, v9, v1
	s_delay_alu instid0(VALU_DEP_1) | instskip(NEXT) | instid1(VALU_DEP_1)
	v_mul_f32_e32 v14, v12, v11
	v_fma_f32 v2, -v10, v14, v12
	s_delay_alu instid0(VALU_DEP_1) | instskip(SKIP_2) | instid1(VALU_DEP_3)
	v_fmac_f32_e32 v14, v2, v11
	v_pk_add_f32 v[2:3], v[6:7], v[4:5] neg_lo:[0,1] neg_hi:[0,1]
	v_pk_add_f32 v[6:7], v[4:5], v[6:7]
	v_dual_mov_b32 v7, v5 :: v_dual_fma_f32 v2, -v10, v14, v12
	s_delay_alu instid0(VALU_DEP_3) | instskip(NEXT) | instid1(VALU_DEP_2)
	v_mul_f32_e32 v10, v3, v3
	v_div_fmas_f32 v11, v2, v11, v14
	s_delay_alu instid0(VALU_DEP_2) | instskip(NEXT) | instid1(VALU_DEP_2)
	v_dual_mul_f32 v2, v8, v10 :: v_dual_mov_b32 v8, v9
	v_div_fixup_f32 v4, v11, v9, v1
	s_delay_alu instid0(VALU_DEP_1)
	v_pk_fma_f32 v[4:5], v[2:3], v[4:5], v[6:7] op_sel_hi:[1,0,1]
.LBB4_46:
	s_or_b32 exec_lo, exec_lo, s10
	s_delay_alu instid0(VALU_DEP_1)
	v_mov_b64_e32 v[6:7], v[4:5]
	v_mov_b32_e32 v1, v8
.LBB4_47:
	s_or_b32 exec_lo, exec_lo, s5
	s_wait_dscnt 0x2
	ds_bpermute_b32 v3, v13, v7
	s_wait_dscnt 0x2
	ds_bpermute_b32 v2, v13, v6
	;; [unrolled: 2-line block ×3, first 2 shown]
	s_mov_b32 s5, exec_lo
	v_cmpx_neq_f32_e32 0, v1
	s_cbranch_execz .LBB4_51
; %bb.48:
	s_mov_b32 s10, exec_lo
	s_wait_dscnt 0x0
	v_cmpx_neq_f32_e32 0, v8
	s_cbranch_execz .LBB4_50
; %bb.49:
	v_add_f32_e32 v9, v1, v8
	s_delay_alu instid0(VALU_DEP_1) | instskip(NEXT) | instid1(VALU_DEP_1)
	v_div_scale_f32 v10, null, v9, v9, v8
	v_rcp_f32_e32 v11, v10
	v_nop
	s_delay_alu instid0(TRANS32_DEP_1) | instskip(NEXT) | instid1(VALU_DEP_1)
	v_fma_f32 v4, -v10, v11, 1.0
	v_fmac_f32_e32 v11, v4, v11
	v_div_scale_f32 v12, vcc_lo, v8, v9, v8
	s_delay_alu instid0(VALU_DEP_1) | instskip(NEXT) | instid1(VALU_DEP_1)
	v_mul_f32_e32 v13, v12, v11
	v_fma_f32 v4, -v10, v13, v12
	s_delay_alu instid0(VALU_DEP_1) | instskip(SKIP_2) | instid1(VALU_DEP_3)
	v_fmac_f32_e32 v13, v4, v11
	v_pk_add_f32 v[4:5], v[2:3], v[6:7] neg_lo:[0,1] neg_hi:[0,1]
	v_pk_add_f32 v[2:3], v[6:7], v[2:3]
	v_dual_mov_b32 v3, v7 :: v_dual_fma_f32 v4, -v10, v13, v12
	s_delay_alu instid0(VALU_DEP_3) | instskip(NEXT) | instid1(VALU_DEP_2)
	v_mul_f32_e32 v10, v5, v5
	v_div_fmas_f32 v11, v4, v11, v13
	s_delay_alu instid0(VALU_DEP_2) | instskip(SKIP_1) | instid1(VALU_DEP_3)
	v_mul_f32_e32 v4, v1, v10
	v_mov_b32_e32 v1, v9
	v_div_fixup_f32 v6, v11, v9, v8
	s_delay_alu instid0(VALU_DEP_1)
	v_pk_fma_f32 v[6:7], v[4:5], v[6:7], v[2:3] op_sel_hi:[1,0,1]
.LBB4_50:
	s_or_b32 exec_lo, exec_lo, s10
	s_delay_alu instid0(VALU_DEP_1)
	v_mov_b64_e32 v[2:3], v[6:7]
	v_mov_b32_e32 v8, v1
.LBB4_51:
	s_or_b32 exec_lo, exec_lo, s5
.LBB4_52:
	s_delay_alu instid0(SALU_CYCLE_1) | instskip(NEXT) | instid1(SALU_CYCLE_1)
	s_or_b32 exec_lo, exec_lo, s4
	s_mov_b32 s4, exec_lo
	v_cmpx_eq_u32_e32 0, v0
	s_cbranch_execz .LBB4_54
; %bb.53:
	s_wait_dscnt 0x0
	v_max_num_f32_e32 v0, v8, v8
	s_load_b32 s0, s[0:1], 0x8
	s_delay_alu instid0(VALU_DEP_1) | instskip(NEXT) | instid1(VALU_DEP_1)
	v_max_num_f32_e32 v0, 0, v0
	v_div_scale_f32 v1, null, v0, v0, v2
	s_delay_alu instid0(VALU_DEP_1) | instskip(SKIP_1) | instid1(TRANS32_DEP_1)
	v_rcp_f32_e32 v4, v1
	v_nop
	v_fma_f32 v5, -v1, v4, 1.0
	s_delay_alu instid0(VALU_DEP_1) | instskip(SKIP_1) | instid1(VALU_DEP_1)
	v_fmac_f32_e32 v4, v5, v4
	v_div_scale_f32 v5, vcc_lo, v2, v0, v2
	v_mul_f32_e32 v6, v5, v4
	s_delay_alu instid0(VALU_DEP_1) | instskip(NEXT) | instid1(VALU_DEP_1)
	v_fma_f32 v7, -v1, v6, v5
	v_fmac_f32_e32 v6, v7, v4
	s_delay_alu instid0(VALU_DEP_1) | instskip(NEXT) | instid1(VALU_DEP_1)
	v_fma_f32 v1, -v1, v6, v5
	v_div_fmas_f32 v1, v1, v4, v6
	s_delay_alu instid0(VALU_DEP_1) | instskip(SKIP_1) | instid1(VALU_DEP_1)
	v_div_fixup_f32 v0, v1, v0, v2
	s_wait_kmcnt 0x0
	v_dual_mov_b32 v2, 0 :: v_dual_add_f32 v0, s0, v0
	s_lshl_b64 s[0:1], s[8:9], 2
	s_delay_alu instid0(SALU_CYCLE_1) | instskip(SKIP_1) | instid1(VALU_DEP_1)
	s_add_nc_u64 s[4:5], s[6:7], s[0:1]
	s_add_nc_u64 s[0:1], s[2:3], s[0:1]
	v_mul_f32_e32 v1, 0x4b800000, v0
	v_cmp_gt_f32_e32 vcc_lo, 0x800000, v0
	s_delay_alu instid0(VALU_DEP_2) | instskip(NEXT) | instid1(VALU_DEP_1)
	v_cndmask_b32_e32 v0, v0, v1, vcc_lo
	v_rsq_f32_e32 v0, v0
	v_nop
	s_delay_alu instid0(TRANS32_DEP_1) | instskip(NEXT) | instid1(VALU_DEP_1)
	v_mul_f32_e32 v1, 0x45800000, v0
	v_cndmask_b32_e32 v0, v0, v1, vcc_lo
	s_clause 0x1
	global_store_b32 v2, v3, s[4:5]
	global_store_b32 v2, v0, s[0:1]
.LBB4_54:
	s_endpgm
.LBB4_55:
	ds_load_b32 v3, v4
	s_or_b32 exec_lo, exec_lo, s4
	s_and_saveexec_b32 s4, vcc_lo
	s_cbranch_execz .LBB4_28
.LBB4_56:
	ds_load_b32 v2, v4 offset:4
	s_or_b32 exec_lo, exec_lo, s4
	v_mov_b32_e32 v8, 0
	s_and_saveexec_b32 s4, vcc_lo
	s_cbranch_execnz .LBB4_29
	s_branch .LBB4_30
	.section	.rodata,"a",@progbits
	.p2align	6, 0x0
	.amdhsa_kernel _ZN2at6native12_GLOBAL__N_124RowwiseMomentsCUDAKernelIffLb0EEEvlT0_PKT_PS3_S7_
		.amdhsa_group_segment_fixed_size 768
		.amdhsa_private_segment_fixed_size 0
		.amdhsa_kernarg_size 296
		.amdhsa_user_sgpr_count 2
		.amdhsa_user_sgpr_dispatch_ptr 0
		.amdhsa_user_sgpr_queue_ptr 0
		.amdhsa_user_sgpr_kernarg_segment_ptr 1
		.amdhsa_user_sgpr_dispatch_id 0
		.amdhsa_user_sgpr_kernarg_preload_length 0
		.amdhsa_user_sgpr_kernarg_preload_offset 0
		.amdhsa_user_sgpr_private_segment_size 0
		.amdhsa_wavefront_size32 1
		.amdhsa_uses_dynamic_stack 0
		.amdhsa_enable_private_segment 0
		.amdhsa_system_sgpr_workgroup_id_x 1
		.amdhsa_system_sgpr_workgroup_id_y 0
		.amdhsa_system_sgpr_workgroup_id_z 0
		.amdhsa_system_sgpr_workgroup_info 0
		.amdhsa_system_vgpr_workitem_id 0
		.amdhsa_next_free_vgpr 19
		.amdhsa_next_free_sgpr 21
		.amdhsa_named_barrier_count 0
		.amdhsa_reserve_vcc 1
		.amdhsa_float_round_mode_32 0
		.amdhsa_float_round_mode_16_64 0
		.amdhsa_float_denorm_mode_32 3
		.amdhsa_float_denorm_mode_16_64 3
		.amdhsa_fp16_overflow 0
		.amdhsa_memory_ordered 1
		.amdhsa_forward_progress 1
		.amdhsa_inst_pref_size 28
		.amdhsa_round_robin_scheduling 0
		.amdhsa_exception_fp_ieee_invalid_op 0
		.amdhsa_exception_fp_denorm_src 0
		.amdhsa_exception_fp_ieee_div_zero 0
		.amdhsa_exception_fp_ieee_overflow 0
		.amdhsa_exception_fp_ieee_underflow 0
		.amdhsa_exception_fp_ieee_inexact 0
		.amdhsa_exception_int_div_zero 0
	.end_amdhsa_kernel
	.section	.text._ZN2at6native12_GLOBAL__N_124RowwiseMomentsCUDAKernelIffLb0EEEvlT0_PKT_PS3_S7_,"axG",@progbits,_ZN2at6native12_GLOBAL__N_124RowwiseMomentsCUDAKernelIffLb0EEEvlT0_PKT_PS3_S7_,comdat
.Lfunc_end4:
	.size	_ZN2at6native12_GLOBAL__N_124RowwiseMomentsCUDAKernelIffLb0EEEvlT0_PKT_PS3_S7_, .Lfunc_end4-_ZN2at6native12_GLOBAL__N_124RowwiseMomentsCUDAKernelIffLb0EEEvlT0_PKT_PS3_S7_
                                        ; -- End function
	.set _ZN2at6native12_GLOBAL__N_124RowwiseMomentsCUDAKernelIffLb0EEEvlT0_PKT_PS3_S7_.num_vgpr, 19
	.set _ZN2at6native12_GLOBAL__N_124RowwiseMomentsCUDAKernelIffLb0EEEvlT0_PKT_PS3_S7_.num_agpr, 0
	.set _ZN2at6native12_GLOBAL__N_124RowwiseMomentsCUDAKernelIffLb0EEEvlT0_PKT_PS3_S7_.numbered_sgpr, 21
	.set _ZN2at6native12_GLOBAL__N_124RowwiseMomentsCUDAKernelIffLb0EEEvlT0_PKT_PS3_S7_.num_named_barrier, 0
	.set _ZN2at6native12_GLOBAL__N_124RowwiseMomentsCUDAKernelIffLb0EEEvlT0_PKT_PS3_S7_.private_seg_size, 0
	.set _ZN2at6native12_GLOBAL__N_124RowwiseMomentsCUDAKernelIffLb0EEEvlT0_PKT_PS3_S7_.uses_vcc, 1
	.set _ZN2at6native12_GLOBAL__N_124RowwiseMomentsCUDAKernelIffLb0EEEvlT0_PKT_PS3_S7_.uses_flat_scratch, 0
	.set _ZN2at6native12_GLOBAL__N_124RowwiseMomentsCUDAKernelIffLb0EEEvlT0_PKT_PS3_S7_.has_dyn_sized_stack, 0
	.set _ZN2at6native12_GLOBAL__N_124RowwiseMomentsCUDAKernelIffLb0EEEvlT0_PKT_PS3_S7_.has_recursion, 0
	.set _ZN2at6native12_GLOBAL__N_124RowwiseMomentsCUDAKernelIffLb0EEEvlT0_PKT_PS3_S7_.has_indirect_call, 0
	.section	.AMDGPU.csdata,"",@progbits
; Kernel info:
; codeLenInByte = 3464
; TotalNumSgprs: 23
; NumVgprs: 19
; ScratchSize: 0
; MemoryBound: 0
; FloatMode: 240
; IeeeMode: 1
; LDSByteSize: 768 bytes/workgroup (compile time only)
; SGPRBlocks: 0
; VGPRBlocks: 1
; NumSGPRsForWavesPerEU: 23
; NumVGPRsForWavesPerEU: 19
; NamedBarCnt: 0
; Occupancy: 16
; WaveLimiterHint : 0
; COMPUTE_PGM_RSRC2:SCRATCH_EN: 0
; COMPUTE_PGM_RSRC2:USER_SGPR: 2
; COMPUTE_PGM_RSRC2:TRAP_HANDLER: 0
; COMPUTE_PGM_RSRC2:TGID_X_EN: 1
; COMPUTE_PGM_RSRC2:TGID_Y_EN: 0
; COMPUTE_PGM_RSRC2:TGID_Z_EN: 0
; COMPUTE_PGM_RSRC2:TIDIG_COMP_CNT: 0
	.section	.text._ZN2at6native12_GLOBAL__N_126LayerNormForwardCUDAKernelIffLb0EEEvlPKT_PKT0_S8_S5_S5_PS3_,"axG",@progbits,_ZN2at6native12_GLOBAL__N_126LayerNormForwardCUDAKernelIffLb0EEEvlPKT_PKT0_S8_S5_S5_PS3_,comdat
	.globl	_ZN2at6native12_GLOBAL__N_126LayerNormForwardCUDAKernelIffLb0EEEvlPKT_PKT0_S8_S5_S5_PS3_ ; -- Begin function _ZN2at6native12_GLOBAL__N_126LayerNormForwardCUDAKernelIffLb0EEEvlPKT_PKT0_S8_S5_S5_PS3_
	.p2align	8
	.type	_ZN2at6native12_GLOBAL__N_126LayerNormForwardCUDAKernelIffLb0EEEvlPKT_PKT0_S8_S5_S5_PS3_,@function
_ZN2at6native12_GLOBAL__N_126LayerNormForwardCUDAKernelIffLb0EEEvlPKT_PKT0_S8_S5_S5_PS3_: ; @_ZN2at6native12_GLOBAL__N_126LayerNormForwardCUDAKernelIffLb0EEEvlPKT_PKT0_S8_S5_S5_PS3_
; %bb.0:
	s_load_b256 s[4:11], s[0:1], 0x0
	v_mov_b32_e32 v1, 0
	s_mov_b32 s2, exec_lo
	s_wait_kmcnt 0x0
	s_delay_alu instid0(VALU_DEP_1)
	v_cmpx_gt_i64_e64 s[4:5], v[0:1]
	s_cbranch_execz .LBB5_8
; %bb.1:
	s_clause 0x1
	s_load_b256 s[12:19], s[0:1], 0x20
	s_load_b32 s2, s[0:1], 0x44
	s_bfe_u32 s3, ttmp6, 0x4000c
	s_wait_xcnt 0x0
	s_and_b32 s0, ttmp6, 15
	s_add_co_i32 s3, s3, 1
	s_wait_kmcnt 0x0
	s_getreg_b32 s18, hwreg(HW_REG_IB_STS2, 6, 4)
	s_mul_i32 s3, ttmp9, s3
	s_mov_b32 s1, 0
	s_add_co_i32 s0, s0, s3
	s_cmp_eq_u32 s18, 0
	v_mov_b64_e32 v[4:5], v[0:1]
	s_cselect_b32 s0, ttmp9, s0
	v_dual_mov_b32 v3, v1 :: v_dual_lshlrev_b32 v2, 2, v0
	s_mul_u64 s[20:21], s[4:5], s[0:1]
	s_mov_b32 s3, s1
	s_cmp_lg_u64 s[12:13], 0
	s_cselect_b32 s18, -1, 0
	s_cmp_lg_u64 s[14:15], 0
	s_cselect_b32 s19, -1, 0
	s_lshl_b64 s[22:23], s[0:1], 2
	s_and_b32 s2, s2, 0xffff
	s_lshl_b64 s[20:21], s[20:21], 2
	s_add_nc_u64 s[8:9], s[8:9], s[22:23]
	s_add_nc_u64 s[10:11], s[10:11], s[22:23]
	;; [unrolled: 1-line block ×3, first 2 shown]
	s_lshl_b32 s0, s2, 2
	s_add_nc_u64 s[16:17], s[16:17], s[20:21]
	s_mov_b32 s20, s1
	s_branch .LBB5_4
.LBB5_2:                                ;   in Loop: Header=BB5_4 Depth=1
	s_wait_xcnt 0x0
	v_add_nc_u64_e32 v[6:7], s[14:15], v[2:3]
	global_load_b32 v6, v[6:7], off
.LBB5_3:                                ;   in Loop: Header=BB5_4 Depth=1
	v_add_nc_u64_e32 v[8:9], s[6:7], v[2:3]
	v_add_nc_u64_e32 v[4:5], s[2:3], v[4:5]
	global_load_b32 v7, v[8:9], off
	s_clause 0x1
	global_load_b32 v10, v1, s[8:9]
	global_load_b32 v11, v1, s[10:11]
	v_cmp_le_i64_e32 vcc_lo, s[4:5], v[4:5]
	s_wait_xcnt 0x2
	v_add_nc_u64_e32 v[8:9], s[16:17], v[2:3]
	v_add_nc_u64_e32 v[2:3], s[0:1], v[2:3]
	s_or_b32 s20, vcc_lo, s20
	s_wait_loadcnt 0x1
	v_sub_f32_e32 v7, v7, v10
	s_wait_loadcnt 0x0
	s_delay_alu instid0(VALU_DEP_1) | instskip(NEXT) | instid1(VALU_DEP_1)
	v_mul_f32_e32 v7, v7, v11
	v_fmac_f32_e32 v6, v0, v7
	global_store_b32 v[8:9], v6, off
	s_wait_xcnt 0x0
	s_and_not1_b32 exec_lo, exec_lo, s20
	s_cbranch_execz .LBB5_8
.LBB5_4:                                ; =>This Inner Loop Header: Depth=1
	s_and_not1_b32 vcc_lo, exec_lo, s18
	s_cbranch_vccnz .LBB5_6
; %bb.5:                                ;   in Loop: Header=BB5_4 Depth=1
	v_add_nc_u64_e32 v[6:7], s[12:13], v[2:3]
	global_load_b32 v0, v[6:7], off
	s_and_not1_b32 vcc_lo, exec_lo, s19
	s_cbranch_vccz .LBB5_2
	s_branch .LBB5_7
.LBB5_6:                                ;   in Loop: Header=BB5_4 Depth=1
	v_mov_b32_e32 v0, 1.0
	s_and_not1_b32 vcc_lo, exec_lo, s19
	s_cbranch_vccz .LBB5_2
.LBB5_7:                                ;   in Loop: Header=BB5_4 Depth=1
	s_wait_xcnt 0x0
	v_mov_b32_e32 v6, 0
	s_branch .LBB5_3
.LBB5_8:
	s_endpgm
	.section	.rodata,"a",@progbits
	.p2align	6, 0x0
	.amdhsa_kernel _ZN2at6native12_GLOBAL__N_126LayerNormForwardCUDAKernelIffLb0EEEvlPKT_PKT0_S8_S5_S5_PS3_
		.amdhsa_group_segment_fixed_size 0
		.amdhsa_private_segment_fixed_size 0
		.amdhsa_kernarg_size 312
		.amdhsa_user_sgpr_count 2
		.amdhsa_user_sgpr_dispatch_ptr 0
		.amdhsa_user_sgpr_queue_ptr 0
		.amdhsa_user_sgpr_kernarg_segment_ptr 1
		.amdhsa_user_sgpr_dispatch_id 0
		.amdhsa_user_sgpr_kernarg_preload_length 0
		.amdhsa_user_sgpr_kernarg_preload_offset 0
		.amdhsa_user_sgpr_private_segment_size 0
		.amdhsa_wavefront_size32 1
		.amdhsa_uses_dynamic_stack 0
		.amdhsa_enable_private_segment 0
		.amdhsa_system_sgpr_workgroup_id_x 1
		.amdhsa_system_sgpr_workgroup_id_y 0
		.amdhsa_system_sgpr_workgroup_id_z 0
		.amdhsa_system_sgpr_workgroup_info 0
		.amdhsa_system_vgpr_workitem_id 0
		.amdhsa_next_free_vgpr 12
		.amdhsa_next_free_sgpr 24
		.amdhsa_named_barrier_count 0
		.amdhsa_reserve_vcc 1
		.amdhsa_float_round_mode_32 0
		.amdhsa_float_round_mode_16_64 0
		.amdhsa_float_denorm_mode_32 3
		.amdhsa_float_denorm_mode_16_64 3
		.amdhsa_fp16_overflow 0
		.amdhsa_memory_ordered 1
		.amdhsa_forward_progress 1
		.amdhsa_inst_pref_size 3
		.amdhsa_round_robin_scheduling 0
		.amdhsa_exception_fp_ieee_invalid_op 0
		.amdhsa_exception_fp_denorm_src 0
		.amdhsa_exception_fp_ieee_div_zero 0
		.amdhsa_exception_fp_ieee_overflow 0
		.amdhsa_exception_fp_ieee_underflow 0
		.amdhsa_exception_fp_ieee_inexact 0
		.amdhsa_exception_int_div_zero 0
	.end_amdhsa_kernel
	.section	.text._ZN2at6native12_GLOBAL__N_126LayerNormForwardCUDAKernelIffLb0EEEvlPKT_PKT0_S8_S5_S5_PS3_,"axG",@progbits,_ZN2at6native12_GLOBAL__N_126LayerNormForwardCUDAKernelIffLb0EEEvlPKT_PKT0_S8_S5_S5_PS3_,comdat
.Lfunc_end5:
	.size	_ZN2at6native12_GLOBAL__N_126LayerNormForwardCUDAKernelIffLb0EEEvlPKT_PKT0_S8_S5_S5_PS3_, .Lfunc_end5-_ZN2at6native12_GLOBAL__N_126LayerNormForwardCUDAKernelIffLb0EEEvlPKT_PKT0_S8_S5_S5_PS3_
                                        ; -- End function
	.set _ZN2at6native12_GLOBAL__N_126LayerNormForwardCUDAKernelIffLb0EEEvlPKT_PKT0_S8_S5_S5_PS3_.num_vgpr, 12
	.set _ZN2at6native12_GLOBAL__N_126LayerNormForwardCUDAKernelIffLb0EEEvlPKT_PKT0_S8_S5_S5_PS3_.num_agpr, 0
	.set _ZN2at6native12_GLOBAL__N_126LayerNormForwardCUDAKernelIffLb0EEEvlPKT_PKT0_S8_S5_S5_PS3_.numbered_sgpr, 24
	.set _ZN2at6native12_GLOBAL__N_126LayerNormForwardCUDAKernelIffLb0EEEvlPKT_PKT0_S8_S5_S5_PS3_.num_named_barrier, 0
	.set _ZN2at6native12_GLOBAL__N_126LayerNormForwardCUDAKernelIffLb0EEEvlPKT_PKT0_S8_S5_S5_PS3_.private_seg_size, 0
	.set _ZN2at6native12_GLOBAL__N_126LayerNormForwardCUDAKernelIffLb0EEEvlPKT_PKT0_S8_S5_S5_PS3_.uses_vcc, 1
	.set _ZN2at6native12_GLOBAL__N_126LayerNormForwardCUDAKernelIffLb0EEEvlPKT_PKT0_S8_S5_S5_PS3_.uses_flat_scratch, 0
	.set _ZN2at6native12_GLOBAL__N_126LayerNormForwardCUDAKernelIffLb0EEEvlPKT_PKT0_S8_S5_S5_PS3_.has_dyn_sized_stack, 0
	.set _ZN2at6native12_GLOBAL__N_126LayerNormForwardCUDAKernelIffLb0EEEvlPKT_PKT0_S8_S5_S5_PS3_.has_recursion, 0
	.set _ZN2at6native12_GLOBAL__N_126LayerNormForwardCUDAKernelIffLb0EEEvlPKT_PKT0_S8_S5_S5_PS3_.has_indirect_call, 0
	.section	.AMDGPU.csdata,"",@progbits
; Kernel info:
; codeLenInByte = 384
; TotalNumSgprs: 26
; NumVgprs: 12
; ScratchSize: 0
; MemoryBound: 0
; FloatMode: 240
; IeeeMode: 1
; LDSByteSize: 0 bytes/workgroup (compile time only)
; SGPRBlocks: 0
; VGPRBlocks: 0
; NumSGPRsForWavesPerEU: 26
; NumVGPRsForWavesPerEU: 12
; NamedBarCnt: 0
; Occupancy: 16
; WaveLimiterHint : 0
; COMPUTE_PGM_RSRC2:SCRATCH_EN: 0
; COMPUTE_PGM_RSRC2:USER_SGPR: 2
; COMPUTE_PGM_RSRC2:TRAP_HANDLER: 0
; COMPUTE_PGM_RSRC2:TGID_X_EN: 1
; COMPUTE_PGM_RSRC2:TGID_Y_EN: 0
; COMPUTE_PGM_RSRC2:TGID_Z_EN: 0
; COMPUTE_PGM_RSRC2:TIDIG_COMP_CNT: 0
	.section	.text._ZN2at6native12_GLOBAL__N_128vectorized_layer_norm_kernelIN3c104HalfEfLb0EEEviT0_PKT_S8_S8_PS5_S9_PS6_,"axG",@progbits,_ZN2at6native12_GLOBAL__N_128vectorized_layer_norm_kernelIN3c104HalfEfLb0EEEviT0_PKT_S8_S8_PS5_S9_PS6_,comdat
	.globl	_ZN2at6native12_GLOBAL__N_128vectorized_layer_norm_kernelIN3c104HalfEfLb0EEEviT0_PKT_S8_S8_PS5_S9_PS6_ ; -- Begin function _ZN2at6native12_GLOBAL__N_128vectorized_layer_norm_kernelIN3c104HalfEfLb0EEEviT0_PKT_S8_S8_PS5_S9_PS6_
	.p2align	8
	.type	_ZN2at6native12_GLOBAL__N_128vectorized_layer_norm_kernelIN3c104HalfEfLb0EEEviT0_PKT_S8_S8_PS5_S9_PS6_,@function
_ZN2at6native12_GLOBAL__N_128vectorized_layer_norm_kernelIN3c104HalfEfLb0EEEviT0_PKT_S8_S8_PS5_S9_PS6_: ; @_ZN2at6native12_GLOBAL__N_128vectorized_layer_norm_kernelIN3c104HalfEfLb0EEEviT0_PKT_S8_S8_PS5_S9_PS6_
; %bb.0:
	s_clause 0x1
	s_load_b32 s3, s[0:1], 0x44
	s_load_b128 s[12:15], s[0:1], 0x0
	s_bfe_u32 s4, ttmp6, 0x4000c
	s_and_b32 s2, ttmp6, 15
	s_add_co_i32 s4, s4, 1
	s_getreg_b32 s5, hwreg(HW_REG_IB_STS2, 6, 4)
	s_mul_i32 s4, ttmp9, s4
	v_bfe_u32 v13, v0, 10, 10
	s_add_co_i32 s2, s2, s4
	s_cmp_eq_u32 s5, 0
	v_and_b32_e32 v14, 0x3ff, v0
	s_cselect_b32 s16, ttmp9, s2
	v_dual_mov_b32 v7, 0 :: v_dual_mov_b32 v9, 0
	s_mov_b32 s17, 0
	s_wait_kmcnt 0x0
	s_and_b32 s6, s3, 0xffff
	s_ashr_i32 s5, s12, 31
	v_mul_u32_u24_e32 v0, s6, v13
	s_lshr_b32 s2, s5, 30
	v_mad_u32_u24 v16, v13, s6, v14
	s_add_co_i32 s2, s12, s2
	s_mov_b32 s4, s12
	s_ashr_i32 s22, s2, 2
	v_add_lshl_u32 v8, v0, v14, 3
	v_cmp_gt_i32_e64 s2, s22, v16
	v_mov_b32_e32 v0, 0
	s_lshr_b32 s8, s3, 16
	s_mul_u64 s[20:21], s[4:5], s[16:17]
	s_mul_i32 s18, s8, s6
	s_and_saveexec_b32 s9, s2
	s_cbranch_execz .LBB6_4
; %bb.1:
	v_mov_b32_e32 v9, 0
	s_lshl_b64 s[4:5], s[20:21], 1
	s_ashr_i32 s19, s18, 31
	s_add_nc_u64 s[4:5], s[14:15], s[4:5]
	s_lshl_b64 s[6:7], s[18:19], 3
	v_add_nc_u64_e32 v[0:1], s[4:5], v[8:9]
	s_mov_b32 s10, 0
	s_mov_b32 s11, s17
	s_delay_alu instid0(VALU_DEP_1)
	v_add_nc_u64_e32 v[2:3], 4, v[0:1]
	v_dual_mov_b32 v1, v16 :: v_dual_mov_b32 v0, v9
.LBB6_2:                                ; =>This Inner Loop Header: Depth=1
	global_load_b64 v[4:5], v[2:3], off offset:-4
	s_add_f32 s19, s11, 1.0
	s_wait_xcnt 0x0
	v_add_nc_u64_e32 v[2:3], s[6:7], v[2:3]
	s_delay_alu instid0(SALU_CYCLE_1) | instskip(SKIP_2) | instid1(SALU_CYCLE_1)
	s_add_f32 s23, s19, 1.0
	v_div_scale_f32 v6, null, s19, s19, 1.0
	v_div_scale_f32 v7, vcc_lo, 1.0, s19, 1.0
	s_add_f32 s24, s23, 1.0
	v_div_scale_f32 v10, null, s23, s23, 1.0
	v_xor_b32_e32 v12, 0x80000000, v6
	v_rcp_f32_e32 v6, v6
	s_add_f32 s11, s24, 1.0
	v_div_scale_f32 v15, null, s24, s24, 1.0
	v_xor_b32_e32 v18, 0x80000000, v10
	v_rcp_f32_e32 v10, v10
	v_div_scale_f32 v20, null, s11, s11, 1.0
	s_delay_alu instid0(TRANS32_DEP_2)
	v_fma_f32 v19, v12, v6, 1.0
	v_rcp_f32_e32 v22, v15
	v_nop
	v_xor_b32_e32 v15, 0x80000000, v15
	v_rcp_f32_e32 v24, v20
	v_fma_f32 v23, v18, v10, 1.0
	v_fmac_f32_e32 v6, v19, v6
	v_xor_b32_e32 v19, 0x80000000, v20
	v_div_scale_f32 v11, s3, 1.0, s23, 1.0
	v_fma_f32 v20, v15, v22, 1.0
	v_div_scale_f32 v21, s5, 1.0, s11, 1.0
	s_delay_alu instid0(VALU_DEP_4) | instskip(SKIP_2) | instid1(VALU_DEP_3)
	v_fma_f32 v25, v19, v24, 1.0
	v_fmac_f32_e32 v10, v23, v10
	v_div_scale_f32 v17, s4, 1.0, s24, 1.0
	v_dual_fmac_f32 v24, v25, v24 :: v_dual_fmac_f32 v22, v20, v22
	s_delay_alu instid0(VALU_DEP_3) | instskip(NEXT) | instid1(VALU_DEP_1)
	v_mul_f32_e32 v20, v11, v10
	v_dual_mul_f32 v23, v7, v6 :: v_dual_fma_f32 v27, v18, v20, v11
	s_delay_alu instid0(VALU_DEP_1) | instskip(NEXT) | instid1(VALU_DEP_1)
	v_fma_f32 v26, v12, v23, v7
	v_dual_fmac_f32 v23, v26, v6 :: v_dual_mul_f32 v26, v21, v24
	s_delay_alu instid0(VALU_DEP_1) | instskip(NEXT) | instid1(VALU_DEP_1)
	v_dual_fmac_f32 v7, v12, v23 :: v_dual_fmac_f32 v20, v27, v10
	v_dual_mul_f32 v25, v17, v22 :: v_dual_fmac_f32 v11, v18, v20
	s_delay_alu instid0(VALU_DEP_1) | instskip(NEXT) | instid1(VALU_DEP_3)
	v_fma_f32 v28, v15, v25, v17
	v_div_fmas_f32 v7, v7, v6, v23
	s_mov_b32 vcc_lo, s3
	s_delay_alu instid0(VALU_DEP_1)
	v_div_fixup_f32 v18, v7, s19, 1.0
	s_wait_loadcnt 0x0
	v_cvt_f32_f16_e32 v6, v4
	v_dual_fma_f32 v12, v19, v26, v21 :: v_dual_lshrrev_b32 v7, 16, v4
	v_div_fmas_f32 v10, v11, v10, v20
	s_mov_b32 vcc_lo, s4
	s_delay_alu instid0(VALU_DEP_3) | instskip(NEXT) | instid1(VALU_DEP_3)
	v_dual_sub_f32 v4, v6, v0 :: v_dual_fmac_f32 v25, v28, v22
	v_cvt_f32_f16_e32 v7, v7
	s_delay_alu instid0(VALU_DEP_2) | instskip(NEXT) | instid1(VALU_DEP_3)
	v_fmac_f32_e32 v0, v18, v4
	v_dual_fmac_f32 v26, v12, v24 :: v_dual_fmac_f32 v17, v15, v25
	v_div_fixup_f32 v12, v10, s23, 1.0
	v_cvt_f32_f16_e32 v18, v5
	s_delay_alu instid0(VALU_DEP_4) | instskip(NEXT) | instid1(VALU_DEP_4)
	v_pk_add_f32 v[10:11], v[6:7], v[0:1] op_sel_hi:[1,0] neg_lo:[0,1] neg_hi:[0,1]
	v_fmac_f32_e32 v21, v19, v26
	v_div_fmas_f32 v6, v17, v22, v25
	s_mov_b32 vcc_lo, s5
	s_delay_alu instid0(VALU_DEP_3) | instskip(SKIP_1) | instid1(VALU_DEP_3)
	v_dual_fmac_f32 v0, v12, v11 :: v_dual_add_nc_u32 v1, s18, v1
	v_lshrrev_b32_e32 v5, 16, v5
	v_div_fixup_f32 v12, v6, s24, 1.0
	v_div_fmas_f32 v15, v21, v24, v26
	s_delay_alu instid0(VALU_DEP_4) | instskip(SKIP_4) | instid1(VALU_DEP_3)
	v_cmp_le_i32_e32 vcc_lo, s22, v1
	v_dual_sub_f32 v20, v18, v0 :: v_dual_mov_b32 v6, v0
	v_cvt_f32_f16_e32 v19, v5
	v_sub_f32_e32 v5, v7, v0
	s_or_b32 s10, vcc_lo, s10
	v_fmac_f32_e32 v6, v12, v20
	v_div_fixup_f32 v12, v15, s11, 1.0
	s_delay_alu instid0(VALU_DEP_3) | instskip(NEXT) | instid1(VALU_DEP_1)
	v_pk_mul_f32 v[4:5], v[10:11], v[4:5]
	v_dual_sub_f32 v21, v19, v6 :: v_dual_add_f32 v4, v9, v4
	s_delay_alu instid0(VALU_DEP_1) | instskip(NEXT) | instid1(VALU_DEP_2)
	v_fma_f32 v0, v12, v21, v6
	v_add_f32_e32 v9, v4, v5
	s_delay_alu instid0(VALU_DEP_2) | instskip(NEXT) | instid1(VALU_DEP_1)
	v_mov_b32_e32 v7, v0
	v_pk_add_f32 v[6:7], v[18:19], v[6:7] neg_lo:[0,1] neg_hi:[0,1]
	s_delay_alu instid0(VALU_DEP_1) | instskip(NEXT) | instid1(VALU_DEP_1)
	v_pk_mul_f32 v[4:5], v[20:21], v[6:7]
	v_dual_mov_b32 v7, s11 :: v_dual_add_f32 v4, v9, v4
	s_delay_alu instid0(VALU_DEP_1)
	v_add_f32_e32 v9, v4, v5
	s_and_not1_b32 exec_lo, exec_lo, s10
	s_cbranch_execnz .LBB6_2
; %bb.3:
	s_or_b32 exec_lo, exec_lo, s10
.LBB6_4:
	s_delay_alu instid0(SALU_CYCLE_1) | instskip(SKIP_3) | instid1(VALU_DEP_2)
	s_or_b32 exec_lo, exec_lo, s9
	v_mbcnt_lo_u32_b32 v15, -1, 0
	s_mov_b32 s3, exec_lo
	v_dual_mov_b32 v2, 0 :: v_dual_mov_b32 v4, 0
	v_dual_mov_b32 v5, 0 :: v_dual_lshlrev_b32 v1, 2, v15
	s_delay_alu instid0(VALU_DEP_1)
	v_or_b32_e32 v1, 64, v1
	ds_bpermute_b32 v10, v1, v7
	ds_bpermute_b32 v6, v1, v0
	;; [unrolled: 1-line block ×3, first 2 shown]
	s_wait_dscnt 0x2
	v_add_f32_e32 v1, v7, v10
	s_delay_alu instid0(VALU_DEP_1)
	v_cmpx_lt_f32_e32 0, v1
	s_cbranch_execz .LBB6_6
; %bb.5:
	v_div_scale_f32 v4, null, v1, v1, 1.0
	v_div_scale_f32 v12, vcc_lo, 1.0, v1, 1.0
	s_wait_dscnt 0x0
	v_add_f32_e32 v19, v9, v3
	s_delay_alu instid0(VALU_DEP_3) | instskip(SKIP_1) | instid1(TRANS32_DEP_1)
	v_rcp_f32_e32 v5, v4
	v_nop
	v_fma_f32 v11, -v4, v5, 1.0
	s_delay_alu instid0(VALU_DEP_1) | instskip(NEXT) | instid1(VALU_DEP_1)
	v_fmac_f32_e32 v5, v11, v5
	v_mul_f32_e32 v11, v12, v5
	s_delay_alu instid0(VALU_DEP_1) | instskip(NEXT) | instid1(VALU_DEP_1)
	v_fma_f32 v17, -v4, v11, v12
	v_fmac_f32_e32 v11, v17, v5
	s_delay_alu instid0(VALU_DEP_1) | instskip(NEXT) | instid1(VALU_DEP_1)
	v_fma_f32 v4, -v4, v11, v12
	v_div_fmas_f32 v4, v4, v5, v11
	v_sub_f32_e32 v5, v0, v6
	s_delay_alu instid0(VALU_DEP_2) | instskip(NEXT) | instid1(VALU_DEP_1)
	v_div_fixup_f32 v4, v4, v1, 1.0
	v_dual_mul_f32 v5, v5, v5 :: v_dual_mul_f32 v7, v7, v4
	s_delay_alu instid0(VALU_DEP_1) | instskip(NEXT) | instid1(VALU_DEP_2)
	v_pk_mul_f32 v[4:5], v[4:5], v[10:11] op_sel_hi:[1,0]
	v_mul_f32_e32 v18, v0, v7
	s_delay_alu instid0(VALU_DEP_1)
	v_pk_fma_f32 v[4:5], v[4:5], v[6:7], v[18:19]
.LBB6_6:
	s_or_b32 exec_lo, exec_lo, s3
	v_cmp_gt_u32_e32 vcc_lo, 24, v15
	s_mov_b32 s3, exec_lo
	v_cndmask_b32_e64 v0, 0, 8, vcc_lo
	s_wait_dscnt 0x0
	s_delay_alu instid0(VALU_DEP_1)
	v_add_lshl_u32 v3, v0, v15, 2
	ds_bpermute_b32 v10, v3, v1
	ds_bpermute_b32 v0, v3, v4
	;; [unrolled: 1-line block ×3, first 2 shown]
	s_wait_dscnt 0x2
	v_dual_mov_b32 v3, 0 :: v_dual_add_f32 v9, v1, v10
	s_delay_alu instid0(VALU_DEP_1)
	v_cmpx_lt_f32_e32 0, v9
	s_cbranch_execz .LBB6_8
; %bb.7:
	v_div_scale_f32 v2, null, v9, v9, 1.0
	v_div_scale_f32 v11, vcc_lo, 1.0, v9, 1.0
	s_delay_alu instid0(VALU_DEP_2) | instskip(SKIP_1) | instid1(TRANS32_DEP_1)
	v_rcp_f32_e32 v3, v2
	v_nop
	v_fma_f32 v6, -v2, v3, 1.0
	s_delay_alu instid0(VALU_DEP_1) | instskip(NEXT) | instid1(VALU_DEP_1)
	v_fmac_f32_e32 v3, v6, v3
	v_mul_f32_e32 v6, v11, v3
	s_delay_alu instid0(VALU_DEP_1) | instskip(NEXT) | instid1(VALU_DEP_1)
	v_fma_f32 v12, -v2, v6, v11
	v_fmac_f32_e32 v6, v12, v3
	s_delay_alu instid0(VALU_DEP_1) | instskip(NEXT) | instid1(VALU_DEP_1)
	v_fma_f32 v2, -v2, v6, v11
	v_div_fmas_f32 v2, v2, v3, v6
	s_wait_dscnt 0x1
	v_sub_f32_e32 v3, v4, v0
	s_delay_alu instid0(VALU_DEP_2) | instskip(NEXT) | instid1(VALU_DEP_1)
	v_div_fixup_f32 v2, v2, v9, 1.0
	v_dual_mul_f32 v3, v3, v3 :: v_dual_mul_f32 v6, v1, v2
	s_delay_alu instid0(VALU_DEP_1) | instskip(SKIP_1) | instid1(VALU_DEP_2)
	v_pk_mul_f32 v[2:3], v[2:3], v[10:11] op_sel_hi:[1,0]
	s_wait_dscnt 0x0
	v_pk_add_f32 v[18:19], v[4:5], v[6:7]
	v_pk_mul_f32 v[4:5], v[4:5], v[6:7]
	s_delay_alu instid0(VALU_DEP_2) | instskip(NEXT) | instid1(VALU_DEP_1)
	v_dual_mov_b32 v1, v6 :: v_dual_mov_b32 v5, v19
	v_pk_fma_f32 v[2:3], v[2:3], v[0:1], v[4:5]
.LBB6_8:
	s_or_b32 exec_lo, exec_lo, s3
	v_cmp_gt_u32_e32 vcc_lo, 28, v15
	v_dual_mov_b32 v4, 0 :: v_dual_mov_b32 v5, 0
	s_mov_b32 s3, exec_lo
	s_wait_dscnt 0x1
	v_cndmask_b32_e64 v0, 0, 4, vcc_lo
	s_delay_alu instid0(VALU_DEP_1)
	v_add_lshl_u32 v0, v0, v15, 2
	ds_bpermute_b32 v12, v0, v9
	ds_bpermute_b32 v6, v0, v2
	ds_bpermute_b32 v11, v0, v3
	s_wait_dscnt 0x2
	v_dual_mov_b32 v0, 0 :: v_dual_add_f32 v17, v9, v12
	s_delay_alu instid0(VALU_DEP_1)
	v_cmpx_lt_f32_e32 0, v17
	s_cbranch_execz .LBB6_10
; %bb.9:
	v_div_scale_f32 v1, null, v17, v17, 1.0
	v_div_scale_f32 v7, vcc_lo, 1.0, v17, 1.0
	s_delay_alu instid0(VALU_DEP_2) | instskip(SKIP_1) | instid1(TRANS32_DEP_1)
	v_rcp_f32_e32 v4, v1
	v_nop
	v_fma_f32 v5, -v1, v4, 1.0
	s_delay_alu instid0(VALU_DEP_1) | instskip(NEXT) | instid1(VALU_DEP_1)
	v_fmac_f32_e32 v4, v5, v4
	v_mul_f32_e32 v5, v7, v4
	s_delay_alu instid0(VALU_DEP_1) | instskip(NEXT) | instid1(VALU_DEP_1)
	v_fma_f32 v10, -v1, v5, v7
	v_fmac_f32_e32 v5, v10, v4
	s_delay_alu instid0(VALU_DEP_1) | instskip(NEXT) | instid1(VALU_DEP_1)
	v_fma_f32 v1, -v1, v5, v7
	v_div_fmas_f32 v1, v1, v4, v5
	s_delay_alu instid0(VALU_DEP_1) | instskip(SKIP_1) | instid1(VALU_DEP_1)
	v_div_fixup_f32 v4, v1, v17, 1.0
	s_wait_dscnt 0x1
	v_dual_sub_f32 v1, v2, v6 :: v_dual_mul_f32 v10, v9, v4
	s_delay_alu instid0(VALU_DEP_1) | instskip(SKIP_3) | instid1(VALU_DEP_3)
	v_dual_mul_f32 v5, v1, v1 :: v_dual_mov_b32 v7, v10
	s_wait_dscnt 0x0
	v_pk_add_f32 v[18:19], v[2:3], v[10:11]
	v_pk_mul_f32 v[2:3], v[2:3], v[10:11]
	v_pk_mul_f32 v[4:5], v[4:5], v[12:13] op_sel_hi:[1,0]
	s_delay_alu instid0(VALU_DEP_3) | instskip(NEXT) | instid1(VALU_DEP_1)
	v_mov_b32_e32 v3, v19
	v_pk_fma_f32 v[4:5], v[4:5], v[6:7], v[2:3]
.LBB6_10:
	s_or_b32 exec_lo, exec_lo, s3
	v_cmp_gt_u32_e32 vcc_lo, 30, v15
	s_mov_b32 s3, exec_lo
	v_cndmask_b32_e64 v1, 0, 2, vcc_lo
	s_delay_alu instid0(VALU_DEP_1)
	v_add_lshl_u32 v1, v1, v15, 2
	ds_bpermute_b32 v10, v1, v17
	ds_bpermute_b32 v2, v1, v4
	;; [unrolled: 1-line block ×3, first 2 shown]
	s_wait_dscnt 0x2
	v_dual_mov_b32 v1, 0 :: v_dual_add_f32 v11, v17, v10
	s_delay_alu instid0(VALU_DEP_1)
	v_cmpx_lt_f32_e32 0, v11
	s_cbranch_execz .LBB6_12
; %bb.11:
	v_div_scale_f32 v0, null, v11, v11, 1.0
	v_div_scale_f32 v6, vcc_lo, 1.0, v11, 1.0
	s_delay_alu instid0(VALU_DEP_2) | instskip(SKIP_1) | instid1(TRANS32_DEP_1)
	v_rcp_f32_e32 v1, v0
	v_nop
	v_fma_f32 v3, -v0, v1, 1.0
	s_delay_alu instid0(VALU_DEP_1) | instskip(NEXT) | instid1(VALU_DEP_1)
	v_fmac_f32_e32 v1, v3, v1
	v_mul_f32_e32 v3, v6, v1
	s_delay_alu instid0(VALU_DEP_1) | instskip(NEXT) | instid1(VALU_DEP_1)
	v_fma_f32 v9, -v0, v3, v6
	v_fmac_f32_e32 v3, v9, v1
	s_delay_alu instid0(VALU_DEP_1) | instskip(NEXT) | instid1(VALU_DEP_1)
	v_fma_f32 v0, -v0, v3, v6
	v_div_fmas_f32 v0, v0, v1, v3
	s_wait_dscnt 0x1
	v_sub_f32_e32 v1, v4, v2
	s_delay_alu instid0(VALU_DEP_2) | instskip(NEXT) | instid1(VALU_DEP_2)
	v_div_fixup_f32 v0, v0, v11, 1.0
	v_mul_f32_e32 v1, v1, v1
	s_delay_alu instid0(VALU_DEP_2) | instskip(NEXT) | instid1(VALU_DEP_2)
	v_mul_f32_e32 v6, v17, v0
	v_pk_mul_f32 v[0:1], v[0:1], v[10:11] op_sel_hi:[1,0]
	s_wait_dscnt 0x0
	s_delay_alu instid0(VALU_DEP_2) | instskip(SKIP_1) | instid1(VALU_DEP_2)
	v_pk_add_f32 v[18:19], v[4:5], v[6:7]
	v_pk_mul_f32 v[4:5], v[4:5], v[6:7]
	v_dual_mov_b32 v3, v6 :: v_dual_mov_b32 v5, v19
	s_delay_alu instid0(VALU_DEP_1)
	v_pk_fma_f32 v[0:1], v[0:1], v[2:3], v[4:5]
.LBB6_12:
	s_or_b32 exec_lo, exec_lo, s3
	v_cmp_ne_u32_e32 vcc_lo, 31, v15
	s_mov_b32 s3, exec_lo
	v_mov_b32_e32 v3, 0
	s_wait_dscnt 0x1
	v_add_co_ci_u32_e64 v2, null, 0, v15, vcc_lo
	s_delay_alu instid0(VALU_DEP_1)
	v_lshlrev_b32_e32 v2, 2, v2
	ds_bpermute_b32 v10, v2, v11
	ds_bpermute_b32 v4, v2, v0
	s_wait_dscnt 0x2
	ds_bpermute_b32 v7, v2, v1
	s_wait_dscnt 0x2
	v_dual_mov_b32 v2, 0 :: v_dual_add_f32 v9, v11, v10
	s_delay_alu instid0(VALU_DEP_1)
	v_cmpx_lt_f32_e32 0, v9
	s_cbranch_execz .LBB6_14
; %bb.13:
	v_div_scale_f32 v2, null, v9, v9, 1.0
	v_div_scale_f32 v6, vcc_lo, 1.0, v9, 1.0
	s_delay_alu instid0(VALU_DEP_2) | instskip(SKIP_1) | instid1(TRANS32_DEP_1)
	v_rcp_f32_e32 v3, v2
	v_nop
	v_fma_f32 v5, -v2, v3, 1.0
	s_delay_alu instid0(VALU_DEP_1) | instskip(NEXT) | instid1(VALU_DEP_1)
	v_fmac_f32_e32 v3, v5, v3
	v_mul_f32_e32 v5, v6, v3
	s_delay_alu instid0(VALU_DEP_1) | instskip(NEXT) | instid1(VALU_DEP_1)
	v_fma_f32 v12, -v2, v5, v6
	v_fmac_f32_e32 v5, v12, v3
	s_delay_alu instid0(VALU_DEP_1) | instskip(NEXT) | instid1(VALU_DEP_1)
	v_fma_f32 v2, -v2, v5, v6
	v_div_fmas_f32 v2, v2, v3, v5
	s_wait_dscnt 0x1
	v_sub_f32_e32 v3, v0, v4
	s_delay_alu instid0(VALU_DEP_2) | instskip(NEXT) | instid1(VALU_DEP_2)
	v_div_fixup_f32 v2, v2, v9, 1.0
	v_mul_f32_e32 v3, v3, v3
	s_delay_alu instid0(VALU_DEP_2) | instskip(NEXT) | instid1(VALU_DEP_2)
	v_mul_f32_e32 v6, v11, v2
	v_pk_mul_f32 v[2:3], v[2:3], v[10:11] op_sel_hi:[1,0]
	s_wait_dscnt 0x0
	s_delay_alu instid0(VALU_DEP_2) | instskip(SKIP_1) | instid1(VALU_DEP_2)
	v_pk_add_f32 v[18:19], v[0:1], v[6:7]
	v_pk_mul_f32 v[0:1], v[0:1], v[6:7]
	v_dual_mov_b32 v5, v6 :: v_dual_mov_b32 v1, v19
	s_delay_alu instid0(VALU_DEP_1)
	v_pk_fma_f32 v[2:3], v[2:3], v[4:5], v[0:1]
.LBB6_14:
	s_or_b32 exec_lo, exec_lo, s3
	s_cmp_lt_u32 s8, 2
	s_cbranch_scc0 .LBB6_16
; %bb.15:
	v_mov_b32_e32 v0, 0
	s_cvt_f32_i32 s3, s12
	ds_bpermute_b32 v1, v0, v3
	s_wait_dscnt 0x0
	v_div_scale_f32 v4, null, s3, s3, v1
	s_delay_alu instid0(VALU_DEP_1) | instskip(SKIP_1) | instid1(TRANS32_DEP_1)
	v_rcp_f32_e32 v5, v4
	v_nop
	v_fma_f32 v6, -v4, v5, 1.0
	s_delay_alu instid0(VALU_DEP_1) | instskip(SKIP_3) | instid1(VALU_DEP_1)
	v_fmac_f32_e32 v5, v6, v5
	v_div_scale_f32 v6, vcc_lo, v1, s3, v1
	ds_bpermute_b32 v0, v0, v2
	v_mul_f32_e32 v7, v6, v5
	v_fma_f32 v10, -v4, v7, v6
	s_delay_alu instid0(VALU_DEP_1) | instskip(NEXT) | instid1(VALU_DEP_1)
	v_fmac_f32_e32 v7, v10, v5
	v_fma_f32 v4, -v4, v7, v6
	s_delay_alu instid0(VALU_DEP_1) | instskip(NEXT) | instid1(VALU_DEP_1)
	v_div_fmas_f32 v4, v4, v5, v7
	v_div_fixup_f32 v1, v4, s3, v1
	s_cbranch_execz .LBB6_17
	s_branch .LBB6_29
.LBB6_16:
                                        ; implicit-def: $vgpr0_vgpr1
.LBB6_17:
	s_wait_dscnt 0x0
	v_lshlrev_b32_e32 v0, 3, v13
	s_lshl_b32 s3, s8, 2
	s_delay_alu instid0(SALU_CYCLE_1)
	s_add_co_i32 s5, s3, 0
	v_cmp_eq_u32_e64 s3, 0, v14
	v_lshl_add_u32 v4, v13, 2, s5
	v_add_nc_u32_e32 v5, 0, v0
.LBB6_18:                               ; =>This Inner Loop Header: Depth=1
	s_lshr_b32 s6, s8, 1
	s_and_b32 s4, s8, 0xfffe
	v_cmp_le_u32_e32 vcc_lo, s6, v13
	v_cmp_gt_u32_e64 s4, s4, v13
	s_and_b32 s7, s3, vcc_lo
	s_delay_alu instid0(SALU_CYCLE_1) | instskip(NEXT) | instid1(SALU_CYCLE_1)
	s_and_b32 s7, s7, s4
	s_and_saveexec_b32 s4, s7
	s_cbranch_execz .LBB6_20
; %bb.19:                               ;   in Loop: Header=BB6_18 Depth=1
	v_subrev_nc_u32_e32 v0, s6, v13
	s_delay_alu instid0(VALU_DEP_1)
	v_lshl_add_u32 v1, v0, 3, 0
	v_lshl_add_u32 v0, v0, 2, s5
	ds_store_2addr_b32 v1, v2, v3 offset1:1
	ds_store_b32 v0, v9
.LBB6_20:                               ;   in Loop: Header=BB6_18 Depth=1
	s_or_b32 exec_lo, exec_lo, s4
	v_cmp_gt_u32_e32 vcc_lo, s6, v13
	s_wait_dscnt 0x0
	s_barrier_signal -1
	s_barrier_wait -1
	s_and_b32 s7, s3, vcc_lo
	s_delay_alu instid0(SALU_CYCLE_1)
	s_and_saveexec_b32 s4, s7
	s_cbranch_execz .LBB6_24
; %bb.21:                               ;   in Loop: Header=BB6_18 Depth=1
	ds_load_b32 v7, v4
	v_mov_b32_e32 v0, 0
	s_mov_b32 s7, exec_lo
	s_wait_dscnt 0x0
	v_dual_mov_b32 v1, 0 :: v_dual_add_f32 v6, v9, v7
	s_delay_alu instid0(VALU_DEP_1)
	v_cmpx_lt_f32_e32 0, v6
	s_cbranch_execz .LBB6_23
; %bb.22:                               ;   in Loop: Header=BB6_18 Depth=1
	v_div_scale_f32 v10, null, v6, v6, 1.0
	v_div_scale_f32 v12, vcc_lo, 1.0, v6, 1.0
	s_delay_alu instid0(VALU_DEP_2) | instskip(SKIP_1) | instid1(TRANS32_DEP_1)
	v_rcp_f32_e32 v11, v10
	v_nop
	v_fma_f32 v0, -v10, v11, 1.0
	s_delay_alu instid0(VALU_DEP_1) | instskip(SKIP_2) | instid1(VALU_DEP_1)
	v_fmac_f32_e32 v11, v0, v11
	ds_load_2addr_b32 v[0:1], v5 offset1:1
	v_mul_f32_e32 v15, v12, v11
	v_fma_f32 v17, -v10, v15, v12
	s_delay_alu instid0(VALU_DEP_1) | instskip(NEXT) | instid1(VALU_DEP_1)
	v_fmac_f32_e32 v15, v17, v11
	v_fma_f32 v10, -v10, v15, v12
	s_delay_alu instid0(VALU_DEP_1) | instskip(SKIP_2) | instid1(VALU_DEP_2)
	v_div_fmas_f32 v10, v10, v11, v15
	s_wait_dscnt 0x0
	v_sub_f32_e32 v11, v2, v0
	v_div_fixup_f32 v10, v10, v6, 1.0
	s_delay_alu instid0(VALU_DEP_2) | instskip(SKIP_1) | instid1(VALU_DEP_3)
	v_mul_f32_e32 v11, v11, v11
	v_add_f32_e32 v1, v3, v1
	v_dual_mul_f32 v12, v7, v10 :: v_dual_mul_f32 v10, v9, v10
	s_delay_alu instid0(VALU_DEP_1) | instskip(NEXT) | instid1(VALU_DEP_1)
	v_dual_mul_f32 v3, v7, v11 :: v_dual_mul_f32 v0, v12, v0
	v_pk_fma_f32 v[0:1], v[2:3], v[10:11], v[0:1] op_sel_hi:[1,0,1]
.LBB6_23:                               ;   in Loop: Header=BB6_18 Depth=1
	s_or_b32 exec_lo, exec_lo, s7
	s_delay_alu instid0(VALU_DEP_1) | instskip(NEXT) | instid1(VALU_DEP_2)
	v_dual_mov_b32 v9, v6 :: v_dual_mov_b32 v2, v0
	v_mov_b32_e32 v3, v1
.LBB6_24:                               ;   in Loop: Header=BB6_18 Depth=1
	s_or_b32 exec_lo, exec_lo, s4
	s_cmp_lt_u32 s8, 4
	s_barrier_signal -1
	s_barrier_wait -1
	s_cbranch_scc1 .LBB6_26
; %bb.25:                               ;   in Loop: Header=BB6_18 Depth=1
	s_mov_b32 s8, s6
	s_branch .LBB6_18
.LBB6_26:
	v_or_b32_e32 v0, v14, v13
	s_mov_b32 s3, exec_lo
	s_delay_alu instid0(VALU_DEP_1)
	v_cmpx_eq_u32_e32 0, v0
	s_cbranch_execz .LBB6_28
; %bb.27:
	s_cvt_f32_i32 s4, s12
	s_delay_alu instid0(SALU_CYCLE_3) | instskip(SKIP_1) | instid1(VALU_DEP_2)
	v_div_scale_f32 v0, null, s4, s4, v3
	v_div_scale_f32 v5, vcc_lo, v3, s4, v3
	v_rcp_f32_e32 v1, v0
	v_nop
	s_delay_alu instid0(TRANS32_DEP_1) | instskip(NEXT) | instid1(VALU_DEP_1)
	v_fma_f32 v4, -v0, v1, 1.0
	v_fmac_f32_e32 v1, v4, v1
	s_delay_alu instid0(VALU_DEP_1) | instskip(NEXT) | instid1(VALU_DEP_1)
	v_mul_f32_e32 v4, v5, v1
	v_fma_f32 v6, -v0, v4, v5
	s_delay_alu instid0(VALU_DEP_1) | instskip(NEXT) | instid1(VALU_DEP_1)
	v_fmac_f32_e32 v4, v6, v1
	v_fma_f32 v0, -v0, v4, v5
	s_delay_alu instid0(VALU_DEP_1) | instskip(SKIP_1) | instid1(VALU_DEP_2)
	v_div_fmas_f32 v0, v0, v1, v4
	v_mov_b32_e32 v1, 0
	v_div_fixup_f32 v0, v0, s4, v3
	ds_store_2addr_b32 v1, v2, v0 offset1:1
.LBB6_28:
	s_or_b32 exec_lo, exec_lo, s3
	v_mov_b32_e32 v0, 0
	s_wait_dscnt 0x0
	s_barrier_signal -1
	s_barrier_wait -1
	ds_load_2addr_b32 v[0:1], v0 offset1:1
.LBB6_29:
	s_wait_dscnt 0x0
	s_delay_alu instid0(VALU_DEP_1) | instskip(SKIP_3) | instid1(VALU_DEP_1)
	v_add_f32_e32 v1, s13, v1
	s_clause 0x1
	s_load_b256 s[4:11], s[0:1], 0x10
	s_load_b64 s[12:13], s[0:1], 0x30
	v_mul_f32_e32 v2, 0x4b800000, v1
	v_cmp_gt_f32_e32 vcc_lo, 0x800000, v1
	s_delay_alu instid0(VALU_DEP_2) | instskip(NEXT) | instid1(VALU_DEP_1)
	v_cndmask_b32_e32 v1, v1, v2, vcc_lo
	v_rsq_f32_e32 v1, v1
	v_nop
	s_delay_alu instid0(TRANS32_DEP_1) | instskip(NEXT) | instid1(VALU_DEP_1)
	v_mul_f32_e32 v2, 0x45800000, v1
	v_cndmask_b32_e32 v10, v1, v2, vcc_lo
	s_and_saveexec_b32 s23, s2
	s_cbranch_execz .LBB6_44
; %bb.30:
	s_wait_kmcnt 0x0
	s_cmp_eq_u64 s[4:5], 0
	v_dual_mov_b32 v11, v10 :: v_dual_mov_b32 v12, v10
	s_cselect_b32 s24, -1, 0
	s_cmp_eq_u64 s[6:7], 0
	v_dual_mov_b32 v13, v10 :: v_dual_mov_b32 v1, v0
	s_cselect_b32 s25, -1, 0
	v_dual_mov_b32 v2, v0 :: v_dual_mov_b32 v3, v0
	v_dual_mov_b32 v9, 0 :: v_dual_mov_b32 v18, v16
	v_cndmask_b32_e64 v17, 0, 1, s25
	s_lshl_b64 s[2:3], s[20:21], 1
	s_ashr_i32 s19, s18, 31
	s_add_nc_u64 s[0:1], s[12:13], s[2:3]
	s_add_nc_u64 s[2:3], s[14:15], s[2:3]
	s_or_b32 s14, s24, s25
	s_lshl_b64 s[12:13], s[18:19], 3
	s_mov_b32 s15, 0
	s_branch .LBB6_32
.LBB6_31:                               ;   in Loop: Header=BB6_32 Depth=1
	v_add_nc_u32_e32 v18, s18, v18
	s_wait_loadcnt 0x0
	v_add_nc_u64_e32 v[14:15], s[0:1], v[8:9]
	v_add_nc_u64_e32 v[8:9], s[12:13], v[8:9]
	v_cvt_pk_f16_f32 v7, v6, v7
	v_cvt_pk_f16_f32 v6, v4, v5
	v_cmp_le_i32_e32 vcc_lo, s22, v18
	global_store_b64 v[14:15], v[6:7], off
	s_or_b32 s15, vcc_lo, s15
	s_wait_xcnt 0x0
	s_and_not1_b32 exec_lo, exec_lo, s15
	s_cbranch_execz .LBB6_44
.LBB6_32:                               ; =>This Inner Loop Header: Depth=1
	v_add_nc_u64_e32 v[4:5], s[2:3], v[8:9]
	s_and_b32 vcc_lo, exec_lo, s14
	s_mov_b32 s19, -1
	global_load_b64 v[14:15], v[4:5], off
                                        ; implicit-def: $vgpr4_vgpr5_vgpr6_vgpr7
	s_cbranch_vccz .LBB6_42
; %bb.33:                               ;   in Loop: Header=BB6_32 Depth=1
	s_and_b32 vcc_lo, exec_lo, s24
                                        ; implicit-def: $vgpr4_vgpr5_vgpr6_vgpr7
	s_cbranch_vccz .LBB6_39
; %bb.34:                               ;   in Loop: Header=BB6_32 Depth=1
	v_cmp_ne_u32_e32 vcc_lo, 1, v17
                                        ; implicit-def: $vgpr4_vgpr5_vgpr6_vgpr7
	s_cbranch_vccnz .LBB6_36
; %bb.35:                               ;   in Loop: Header=BB6_32 Depth=1
	s_wait_loadcnt 0x0
	s_wait_xcnt 0x0
	v_dual_lshrrev_b32 v4, 16, v15 :: v_dual_lshrrev_b32 v5, 16, v14
	v_cvt_f32_f16_e32 v6, v14
	v_cvt_f32_f16_e32 v7, v15
	s_mov_b32 s19, 0
	s_delay_alu instid0(VALU_DEP_3) | instskip(SKIP_1) | instid1(VALU_DEP_3)
	v_cvt_f32_f16_e32 v19, v4
	v_cvt_f32_f16_e32 v5, v5
	v_dual_sub_f32 v4, v6, v0 :: v_dual_sub_f32 v6, v7, v2
	s_delay_alu instid0(VALU_DEP_2) | instskip(NEXT) | instid1(VALU_DEP_1)
	v_dual_sub_f32 v7, v19, v3 :: v_dual_sub_f32 v5, v5, v1
	v_pk_mul_f32 v[6:7], v[12:13], v[6:7]
	s_delay_alu instid0(VALU_DEP_2)
	v_pk_mul_f32 v[4:5], v[10:11], v[4:5]
.LBB6_36:                               ;   in Loop: Header=BB6_32 Depth=1
	s_and_not1_b32 vcc_lo, exec_lo, s19
	s_cbranch_vccnz .LBB6_38
; %bb.37:                               ;   in Loop: Header=BB6_32 Depth=1
	s_wait_xcnt 0x0
	v_add_nc_u64_e32 v[4:5], s[6:7], v[8:9]
	s_wait_loadcnt 0x0
	v_dual_lshrrev_b32 v6, 16, v14 :: v_dual_lshrrev_b32 v7, 16, v15
	v_cvt_f32_f16_e32 v19, v14
	v_cvt_f32_f16_e32 v21, v15
	s_delay_alu instid0(VALU_DEP_3) | instskip(SKIP_3) | instid1(VALU_DEP_2)
	v_cvt_f32_f16_e32 v22, v6
	global_load_b64 v[4:5], v[4:5], off
	v_cvt_f32_f16_e32 v7, v7
	v_dual_sub_f32 v20, v19, v0 :: v_dual_sub_f32 v6, v21, v2
	v_dual_sub_f32 v21, v22, v1 :: v_dual_sub_f32 v7, v7, v3
	s_wait_loadcnt 0x0
	v_dual_lshrrev_b32 v19, 16, v5 :: v_dual_lshrrev_b32 v24, 16, v4
	s_wait_xcnt 0x0
	v_cvt_f32_f16_e32 v4, v4
	v_cvt_f32_f16_e32 v22, v5
	s_delay_alu instid0(VALU_DEP_3) | instskip(SKIP_1) | instid1(VALU_DEP_2)
	v_cvt_f32_f16_e32 v23, v19
	v_cvt_f32_f16_e32 v5, v24
	v_pk_fma_f32 v[6:7], v[12:13], v[6:7], v[22:23]
	s_delay_alu instid0(VALU_DEP_2)
	v_pk_fma_f32 v[4:5], v[10:11], v[20:21], v[4:5]
.LBB6_38:                               ;   in Loop: Header=BB6_32 Depth=1
	s_mov_b32 s19, 0
.LBB6_39:                               ;   in Loop: Header=BB6_32 Depth=1
	s_delay_alu instid0(SALU_CYCLE_1)
	s_and_not1_b32 vcc_lo, exec_lo, s19
	s_cbranch_vccnz .LBB6_41
; %bb.40:                               ;   in Loop: Header=BB6_32 Depth=1
	s_wait_xcnt 0x0
	v_add_nc_u64_e32 v[4:5], s[4:5], v[8:9]
	s_wait_loadcnt 0x0
	v_dual_lshrrev_b32 v6, 16, v14 :: v_dual_lshrrev_b32 v7, 16, v15
	v_cvt_f32_f16_e32 v19, v14
	v_cvt_f32_f16_e32 v21, v15
	s_delay_alu instid0(VALU_DEP_3) | instskip(SKIP_3) | instid1(VALU_DEP_2)
	v_cvt_f32_f16_e32 v20, v6
	global_load_b64 v[4:5], v[4:5], off
	v_cvt_f32_f16_e32 v22, v7
	v_dual_sub_f32 v6, v19, v0 :: v_dual_sub_f32 v7, v20, v1
	v_dual_sub_f32 v20, v21, v2 :: v_dual_sub_f32 v21, v22, v3
	s_delay_alu instid0(VALU_DEP_2) | instskip(NEXT) | instid1(VALU_DEP_2)
	v_pk_mul_f32 v[22:23], v[10:11], v[6:7]
	v_pk_mul_f32 v[6:7], v[12:13], v[20:21]
	s_wait_loadcnt 0x0
	v_dual_lshrrev_b32 v19, 16, v5 :: v_dual_lshrrev_b32 v24, 16, v4
	s_wait_xcnt 0x0
	v_cvt_f32_f16_e32 v4, v4
	v_cvt_f32_f16_e32 v20, v5
	s_delay_alu instid0(VALU_DEP_3) | instskip(SKIP_1) | instid1(VALU_DEP_2)
	v_cvt_f32_f16_e32 v21, v19
	v_cvt_f32_f16_e32 v5, v24
	v_pk_mul_f32 v[6:7], v[6:7], v[20:21]
	s_delay_alu instid0(VALU_DEP_2)
	v_pk_mul_f32 v[4:5], v[22:23], v[4:5]
.LBB6_41:                               ;   in Loop: Header=BB6_32 Depth=1
	s_mov_b32 s19, 0
.LBB6_42:                               ;   in Loop: Header=BB6_32 Depth=1
	s_delay_alu instid0(SALU_CYCLE_1)
	s_and_not1_b32 vcc_lo, exec_lo, s19
	s_cbranch_vccnz .LBB6_31
; %bb.43:                               ;   in Loop: Header=BB6_32 Depth=1
	s_wait_xcnt 0x0
	v_add_nc_u64_e32 v[4:5], s[4:5], v[8:9]
	v_add_nc_u64_e32 v[6:7], s[6:7], v[8:9]
	global_load_b64 v[20:21], v[4:5], off
	global_load_b64 v[22:23], v[6:7], off
	s_wait_loadcnt 0x2
	s_wait_xcnt 0x1
	v_dual_lshrrev_b32 v4, 16, v14 :: v_dual_lshrrev_b32 v5, 16, v15
	s_wait_xcnt 0x0
	v_cvt_f32_f16_e32 v6, v15
	v_cvt_f32_f16_e32 v7, v14
	s_delay_alu instid0(VALU_DEP_3) | instskip(SKIP_1) | instid1(VALU_DEP_3)
	v_cvt_f32_f16_e32 v14, v4
	v_cvt_f32_f16_e32 v5, v5
	v_dual_sub_f32 v4, v6, v2 :: v_dual_sub_f32 v6, v7, v0
	s_delay_alu instid0(VALU_DEP_2) | instskip(NEXT) | instid1(VALU_DEP_1)
	v_dual_sub_f32 v7, v14, v1 :: v_dual_sub_f32 v5, v5, v3
	v_pk_mul_f32 v[14:15], v[10:11], v[6:7]
	s_delay_alu instid0(VALU_DEP_2)
	v_pk_mul_f32 v[4:5], v[12:13], v[4:5]
	s_wait_loadcnt 0x1
	v_dual_lshrrev_b32 v7, 16, v20 :: v_dual_lshrrev_b32 v19, 16, v21
	v_cvt_f32_f16_e32 v6, v21
	s_wait_loadcnt 0x0
	v_dual_lshrrev_b32 v21, 16, v23 :: v_dual_lshrrev_b32 v26, 16, v22
	v_cvt_f32_f16_e32 v24, v20
	v_cvt_f32_f16_e32 v20, v22
	;; [unrolled: 1-line block ×7, first 2 shown]
	s_delay_alu instid0(VALU_DEP_2) | instskip(NEXT) | instid1(VALU_DEP_2)
	v_pk_fma_f32 v[6:7], v[4:5], v[6:7], v[22:23]
	v_pk_fma_f32 v[4:5], v[14:15], v[24:25], v[20:21]
	s_branch .LBB6_31
.LBB6_44:
	s_or_b32 exec_lo, exec_lo, s23
	s_wait_xcnt 0x0
	s_mov_b32 s0, exec_lo
	v_cmpx_eq_u32_e32 0, v16
	s_cbranch_execz .LBB6_46
; %bb.45:
	v_mov_b32_e32 v1, 0
	s_lshl_b64 s[0:1], s[16:17], 2
	s_wait_kmcnt 0x0
	s_add_nc_u64 s[2:3], s[8:9], s[0:1]
	s_add_nc_u64 s[0:1], s[10:11], s[0:1]
	s_clause 0x1
	global_store_b32 v1, v0, s[2:3]
	global_store_b32 v1, v10, s[0:1]
.LBB6_46:
	s_endpgm
	.section	.rodata,"a",@progbits
	.p2align	6, 0x0
	.amdhsa_kernel _ZN2at6native12_GLOBAL__N_128vectorized_layer_norm_kernelIN3c104HalfEfLb0EEEviT0_PKT_S8_S8_PS5_S9_PS6_
		.amdhsa_group_segment_fixed_size 0
		.amdhsa_private_segment_fixed_size 0
		.amdhsa_kernarg_size 312
		.amdhsa_user_sgpr_count 2
		.amdhsa_user_sgpr_dispatch_ptr 0
		.amdhsa_user_sgpr_queue_ptr 0
		.amdhsa_user_sgpr_kernarg_segment_ptr 1
		.amdhsa_user_sgpr_dispatch_id 0
		.amdhsa_user_sgpr_kernarg_preload_length 0
		.amdhsa_user_sgpr_kernarg_preload_offset 0
		.amdhsa_user_sgpr_private_segment_size 0
		.amdhsa_wavefront_size32 1
		.amdhsa_uses_dynamic_stack 0
		.amdhsa_enable_private_segment 0
		.amdhsa_system_sgpr_workgroup_id_x 1
		.amdhsa_system_sgpr_workgroup_id_y 0
		.amdhsa_system_sgpr_workgroup_id_z 0
		.amdhsa_system_sgpr_workgroup_info 0
		.amdhsa_system_vgpr_workitem_id 1
		.amdhsa_next_free_vgpr 29
		.amdhsa_next_free_sgpr 26
		.amdhsa_named_barrier_count 0
		.amdhsa_reserve_vcc 1
		.amdhsa_float_round_mode_32 0
		.amdhsa_float_round_mode_16_64 0
		.amdhsa_float_denorm_mode_32 3
		.amdhsa_float_denorm_mode_16_64 3
		.amdhsa_fp16_overflow 0
		.amdhsa_memory_ordered 1
		.amdhsa_forward_progress 1
		.amdhsa_inst_pref_size 30
		.amdhsa_round_robin_scheduling 0
		.amdhsa_exception_fp_ieee_invalid_op 0
		.amdhsa_exception_fp_denorm_src 0
		.amdhsa_exception_fp_ieee_div_zero 0
		.amdhsa_exception_fp_ieee_overflow 0
		.amdhsa_exception_fp_ieee_underflow 0
		.amdhsa_exception_fp_ieee_inexact 0
		.amdhsa_exception_int_div_zero 0
	.end_amdhsa_kernel
	.section	.text._ZN2at6native12_GLOBAL__N_128vectorized_layer_norm_kernelIN3c104HalfEfLb0EEEviT0_PKT_S8_S8_PS5_S9_PS6_,"axG",@progbits,_ZN2at6native12_GLOBAL__N_128vectorized_layer_norm_kernelIN3c104HalfEfLb0EEEviT0_PKT_S8_S8_PS5_S9_PS6_,comdat
.Lfunc_end6:
	.size	_ZN2at6native12_GLOBAL__N_128vectorized_layer_norm_kernelIN3c104HalfEfLb0EEEviT0_PKT_S8_S8_PS5_S9_PS6_, .Lfunc_end6-_ZN2at6native12_GLOBAL__N_128vectorized_layer_norm_kernelIN3c104HalfEfLb0EEEviT0_PKT_S8_S8_PS5_S9_PS6_
                                        ; -- End function
	.set _ZN2at6native12_GLOBAL__N_128vectorized_layer_norm_kernelIN3c104HalfEfLb0EEEviT0_PKT_S8_S8_PS5_S9_PS6_.num_vgpr, 29
	.set _ZN2at6native12_GLOBAL__N_128vectorized_layer_norm_kernelIN3c104HalfEfLb0EEEviT0_PKT_S8_S8_PS5_S9_PS6_.num_agpr, 0
	.set _ZN2at6native12_GLOBAL__N_128vectorized_layer_norm_kernelIN3c104HalfEfLb0EEEviT0_PKT_S8_S8_PS5_S9_PS6_.numbered_sgpr, 26
	.set _ZN2at6native12_GLOBAL__N_128vectorized_layer_norm_kernelIN3c104HalfEfLb0EEEviT0_PKT_S8_S8_PS5_S9_PS6_.num_named_barrier, 0
	.set _ZN2at6native12_GLOBAL__N_128vectorized_layer_norm_kernelIN3c104HalfEfLb0EEEviT0_PKT_S8_S8_PS5_S9_PS6_.private_seg_size, 0
	.set _ZN2at6native12_GLOBAL__N_128vectorized_layer_norm_kernelIN3c104HalfEfLb0EEEviT0_PKT_S8_S8_PS5_S9_PS6_.uses_vcc, 1
	.set _ZN2at6native12_GLOBAL__N_128vectorized_layer_norm_kernelIN3c104HalfEfLb0EEEviT0_PKT_S8_S8_PS5_S9_PS6_.uses_flat_scratch, 0
	.set _ZN2at6native12_GLOBAL__N_128vectorized_layer_norm_kernelIN3c104HalfEfLb0EEEviT0_PKT_S8_S8_PS5_S9_PS6_.has_dyn_sized_stack, 0
	.set _ZN2at6native12_GLOBAL__N_128vectorized_layer_norm_kernelIN3c104HalfEfLb0EEEviT0_PKT_S8_S8_PS5_S9_PS6_.has_recursion, 0
	.set _ZN2at6native12_GLOBAL__N_128vectorized_layer_norm_kernelIN3c104HalfEfLb0EEEviT0_PKT_S8_S8_PS5_S9_PS6_.has_indirect_call, 0
	.section	.AMDGPU.csdata,"",@progbits
; Kernel info:
; codeLenInByte = 3788
; TotalNumSgprs: 28
; NumVgprs: 29
; ScratchSize: 0
; MemoryBound: 0
; FloatMode: 240
; IeeeMode: 1
; LDSByteSize: 0 bytes/workgroup (compile time only)
; SGPRBlocks: 0
; VGPRBlocks: 1
; NumSGPRsForWavesPerEU: 28
; NumVGPRsForWavesPerEU: 29
; NamedBarCnt: 0
; Occupancy: 16
; WaveLimiterHint : 0
; COMPUTE_PGM_RSRC2:SCRATCH_EN: 0
; COMPUTE_PGM_RSRC2:USER_SGPR: 2
; COMPUTE_PGM_RSRC2:TRAP_HANDLER: 0
; COMPUTE_PGM_RSRC2:TGID_X_EN: 1
; COMPUTE_PGM_RSRC2:TGID_Y_EN: 0
; COMPUTE_PGM_RSRC2:TGID_Z_EN: 0
; COMPUTE_PGM_RSRC2:TIDIG_COMP_CNT: 1
	.section	.text._ZN2at6native12_GLOBAL__N_124RowwiseMomentsCUDAKernelIN3c104HalfEfLb0EEEvlT0_PKT_PS5_S9_,"axG",@progbits,_ZN2at6native12_GLOBAL__N_124RowwiseMomentsCUDAKernelIN3c104HalfEfLb0EEEvlT0_PKT_PS5_S9_,comdat
	.globl	_ZN2at6native12_GLOBAL__N_124RowwiseMomentsCUDAKernelIN3c104HalfEfLb0EEEvlT0_PKT_PS5_S9_ ; -- Begin function _ZN2at6native12_GLOBAL__N_124RowwiseMomentsCUDAKernelIN3c104HalfEfLb0EEEvlT0_PKT_PS5_S9_
	.p2align	8
	.type	_ZN2at6native12_GLOBAL__N_124RowwiseMomentsCUDAKernelIN3c104HalfEfLb0EEEvlT0_PKT_PS5_S9_,@function
_ZN2at6native12_GLOBAL__N_124RowwiseMomentsCUDAKernelIN3c104HalfEfLb0EEEvlT0_PKT_PS5_S9_: ; @_ZN2at6native12_GLOBAL__N_124RowwiseMomentsCUDAKernelIN3c104HalfEfLb0EEEvlT0_PKT_PS5_S9_
; %bb.0:
	s_clause 0x2
	s_load_b64 s[10:11], s[0:1], 0x0
	s_load_b128 s[4:7], s[0:1], 0x10
	s_load_b64 s[2:3], s[0:1], 0x20
	s_bfe_u32 s8, ttmp6, 0x4000c
	s_and_b32 s9, ttmp6, 15
	s_add_co_i32 s8, s8, 1
	v_mov_b64_e32 v[6:7], 0
	s_mul_i32 s8, ttmp9, s8
	v_mov_b64_e32 v[2:3], 0
	s_getreg_b32 s12, hwreg(HW_REG_IB_STS2, 6, 4)
	v_mov_b32_e32 v1, 0
	s_add_co_i32 s8, s9, s8
	s_cmp_eq_u32 s12, 0
	s_mov_b32 s9, 0
	s_cselect_b32 s8, ttmp9, s8
	s_mov_b32 s16, exec_lo
	s_wait_kmcnt 0x0
	v_cmpx_gt_i64_e64 s[10:11], v[0:1]
	s_cbranch_execz .LBB7_4
; %bb.1:
	s_load_b32 s12, s[0:1], 0x34
	s_mul_u64 s[14:15], s[10:11], s[8:9]
	v_dual_mov_b32 v5, 0 :: v_dual_lshlrev_b32 v4, 1, v0
	s_lshl_b64 s[18:19], s[14:15], 1
	v_mov_b64_e32 v[8:9], v[0:1]
	s_add_nc_u64 s[4:5], s[4:5], s[18:19]
	s_mov_b32 s13, s9
	v_add_nc_u64_e32 v[10:11], s[4:5], v[4:5]
	v_mov_b32_e32 v3, v5
	s_mov_b32 s15, s9
	s_mov_b64 s[4:5], 0
	s_mov_b32 s17, s9
	s_wait_kmcnt 0x0
	s_and_b32 s12, s12, 0xffff
	s_delay_alu instid0(SALU_CYCLE_1)
	s_lshl_b32 s14, s12, 1
.LBB7_2:                                ; =>This Inner Loop Header: Depth=1
	global_load_u16 v1, v[10:11], off
	s_add_nc_u64 s[4:5], s[4:5], 1
	v_add_nc_u64_e32 v[8:9], s[12:13], v[8:9]
	s_clz_i32_u32 s18, s5
	s_wait_xcnt 0x0
	v_add_nc_u64_e32 v[10:11], s[14:15], v[10:11]
	s_min_u32 s20, s18, 32
	s_delay_alu instid0(SALU_CYCLE_1) | instskip(NEXT) | instid1(SALU_CYCLE_1)
	s_lshl_b64 s[18:19], s[4:5], s20
	s_min_u32 s18, s18, 1
	s_delay_alu instid0(SALU_CYCLE_1) | instskip(SKIP_4) | instid1(SALU_CYCLE_1)
	s_or_b32 s18, s19, s18
	s_sub_co_i32 s19, 32, s20
	s_cvt_f32_u32 s18, s18
	s_wait_loadcnt 0x0
	v_cvt_f32_f16_e32 v2, v1
	v_ldexp_f32 v1, s18, s19
	s_delay_alu instid0(VALU_DEP_2) | instskip(NEXT) | instid1(VALU_DEP_1)
	v_sub_f32_e32 v4, v2, v3
	v_div_scale_f32 v6, null, v1, v1, v4
	v_div_scale_f32 v13, vcc_lo, v4, v1, v4
	s_delay_alu instid0(VALU_DEP_2) | instskip(SKIP_1) | instid1(TRANS32_DEP_1)
	v_rcp_f32_e32 v7, v6
	v_nop
	v_fma_f32 v12, -v6, v7, 1.0
	s_delay_alu instid0(VALU_DEP_1) | instskip(NEXT) | instid1(VALU_DEP_1)
	v_fmac_f32_e32 v7, v12, v7
	v_mul_f32_e32 v12, v13, v7
	s_delay_alu instid0(VALU_DEP_1) | instskip(NEXT) | instid1(VALU_DEP_1)
	v_fma_f32 v14, -v6, v12, v13
	v_fmac_f32_e32 v12, v14, v7
	s_delay_alu instid0(VALU_DEP_1) | instskip(NEXT) | instid1(VALU_DEP_1)
	v_fma_f32 v6, -v6, v12, v13
	v_div_fmas_f32 v6, v6, v7, v12
	v_cmp_le_i64_e32 vcc_lo, s[10:11], v[8:9]
	s_delay_alu instid0(VALU_DEP_2) | instskip(SKIP_1) | instid1(VALU_DEP_1)
	v_div_fixup_f32 v6, v6, v1, v4
	s_or_b32 s17, vcc_lo, s17
	v_add_f32_e32 v3, v3, v6
	v_mov_b64_e32 v[6:7], s[4:5]
	s_delay_alu instid0(VALU_DEP_2) | instskip(NEXT) | instid1(VALU_DEP_1)
	v_sub_f32_e32 v2, v2, v3
	v_fmac_f32_e32 v5, v4, v2
	s_and_not1_b32 exec_lo, exec_lo, s17
	s_cbranch_execnz .LBB7_2
; %bb.3:
	s_or_b32 exec_lo, exec_lo, s17
	s_delay_alu instid0(VALU_DEP_1)
	v_mov_b32_e32 v2, v5
.LBB7_4:
	s_or_b32 exec_lo, exec_lo, s16
	v_mbcnt_lo_u32_b32 v13, -1, 0
	s_mov_b32 s4, exec_lo
	s_delay_alu instid0(VALU_DEP_1)
	v_lshl_or_b32 v10, v13, 2, 64
	ds_bpermute_b32 v5, v10, v3
	ds_bpermute_b32 v4, v10, v2
	;; [unrolled: 1-line block ×5, first 2 shown]
	v_cmpx_neq_f32_e32 0, v1
	s_cbranch_execz .LBB7_8
; %bb.5:
	s_mov_b32 s5, exec_lo
	s_wait_dscnt 0x0
	v_cmpx_neq_f32_e32 0, v11
	s_cbranch_execz .LBB7_7
; %bb.6:
	v_add_f32_e32 v12, v1, v11
	s_delay_alu instid0(VALU_DEP_1) | instskip(SKIP_1) | instid1(VALU_DEP_2)
	v_div_scale_f32 v6, null, v12, v12, v11
	v_div_scale_f32 v14, vcc_lo, v11, v12, v11
	v_rcp_f32_e32 v7, v6
	v_nop
	s_delay_alu instid0(TRANS32_DEP_1) | instskip(NEXT) | instid1(VALU_DEP_1)
	v_fma_f32 v8, -v6, v7, 1.0
	v_fmac_f32_e32 v7, v8, v7
	s_delay_alu instid0(VALU_DEP_1) | instskip(NEXT) | instid1(VALU_DEP_1)
	v_mul_f32_e32 v15, v14, v7
	v_fma_f32 v8, -v6, v15, v14
	s_delay_alu instid0(VALU_DEP_1) | instskip(SKIP_2) | instid1(VALU_DEP_3)
	v_fmac_f32_e32 v15, v8, v7
	v_pk_add_f32 v[8:9], v[4:5], v[2:3] neg_lo:[0,1] neg_hi:[0,1]
	v_pk_add_f32 v[4:5], v[2:3], v[4:5]
	v_dual_mov_b32 v5, v3 :: v_dual_fma_f32 v6, -v6, v15, v14
	s_delay_alu instid0(VALU_DEP_3) | instskip(NEXT) | instid1(VALU_DEP_2)
	v_mul_f32_e32 v8, v9, v9
	v_div_fmas_f32 v6, v6, v7, v15
	s_delay_alu instid0(VALU_DEP_2) | instskip(NEXT) | instid1(VALU_DEP_2)
	v_dual_mul_f32 v8, v1, v8 :: v_dual_mov_b32 v1, v12
	v_div_fixup_f32 v2, v6, v12, v11
	v_mov_b64_e32 v[6:7], -1
	s_delay_alu instid0(VALU_DEP_2)
	v_pk_fma_f32 v[2:3], v[8:9], v[2:3], v[4:5] op_sel_hi:[1,0,1]
.LBB7_7:
	s_or_b32 exec_lo, exec_lo, s5
	s_delay_alu instid0(VALU_DEP_2) | instskip(NEXT) | instid1(VALU_DEP_2)
	v_mov_b64_e32 v[8:9], v[6:7]
	v_mov_b64_e32 v[4:5], v[2:3]
	v_mov_b32_e32 v11, v1
.LBB7_8:
	s_or_b32 exec_lo, exec_lo, s4
	v_cmp_gt_u32_e32 vcc_lo, 24, v13
	s_mov_b32 s4, exec_lo
	v_cndmask_b32_e64 v1, 0, 8, vcc_lo
	s_delay_alu instid0(VALU_DEP_1)
	v_add_lshl_u32 v1, v1, v13, 2
	s_wait_dscnt 0x4
	ds_bpermute_b32 v3, v1, v5
	s_wait_dscnt 0x4
	ds_bpermute_b32 v2, v1, v4
	;; [unrolled: 2-line block ×5, first 2 shown]
	v_cmpx_neq_f32_e32 0, v11
	s_cbranch_execz .LBB7_12
; %bb.9:
	s_mov_b32 s5, exec_lo
	s_wait_dscnt 0x0
	v_cmpx_neq_f32_e32 0, v12
	s_cbranch_execz .LBB7_11
; %bb.10:
	v_add_f32_e32 v14, v11, v12
	s_delay_alu instid0(VALU_DEP_1) | instskip(NEXT) | instid1(VALU_DEP_1)
	v_div_scale_f32 v8, null, v14, v14, v12
	v_rcp_f32_e32 v9, v8
	v_nop
	s_delay_alu instid0(TRANS32_DEP_1) | instskip(NEXT) | instid1(VALU_DEP_1)
	v_fma_f32 v6, -v8, v9, 1.0
	v_fmac_f32_e32 v9, v6, v9
	v_div_scale_f32 v15, vcc_lo, v12, v14, v12
	s_delay_alu instid0(VALU_DEP_1) | instskip(NEXT) | instid1(VALU_DEP_1)
	v_mul_f32_e32 v16, v15, v9
	v_fma_f32 v6, -v8, v16, v15
	s_delay_alu instid0(VALU_DEP_1) | instskip(SKIP_2) | instid1(VALU_DEP_3)
	v_fmac_f32_e32 v16, v6, v9
	v_pk_add_f32 v[6:7], v[2:3], v[4:5] neg_lo:[0,1] neg_hi:[0,1]
	v_pk_add_f32 v[2:3], v[4:5], v[2:3]
	v_dual_mov_b32 v3, v5 :: v_dual_fma_f32 v6, -v8, v16, v15
	s_delay_alu instid0(VALU_DEP_3) | instskip(NEXT) | instid1(VALU_DEP_2)
	v_mul_f32_e32 v8, v7, v7
	v_div_fmas_f32 v9, v6, v9, v16
	s_delay_alu instid0(VALU_DEP_2) | instskip(NEXT) | instid1(VALU_DEP_2)
	v_dual_mul_f32 v6, v11, v8 :: v_dual_mov_b32 v11, v14
	v_div_fixup_f32 v4, v9, v14, v12
	v_mov_b64_e32 v[8:9], -1
	s_delay_alu instid0(VALU_DEP_2)
	v_pk_fma_f32 v[4:5], v[6:7], v[4:5], v[2:3] op_sel_hi:[1,0,1]
.LBB7_11:
	s_or_b32 exec_lo, exec_lo, s5
	s_delay_alu instid0(VALU_DEP_2) | instskip(NEXT) | instid1(VALU_DEP_2)
	v_mov_b64_e32 v[6:7], v[8:9]
	v_mov_b64_e32 v[2:3], v[4:5]
	v_mov_b32_e32 v12, v11
.LBB7_12:
	s_or_b32 exec_lo, exec_lo, s4
	v_cmp_gt_u32_e32 vcc_lo, 28, v13
	s_mov_b32 s4, exec_lo
	v_cndmask_b32_e64 v4, 0, 4, vcc_lo
	s_delay_alu instid0(VALU_DEP_1)
	v_add_lshl_u32 v11, v4, v13, 2
	s_wait_dscnt 0x4
	ds_bpermute_b32 v5, v11, v3
	s_wait_dscnt 0x4
	ds_bpermute_b32 v4, v11, v2
	;; [unrolled: 2-line block ×5, first 2 shown]
	v_cmpx_neq_f32_e32 0, v12
	s_cbranch_execz .LBB7_16
; %bb.13:
	s_mov_b32 s5, exec_lo
	s_wait_dscnt 0x0
	v_cmpx_neq_f32_e32 0, v14
	s_cbranch_execz .LBB7_15
; %bb.14:
	v_add_f32_e32 v15, v12, v14
	s_delay_alu instid0(VALU_DEP_1) | instskip(SKIP_1) | instid1(VALU_DEP_2)
	v_div_scale_f32 v6, null, v15, v15, v14
	v_div_scale_f32 v16, vcc_lo, v14, v15, v14
	v_rcp_f32_e32 v7, v6
	v_nop
	s_delay_alu instid0(TRANS32_DEP_1) | instskip(NEXT) | instid1(VALU_DEP_1)
	v_fma_f32 v8, -v6, v7, 1.0
	v_fmac_f32_e32 v7, v8, v7
	s_delay_alu instid0(VALU_DEP_1) | instskip(NEXT) | instid1(VALU_DEP_1)
	v_mul_f32_e32 v17, v16, v7
	v_fma_f32 v8, -v6, v17, v16
	s_delay_alu instid0(VALU_DEP_1) | instskip(SKIP_2) | instid1(VALU_DEP_3)
	v_fmac_f32_e32 v17, v8, v7
	v_pk_add_f32 v[8:9], v[4:5], v[2:3] neg_lo:[0,1] neg_hi:[0,1]
	v_pk_add_f32 v[4:5], v[2:3], v[4:5]
	v_dual_mov_b32 v5, v3 :: v_dual_fma_f32 v6, -v6, v17, v16
	s_delay_alu instid0(VALU_DEP_3) | instskip(NEXT) | instid1(VALU_DEP_2)
	v_mul_f32_e32 v8, v9, v9
	v_div_fmas_f32 v6, v6, v7, v17
	s_delay_alu instid0(VALU_DEP_2) | instskip(NEXT) | instid1(VALU_DEP_2)
	v_dual_mul_f32 v8, v12, v8 :: v_dual_mov_b32 v12, v15
	v_div_fixup_f32 v2, v6, v15, v14
	v_mov_b64_e32 v[6:7], -1
	s_delay_alu instid0(VALU_DEP_2)
	v_pk_fma_f32 v[2:3], v[8:9], v[2:3], v[4:5] op_sel_hi:[1,0,1]
.LBB7_15:
	s_or_b32 exec_lo, exec_lo, s5
	s_delay_alu instid0(VALU_DEP_2) | instskip(NEXT) | instid1(VALU_DEP_2)
	v_mov_b64_e32 v[8:9], v[6:7]
	v_mov_b64_e32 v[4:5], v[2:3]
	v_mov_b32_e32 v14, v12
.LBB7_16:
	s_or_b32 exec_lo, exec_lo, s4
	v_cmp_gt_u32_e32 vcc_lo, 30, v13
	s_mov_b32 s4, exec_lo
	v_cndmask_b32_e64 v2, 0, 2, vcc_lo
	s_delay_alu instid0(VALU_DEP_1)
	v_add_lshl_u32 v12, v2, v13, 2
	s_wait_dscnt 0x4
	ds_bpermute_b32 v3, v12, v5
	s_wait_dscnt 0x4
	ds_bpermute_b32 v2, v12, v4
	;; [unrolled: 2-line block ×5, first 2 shown]
	v_cmpx_neq_f32_e32 0, v14
	s_cbranch_execz .LBB7_20
; %bb.17:
	s_mov_b32 s5, exec_lo
	s_wait_dscnt 0x0
	v_cmpx_neq_f32_e32 0, v15
	s_cbranch_execz .LBB7_19
; %bb.18:
	v_add_f32_e32 v16, v14, v15
	s_delay_alu instid0(VALU_DEP_1) | instskip(SKIP_1) | instid1(VALU_DEP_2)
	v_div_scale_f32 v8, null, v16, v16, v15
	v_div_scale_f32 v17, vcc_lo, v15, v16, v15
	v_rcp_f32_e32 v9, v8
	v_nop
	s_delay_alu instid0(TRANS32_DEP_1) | instskip(NEXT) | instid1(VALU_DEP_1)
	v_fma_f32 v6, -v8, v9, 1.0
	v_fmac_f32_e32 v9, v6, v9
	s_delay_alu instid0(VALU_DEP_1) | instskip(NEXT) | instid1(VALU_DEP_1)
	v_mul_f32_e32 v18, v17, v9
	v_fma_f32 v6, -v8, v18, v17
	s_delay_alu instid0(VALU_DEP_1) | instskip(SKIP_2) | instid1(VALU_DEP_3)
	v_fmac_f32_e32 v18, v6, v9
	v_pk_add_f32 v[6:7], v[2:3], v[4:5] neg_lo:[0,1] neg_hi:[0,1]
	v_pk_add_f32 v[2:3], v[4:5], v[2:3]
	v_dual_mov_b32 v3, v5 :: v_dual_fma_f32 v6, -v8, v18, v17
	s_delay_alu instid0(VALU_DEP_3) | instskip(NEXT) | instid1(VALU_DEP_2)
	v_mul_f32_e32 v8, v7, v7
	v_div_fmas_f32 v9, v6, v9, v18
	s_delay_alu instid0(VALU_DEP_2) | instskip(NEXT) | instid1(VALU_DEP_2)
	v_dual_mul_f32 v6, v14, v8 :: v_dual_mov_b32 v14, v16
	v_div_fixup_f32 v4, v9, v16, v15
	v_mov_b64_e32 v[8:9], -1
	s_delay_alu instid0(VALU_DEP_2)
	v_pk_fma_f32 v[4:5], v[6:7], v[4:5], v[2:3] op_sel_hi:[1,0,1]
.LBB7_19:
	s_or_b32 exec_lo, exec_lo, s5
	s_delay_alu instid0(VALU_DEP_2) | instskip(NEXT) | instid1(VALU_DEP_2)
	v_mov_b64_e32 v[6:7], v[8:9]
	v_mov_b64_e32 v[2:3], v[4:5]
	v_mov_b32_e32 v15, v14
.LBB7_20:
	s_or_b32 exec_lo, exec_lo, s4
	v_cmp_ne_u32_e32 vcc_lo, 31, v13
	s_mov_b32 s4, exec_lo
	v_add_co_ci_u32_e64 v4, null, 0, v13, vcc_lo
	s_delay_alu instid0(VALU_DEP_1)
	v_lshlrev_b32_e32 v13, 2, v4
	s_wait_dscnt 0x4
	ds_bpermute_b32 v5, v13, v3
	s_wait_dscnt 0x4
	ds_bpermute_b32 v4, v13, v2
	;; [unrolled: 2-line block ×5, first 2 shown]
	v_cmpx_neq_f32_e32 0, v15
	s_cbranch_execz .LBB7_24
; %bb.21:
	s_mov_b32 s5, exec_lo
	s_wait_dscnt 0x0
	v_cmpx_neq_f32_e32 0, v14
	s_cbranch_execz .LBB7_23
; %bb.22:
	v_add_f32_e32 v16, v15, v14
	s_delay_alu instid0(VALU_DEP_1) | instskip(NEXT) | instid1(VALU_DEP_1)
	v_div_scale_f32 v6, null, v16, v16, v14
	v_rcp_f32_e32 v7, v6
	v_nop
	s_delay_alu instid0(TRANS32_DEP_1) | instskip(NEXT) | instid1(VALU_DEP_1)
	v_fma_f32 v8, -v6, v7, 1.0
	v_fmac_f32_e32 v7, v8, v7
	v_div_scale_f32 v17, vcc_lo, v14, v16, v14
	s_delay_alu instid0(VALU_DEP_1) | instskip(NEXT) | instid1(VALU_DEP_1)
	v_mul_f32_e32 v18, v17, v7
	v_fma_f32 v8, -v6, v18, v17
	s_delay_alu instid0(VALU_DEP_1) | instskip(SKIP_2) | instid1(VALU_DEP_2)
	v_fmac_f32_e32 v18, v8, v7
	v_pk_add_f32 v[8:9], v[4:5], v[2:3] neg_lo:[0,1] neg_hi:[0,1]
	v_pk_add_f32 v[4:5], v[2:3], v[4:5]
	v_dual_mov_b32 v5, v3 :: v_dual_mul_f32 v8, v9, v9
	s_delay_alu instid0(VALU_DEP_1) | instskip(SKIP_1) | instid1(VALU_DEP_2)
	v_dual_fma_f32 v6, -v6, v18, v17 :: v_dual_mul_f32 v8, v15, v8
	v_mov_b32_e32 v15, v16
	v_div_fmas_f32 v6, v6, v7, v18
	s_delay_alu instid0(VALU_DEP_1) | instskip(SKIP_1) | instid1(VALU_DEP_2)
	v_div_fixup_f32 v2, v6, v16, v14
	v_mov_b64_e32 v[6:7], -1
	v_pk_fma_f32 v[2:3], v[8:9], v[2:3], v[4:5] op_sel_hi:[1,0,1]
.LBB7_23:
	s_or_b32 exec_lo, exec_lo, s5
	s_delay_alu instid0(VALU_DEP_2) | instskip(NEXT) | instid1(VALU_DEP_2)
	v_mov_b64_e32 v[8:9], v[6:7]
	v_mov_b64_e32 v[4:5], v[2:3]
	v_mov_b32_e32 v14, v15
.LBB7_24:
	s_or_b32 exec_lo, exec_lo, s4
	v_and_b32_e32 v2, 31, v0
	s_mov_b32 s4, exec_lo
	s_wait_dscnt 0x0
	s_barrier_signal -1
	s_barrier_wait -1
	v_cmpx_eq_u32_e32 0, v2
	s_cbranch_execz .LBB7_26
; %bb.25:
	v_dual_mov_b32 v6, v5 :: v_dual_lshrrev_b32 v3, 5, v0
	v_mov_b32_e32 v7, v4
	s_delay_alu instid0(VALU_DEP_2)
	v_mul_u32_u24_e32 v3, 24, v3
	ds_store_2addr_b64 v3, v[6:7], v[8:9] offset1:1
	ds_store_b32 v3, v14 offset:16
.LBB7_26:
	s_or_b32 exec_lo, exec_lo, s4
	s_wait_dscnt 0x0
	s_barrier_signal -1
	s_barrier_wait -1
	s_load_b32 s4, s[0:1], 0x34
	v_mul_u32_u24_e32 v4, 24, v2
	v_dual_mov_b32 v2, 0 :: v_dual_mov_b32 v3, 0
	s_wait_kmcnt 0x0
	s_bfe_u32 s4, s4, 0xb0005
	s_delay_alu instid0(SALU_CYCLE_1)
	v_cmp_gt_u32_e32 vcc_lo, s4, v0
	s_and_saveexec_b32 s4, vcc_lo
	s_cbranch_execnz .LBB7_55
; %bb.27:
	s_or_b32 exec_lo, exec_lo, s4
	s_and_saveexec_b32 s4, vcc_lo
	s_cbranch_execnz .LBB7_56
.LBB7_28:
	s_or_b32 exec_lo, exec_lo, s4
	v_mov_b32_e32 v8, 0
	s_and_saveexec_b32 s4, vcc_lo
.LBB7_29:
	ds_load_b32 v8, v4 offset:16
.LBB7_30:
	s_or_b32 exec_lo, exec_lo, s4
	s_delay_alu instid0(SALU_CYCLE_1)
	s_mov_b32 s4, exec_lo
	v_cmpx_gt_u32_e32 32, v0
	s_cbranch_execz .LBB7_52
; %bb.31:
	s_wait_dscnt 0x0
	ds_bpermute_b32 v5, v10, v3
	ds_bpermute_b32 v4, v10, v2
	;; [unrolled: 1-line block ×3, first 2 shown]
	s_mov_b32 s5, exec_lo
	v_cmpx_neq_f32_e32 0, v8
	s_cbranch_execz .LBB7_35
; %bb.32:
	s_mov_b32 s10, exec_lo
	s_wait_dscnt 0x0
	v_cmpx_neq_f32_e32 0, v6
	s_cbranch_execz .LBB7_34
; %bb.33:
	v_add_f32_e32 v7, v8, v6
	s_delay_alu instid0(VALU_DEP_1) | instskip(SKIP_1) | instid1(VALU_DEP_2)
	v_div_scale_f32 v9, null, v7, v7, v6
	v_div_scale_f32 v15, vcc_lo, v6, v7, v6
	v_rcp_f32_e32 v10, v9
	v_nop
	s_delay_alu instid0(TRANS32_DEP_1) | instskip(NEXT) | instid1(VALU_DEP_1)
	v_fma_f32 v14, -v9, v10, 1.0
	v_fmac_f32_e32 v10, v14, v10
	s_delay_alu instid0(VALU_DEP_1) | instskip(NEXT) | instid1(VALU_DEP_1)
	v_mul_f32_e32 v16, v15, v10
	v_fma_f32 v14, -v9, v16, v15
	s_delay_alu instid0(VALU_DEP_1) | instskip(NEXT) | instid1(VALU_DEP_1)
	v_fmac_f32_e32 v16, v14, v10
	v_fma_f32 v9, -v9, v16, v15
	v_pk_add_f32 v[14:15], v[4:5], v[2:3] neg_lo:[0,1] neg_hi:[0,1]
	v_add_f32_e32 v2, v2, v4
	s_delay_alu instid0(VALU_DEP_3) | instskip(NEXT) | instid1(VALU_DEP_3)
	v_div_fmas_f32 v5, v9, v10, v16
	v_mul_f32_e32 v9, v15, v15
	s_delay_alu instid0(VALU_DEP_2) | instskip(NEXT) | instid1(VALU_DEP_2)
	v_div_fixup_f32 v14, v5, v7, v6
	v_dual_mul_f32 v4, v8, v9 :: v_dual_mov_b32 v8, v7
	s_delay_alu instid0(VALU_DEP_2) | instskip(NEXT) | instid1(VALU_DEP_1)
	v_mov_b32_e32 v5, v14
	v_pk_fma_f32 v[2:3], v[14:15], v[4:5], v[2:3]
.LBB7_34:
	s_or_b32 exec_lo, exec_lo, s10
	s_delay_alu instid0(VALU_DEP_1)
	v_mov_b64_e32 v[4:5], v[2:3]
	v_mov_b32_e32 v6, v8
.LBB7_35:
	s_or_b32 exec_lo, exec_lo, s5
	s_wait_dscnt 0x2
	ds_bpermute_b32 v3, v1, v5
	s_wait_dscnt 0x2
	ds_bpermute_b32 v2, v1, v4
	;; [unrolled: 2-line block ×3, first 2 shown]
	s_mov_b32 s5, exec_lo
	v_cmpx_neq_f32_e32 0, v6
	s_cbranch_execz .LBB7_39
; %bb.36:
	s_mov_b32 s10, exec_lo
	s_wait_dscnt 0x0
	v_cmpx_neq_f32_e32 0, v1
	s_cbranch_execz .LBB7_38
; %bb.37:
	v_add_f32_e32 v7, v6, v1
	s_delay_alu instid0(VALU_DEP_1) | instskip(NEXT) | instid1(VALU_DEP_1)
	v_div_scale_f32 v10, null, v7, v7, v1
	v_rcp_f32_e32 v14, v10
	v_nop
	s_delay_alu instid0(TRANS32_DEP_1) | instskip(NEXT) | instid1(VALU_DEP_1)
	v_fma_f32 v8, -v10, v14, 1.0
	v_fmac_f32_e32 v14, v8, v14
	v_div_scale_f32 v15, vcc_lo, v1, v7, v1
	s_delay_alu instid0(VALU_DEP_1) | instskip(NEXT) | instid1(VALU_DEP_1)
	v_mul_f32_e32 v16, v15, v14
	v_fma_f32 v8, -v10, v16, v15
	s_delay_alu instid0(VALU_DEP_1) | instskip(SKIP_2) | instid1(VALU_DEP_3)
	v_fmac_f32_e32 v16, v8, v14
	v_pk_add_f32 v[8:9], v[2:3], v[4:5] neg_lo:[0,1] neg_hi:[0,1]
	v_pk_add_f32 v[2:3], v[4:5], v[2:3]
	v_dual_mov_b32 v3, v5 :: v_dual_fma_f32 v8, -v10, v16, v15
	s_delay_alu instid0(VALU_DEP_3) | instskip(NEXT) | instid1(VALU_DEP_2)
	v_mul_f32_e32 v10, v9, v9
	v_div_fmas_f32 v14, v8, v14, v16
	s_delay_alu instid0(VALU_DEP_2) | instskip(NEXT) | instid1(VALU_DEP_2)
	v_dual_mul_f32 v8, v6, v10 :: v_dual_mov_b32 v6, v7
	v_div_fixup_f32 v4, v14, v7, v1
	s_delay_alu instid0(VALU_DEP_1)
	v_pk_fma_f32 v[4:5], v[8:9], v[4:5], v[2:3] op_sel_hi:[1,0,1]
.LBB7_38:
	s_or_b32 exec_lo, exec_lo, s10
	s_delay_alu instid0(VALU_DEP_1)
	v_mov_b64_e32 v[2:3], v[4:5]
	v_mov_b32_e32 v1, v6
.LBB7_39:
	s_or_b32 exec_lo, exec_lo, s5
	s_wait_dscnt 0x2
	ds_bpermute_b32 v5, v11, v3
	s_wait_dscnt 0x2
	ds_bpermute_b32 v4, v11, v2
	;; [unrolled: 2-line block ×3, first 2 shown]
	s_mov_b32 s5, exec_lo
	v_cmpx_neq_f32_e32 0, v1
	s_cbranch_execz .LBB7_43
; %bb.40:
	s_mov_b32 s10, exec_lo
	s_wait_dscnt 0x0
	v_cmpx_neq_f32_e32 0, v8
	s_cbranch_execz .LBB7_42
; %bb.41:
	v_add_f32_e32 v9, v1, v8
	s_delay_alu instid0(VALU_DEP_1) | instskip(NEXT) | instid1(VALU_DEP_1)
	v_div_scale_f32 v10, null, v9, v9, v8
	v_rcp_f32_e32 v11, v10
	v_nop
	s_delay_alu instid0(TRANS32_DEP_1) | instskip(NEXT) | instid1(VALU_DEP_1)
	v_fma_f32 v6, -v10, v11, 1.0
	v_fmac_f32_e32 v11, v6, v11
	v_div_scale_f32 v14, vcc_lo, v8, v9, v8
	s_delay_alu instid0(VALU_DEP_1) | instskip(NEXT) | instid1(VALU_DEP_1)
	v_mul_f32_e32 v15, v14, v11
	v_fma_f32 v6, -v10, v15, v14
	s_delay_alu instid0(VALU_DEP_1) | instskip(SKIP_2) | instid1(VALU_DEP_3)
	v_fmac_f32_e32 v15, v6, v11
	v_pk_add_f32 v[6:7], v[4:5], v[2:3] neg_lo:[0,1] neg_hi:[0,1]
	v_pk_add_f32 v[4:5], v[2:3], v[4:5]
	v_dual_mov_b32 v5, v3 :: v_dual_fma_f32 v6, -v10, v15, v14
	s_delay_alu instid0(VALU_DEP_3) | instskip(NEXT) | instid1(VALU_DEP_2)
	v_mul_f32_e32 v10, v7, v7
	v_div_fmas_f32 v11, v6, v11, v15
	s_delay_alu instid0(VALU_DEP_2) | instskip(SKIP_1) | instid1(VALU_DEP_3)
	v_mul_f32_e32 v6, v1, v10
	v_mov_b32_e32 v1, v9
	v_div_fixup_f32 v2, v11, v9, v8
	s_delay_alu instid0(VALU_DEP_1)
	v_pk_fma_f32 v[2:3], v[6:7], v[2:3], v[4:5] op_sel_hi:[1,0,1]
.LBB7_42:
	s_or_b32 exec_lo, exec_lo, s10
	s_delay_alu instid0(VALU_DEP_1)
	v_mov_b64_e32 v[4:5], v[2:3]
	v_mov_b32_e32 v8, v1
.LBB7_43:
	s_or_b32 exec_lo, exec_lo, s5
	s_wait_dscnt 0x2
	ds_bpermute_b32 v7, v12, v5
	s_wait_dscnt 0x2
	ds_bpermute_b32 v6, v12, v4
	;; [unrolled: 2-line block ×3, first 2 shown]
	s_mov_b32 s5, exec_lo
	v_cmpx_neq_f32_e32 0, v8
	s_cbranch_execz .LBB7_47
; %bb.44:
	s_mov_b32 s10, exec_lo
	s_wait_dscnt 0x0
	v_cmpx_neq_f32_e32 0, v1
	s_cbranch_execz .LBB7_46
; %bb.45:
	v_add_f32_e32 v9, v8, v1
	s_delay_alu instid0(VALU_DEP_1) | instskip(NEXT) | instid1(VALU_DEP_1)
	v_div_scale_f32 v10, null, v9, v9, v1
	v_rcp_f32_e32 v11, v10
	v_nop
	s_delay_alu instid0(TRANS32_DEP_1) | instskip(NEXT) | instid1(VALU_DEP_1)
	v_fma_f32 v2, -v10, v11, 1.0
	v_fmac_f32_e32 v11, v2, v11
	v_div_scale_f32 v12, vcc_lo, v1, v9, v1
	s_delay_alu instid0(VALU_DEP_1) | instskip(NEXT) | instid1(VALU_DEP_1)
	v_mul_f32_e32 v14, v12, v11
	v_fma_f32 v2, -v10, v14, v12
	s_delay_alu instid0(VALU_DEP_1) | instskip(SKIP_2) | instid1(VALU_DEP_3)
	v_fmac_f32_e32 v14, v2, v11
	v_pk_add_f32 v[2:3], v[6:7], v[4:5] neg_lo:[0,1] neg_hi:[0,1]
	v_pk_add_f32 v[6:7], v[4:5], v[6:7]
	v_dual_mov_b32 v7, v5 :: v_dual_fma_f32 v2, -v10, v14, v12
	s_delay_alu instid0(VALU_DEP_3) | instskip(NEXT) | instid1(VALU_DEP_2)
	v_mul_f32_e32 v10, v3, v3
	v_div_fmas_f32 v11, v2, v11, v14
	s_delay_alu instid0(VALU_DEP_2) | instskip(NEXT) | instid1(VALU_DEP_2)
	v_dual_mul_f32 v2, v8, v10 :: v_dual_mov_b32 v8, v9
	v_div_fixup_f32 v4, v11, v9, v1
	s_delay_alu instid0(VALU_DEP_1)
	v_pk_fma_f32 v[4:5], v[2:3], v[4:5], v[6:7] op_sel_hi:[1,0,1]
.LBB7_46:
	s_or_b32 exec_lo, exec_lo, s10
	s_delay_alu instid0(VALU_DEP_1)
	v_mov_b64_e32 v[6:7], v[4:5]
	v_mov_b32_e32 v1, v8
.LBB7_47:
	s_or_b32 exec_lo, exec_lo, s5
	s_wait_dscnt 0x2
	ds_bpermute_b32 v3, v13, v7
	s_wait_dscnt 0x2
	ds_bpermute_b32 v2, v13, v6
	;; [unrolled: 2-line block ×3, first 2 shown]
	s_mov_b32 s5, exec_lo
	v_cmpx_neq_f32_e32 0, v1
	s_cbranch_execz .LBB7_51
; %bb.48:
	s_mov_b32 s10, exec_lo
	s_wait_dscnt 0x0
	v_cmpx_neq_f32_e32 0, v8
	s_cbranch_execz .LBB7_50
; %bb.49:
	v_add_f32_e32 v9, v1, v8
	s_delay_alu instid0(VALU_DEP_1) | instskip(NEXT) | instid1(VALU_DEP_1)
	v_div_scale_f32 v10, null, v9, v9, v8
	v_rcp_f32_e32 v11, v10
	v_nop
	s_delay_alu instid0(TRANS32_DEP_1) | instskip(NEXT) | instid1(VALU_DEP_1)
	v_fma_f32 v4, -v10, v11, 1.0
	v_fmac_f32_e32 v11, v4, v11
	v_div_scale_f32 v12, vcc_lo, v8, v9, v8
	s_delay_alu instid0(VALU_DEP_1) | instskip(NEXT) | instid1(VALU_DEP_1)
	v_mul_f32_e32 v13, v12, v11
	v_fma_f32 v4, -v10, v13, v12
	s_delay_alu instid0(VALU_DEP_1) | instskip(SKIP_2) | instid1(VALU_DEP_3)
	v_fmac_f32_e32 v13, v4, v11
	v_pk_add_f32 v[4:5], v[2:3], v[6:7] neg_lo:[0,1] neg_hi:[0,1]
	v_pk_add_f32 v[2:3], v[6:7], v[2:3]
	v_dual_mov_b32 v3, v7 :: v_dual_fma_f32 v4, -v10, v13, v12
	s_delay_alu instid0(VALU_DEP_3) | instskip(NEXT) | instid1(VALU_DEP_2)
	v_mul_f32_e32 v10, v5, v5
	v_div_fmas_f32 v11, v4, v11, v13
	s_delay_alu instid0(VALU_DEP_2) | instskip(SKIP_1) | instid1(VALU_DEP_3)
	v_mul_f32_e32 v4, v1, v10
	v_mov_b32_e32 v1, v9
	v_div_fixup_f32 v6, v11, v9, v8
	s_delay_alu instid0(VALU_DEP_1)
	v_pk_fma_f32 v[6:7], v[4:5], v[6:7], v[2:3] op_sel_hi:[1,0,1]
.LBB7_50:
	s_or_b32 exec_lo, exec_lo, s10
	s_delay_alu instid0(VALU_DEP_1)
	v_mov_b64_e32 v[2:3], v[6:7]
	v_mov_b32_e32 v8, v1
.LBB7_51:
	s_or_b32 exec_lo, exec_lo, s5
.LBB7_52:
	s_delay_alu instid0(SALU_CYCLE_1) | instskip(NEXT) | instid1(SALU_CYCLE_1)
	s_or_b32 exec_lo, exec_lo, s4
	s_mov_b32 s4, exec_lo
	v_cmpx_eq_u32_e32 0, v0
	s_cbranch_execz .LBB7_54
; %bb.53:
	s_wait_dscnt 0x0
	v_max_num_f32_e32 v0, v8, v8
	s_load_b32 s0, s[0:1], 0x8
	s_delay_alu instid0(VALU_DEP_1) | instskip(NEXT) | instid1(VALU_DEP_1)
	v_max_num_f32_e32 v0, 0, v0
	v_div_scale_f32 v1, null, v0, v0, v2
	s_delay_alu instid0(VALU_DEP_1) | instskip(SKIP_1) | instid1(TRANS32_DEP_1)
	v_rcp_f32_e32 v4, v1
	v_nop
	v_fma_f32 v5, -v1, v4, 1.0
	s_delay_alu instid0(VALU_DEP_1) | instskip(SKIP_1) | instid1(VALU_DEP_1)
	v_fmac_f32_e32 v4, v5, v4
	v_div_scale_f32 v5, vcc_lo, v2, v0, v2
	v_mul_f32_e32 v6, v5, v4
	s_delay_alu instid0(VALU_DEP_1) | instskip(NEXT) | instid1(VALU_DEP_1)
	v_fma_f32 v7, -v1, v6, v5
	v_fmac_f32_e32 v6, v7, v4
	s_delay_alu instid0(VALU_DEP_1) | instskip(NEXT) | instid1(VALU_DEP_1)
	v_fma_f32 v1, -v1, v6, v5
	v_div_fmas_f32 v1, v1, v4, v6
	s_delay_alu instid0(VALU_DEP_1) | instskip(SKIP_1) | instid1(VALU_DEP_1)
	v_div_fixup_f32 v0, v1, v0, v2
	s_wait_kmcnt 0x0
	v_dual_mov_b32 v2, 0 :: v_dual_add_f32 v0, s0, v0
	s_lshl_b64 s[0:1], s[8:9], 2
	s_delay_alu instid0(SALU_CYCLE_1) | instskip(SKIP_1) | instid1(VALU_DEP_1)
	s_add_nc_u64 s[4:5], s[6:7], s[0:1]
	s_add_nc_u64 s[0:1], s[2:3], s[0:1]
	v_mul_f32_e32 v1, 0x4b800000, v0
	v_cmp_gt_f32_e32 vcc_lo, 0x800000, v0
	s_delay_alu instid0(VALU_DEP_2) | instskip(NEXT) | instid1(VALU_DEP_1)
	v_cndmask_b32_e32 v0, v0, v1, vcc_lo
	v_rsq_f32_e32 v0, v0
	v_nop
	s_delay_alu instid0(TRANS32_DEP_1) | instskip(NEXT) | instid1(VALU_DEP_1)
	v_mul_f32_e32 v1, 0x45800000, v0
	v_cndmask_b32_e32 v0, v0, v1, vcc_lo
	s_clause 0x1
	global_store_b32 v2, v3, s[4:5]
	global_store_b32 v2, v0, s[0:1]
.LBB7_54:
	s_endpgm
.LBB7_55:
	ds_load_b32 v3, v4
	s_or_b32 exec_lo, exec_lo, s4
	s_and_saveexec_b32 s4, vcc_lo
	s_cbranch_execz .LBB7_28
.LBB7_56:
	ds_load_b32 v2, v4 offset:4
	s_or_b32 exec_lo, exec_lo, s4
	v_mov_b32_e32 v8, 0
	s_and_saveexec_b32 s4, vcc_lo
	s_cbranch_execnz .LBB7_29
	s_branch .LBB7_30
	.section	.rodata,"a",@progbits
	.p2align	6, 0x0
	.amdhsa_kernel _ZN2at6native12_GLOBAL__N_124RowwiseMomentsCUDAKernelIN3c104HalfEfLb0EEEvlT0_PKT_PS5_S9_
		.amdhsa_group_segment_fixed_size 768
		.amdhsa_private_segment_fixed_size 0
		.amdhsa_kernarg_size 296
		.amdhsa_user_sgpr_count 2
		.amdhsa_user_sgpr_dispatch_ptr 0
		.amdhsa_user_sgpr_queue_ptr 0
		.amdhsa_user_sgpr_kernarg_segment_ptr 1
		.amdhsa_user_sgpr_dispatch_id 0
		.amdhsa_user_sgpr_kernarg_preload_length 0
		.amdhsa_user_sgpr_kernarg_preload_offset 0
		.amdhsa_user_sgpr_private_segment_size 0
		.amdhsa_wavefront_size32 1
		.amdhsa_uses_dynamic_stack 0
		.amdhsa_enable_private_segment 0
		.amdhsa_system_sgpr_workgroup_id_x 1
		.amdhsa_system_sgpr_workgroup_id_y 0
		.amdhsa_system_sgpr_workgroup_id_z 0
		.amdhsa_system_sgpr_workgroup_info 0
		.amdhsa_system_vgpr_workitem_id 0
		.amdhsa_next_free_vgpr 19
		.amdhsa_next_free_sgpr 21
		.amdhsa_named_barrier_count 0
		.amdhsa_reserve_vcc 1
		.amdhsa_float_round_mode_32 0
		.amdhsa_float_round_mode_16_64 0
		.amdhsa_float_denorm_mode_32 3
		.amdhsa_float_denorm_mode_16_64 3
		.amdhsa_fp16_overflow 0
		.amdhsa_memory_ordered 1
		.amdhsa_forward_progress 1
		.amdhsa_inst_pref_size 28
		.amdhsa_round_robin_scheduling 0
		.amdhsa_exception_fp_ieee_invalid_op 0
		.amdhsa_exception_fp_denorm_src 0
		.amdhsa_exception_fp_ieee_div_zero 0
		.amdhsa_exception_fp_ieee_overflow 0
		.amdhsa_exception_fp_ieee_underflow 0
		.amdhsa_exception_fp_ieee_inexact 0
		.amdhsa_exception_int_div_zero 0
	.end_amdhsa_kernel
	.section	.text._ZN2at6native12_GLOBAL__N_124RowwiseMomentsCUDAKernelIN3c104HalfEfLb0EEEvlT0_PKT_PS5_S9_,"axG",@progbits,_ZN2at6native12_GLOBAL__N_124RowwiseMomentsCUDAKernelIN3c104HalfEfLb0EEEvlT0_PKT_PS5_S9_,comdat
.Lfunc_end7:
	.size	_ZN2at6native12_GLOBAL__N_124RowwiseMomentsCUDAKernelIN3c104HalfEfLb0EEEvlT0_PKT_PS5_S9_, .Lfunc_end7-_ZN2at6native12_GLOBAL__N_124RowwiseMomentsCUDAKernelIN3c104HalfEfLb0EEEvlT0_PKT_PS5_S9_
                                        ; -- End function
	.set _ZN2at6native12_GLOBAL__N_124RowwiseMomentsCUDAKernelIN3c104HalfEfLb0EEEvlT0_PKT_PS5_S9_.num_vgpr, 19
	.set _ZN2at6native12_GLOBAL__N_124RowwiseMomentsCUDAKernelIN3c104HalfEfLb0EEEvlT0_PKT_PS5_S9_.num_agpr, 0
	.set _ZN2at6native12_GLOBAL__N_124RowwiseMomentsCUDAKernelIN3c104HalfEfLb0EEEvlT0_PKT_PS5_S9_.numbered_sgpr, 21
	.set _ZN2at6native12_GLOBAL__N_124RowwiseMomentsCUDAKernelIN3c104HalfEfLb0EEEvlT0_PKT_PS5_S9_.num_named_barrier, 0
	.set _ZN2at6native12_GLOBAL__N_124RowwiseMomentsCUDAKernelIN3c104HalfEfLb0EEEvlT0_PKT_PS5_S9_.private_seg_size, 0
	.set _ZN2at6native12_GLOBAL__N_124RowwiseMomentsCUDAKernelIN3c104HalfEfLb0EEEvlT0_PKT_PS5_S9_.uses_vcc, 1
	.set _ZN2at6native12_GLOBAL__N_124RowwiseMomentsCUDAKernelIN3c104HalfEfLb0EEEvlT0_PKT_PS5_S9_.uses_flat_scratch, 0
	.set _ZN2at6native12_GLOBAL__N_124RowwiseMomentsCUDAKernelIN3c104HalfEfLb0EEEvlT0_PKT_PS5_S9_.has_dyn_sized_stack, 0
	.set _ZN2at6native12_GLOBAL__N_124RowwiseMomentsCUDAKernelIN3c104HalfEfLb0EEEvlT0_PKT_PS5_S9_.has_recursion, 0
	.set _ZN2at6native12_GLOBAL__N_124RowwiseMomentsCUDAKernelIN3c104HalfEfLb0EEEvlT0_PKT_PS5_S9_.has_indirect_call, 0
	.section	.AMDGPU.csdata,"",@progbits
; Kernel info:
; codeLenInByte = 3468
; TotalNumSgprs: 23
; NumVgprs: 19
; ScratchSize: 0
; MemoryBound: 0
; FloatMode: 240
; IeeeMode: 1
; LDSByteSize: 768 bytes/workgroup (compile time only)
; SGPRBlocks: 0
; VGPRBlocks: 1
; NumSGPRsForWavesPerEU: 23
; NumVGPRsForWavesPerEU: 19
; NamedBarCnt: 0
; Occupancy: 16
; WaveLimiterHint : 0
; COMPUTE_PGM_RSRC2:SCRATCH_EN: 0
; COMPUTE_PGM_RSRC2:USER_SGPR: 2
; COMPUTE_PGM_RSRC2:TRAP_HANDLER: 0
; COMPUTE_PGM_RSRC2:TGID_X_EN: 1
; COMPUTE_PGM_RSRC2:TGID_Y_EN: 0
; COMPUTE_PGM_RSRC2:TGID_Z_EN: 0
; COMPUTE_PGM_RSRC2:TIDIG_COMP_CNT: 0
	.section	.text._ZN2at6native12_GLOBAL__N_126LayerNormForwardCUDAKernelIN3c104HalfEfLb0EEEvlPKT_PKT0_SA_S7_S7_PS5_,"axG",@progbits,_ZN2at6native12_GLOBAL__N_126LayerNormForwardCUDAKernelIN3c104HalfEfLb0EEEvlPKT_PKT0_SA_S7_S7_PS5_,comdat
	.globl	_ZN2at6native12_GLOBAL__N_126LayerNormForwardCUDAKernelIN3c104HalfEfLb0EEEvlPKT_PKT0_SA_S7_S7_PS5_ ; -- Begin function _ZN2at6native12_GLOBAL__N_126LayerNormForwardCUDAKernelIN3c104HalfEfLb0EEEvlPKT_PKT0_SA_S7_S7_PS5_
	.p2align	8
	.type	_ZN2at6native12_GLOBAL__N_126LayerNormForwardCUDAKernelIN3c104HalfEfLb0EEEvlPKT_PKT0_SA_S7_S7_PS5_,@function
_ZN2at6native12_GLOBAL__N_126LayerNormForwardCUDAKernelIN3c104HalfEfLb0EEEvlPKT_PKT0_SA_S7_S7_PS5_: ; @_ZN2at6native12_GLOBAL__N_126LayerNormForwardCUDAKernelIN3c104HalfEfLb0EEEvlPKT_PKT0_SA_S7_S7_PS5_
; %bb.0:
	s_load_b256 s[4:11], s[0:1], 0x0
	v_mov_b32_e32 v1, 0
	s_mov_b32 s2, exec_lo
	s_wait_kmcnt 0x0
	s_delay_alu instid0(VALU_DEP_1)
	v_cmpx_gt_i64_e64 s[4:5], v[0:1]
	s_cbranch_execz .LBB8_8
; %bb.1:
	s_bfe_u32 s2, ttmp6, 0x4000c
	s_load_b256 s[12:19], s[0:1], 0x20
	s_add_co_i32 s2, s2, 1
	s_and_b32 s3, ttmp6, 15
	s_mul_i32 s2, ttmp9, s2
	s_wait_kmcnt 0x0
	s_getreg_b32 s18, hwreg(HW_REG_IB_STS2, 6, 4)
	s_add_co_i32 s3, s3, s2
	s_load_b32 s20, s[0:1], 0x44
	s_cmp_eq_u32 s18, 0
	s_wait_xcnt 0x0
	s_mov_b32 s1, 0
	s_cselect_b32 s0, ttmp9, s3
	s_load_b32 s18, s[8:9], s0 offset:0x0 scale_offset
	s_load_b32 s19, s[10:11], s0 offset:0x0 scale_offset
	s_wait_xcnt 0x0
	s_mul_u64 s[8:9], s[4:5], s[0:1]
	v_dual_mov_b32 v3, v1 :: v_dual_lshlrev_b32 v2, 1, v0
	s_mov_b32 s3, s1
	s_cmp_lg_u64 s[12:13], 0
	s_cselect_b32 s10, -1, 0
	s_cmp_lg_u64 s[14:15], 0
	s_cselect_b32 s11, -1, 0
	s_lshl_b64 s[8:9], s[8:9], 1
	s_wait_kmcnt 0x0
	s_and_b32 s2, s20, 0xffff
	s_add_nc_u64 s[6:7], s[6:7], s[8:9]
	s_lshl_b32 s0, s2, 1
	s_add_nc_u64 s[8:9], s[16:17], s[8:9]
	s_mov_b32 s16, s1
	s_branch .LBB8_4
.LBB8_2:                                ;   in Loop: Header=BB8_4 Depth=1
	v_add_nc_u64_e32 v[6:7], s[14:15], v[2:3]
	global_load_u16 v5, v[6:7], off
	s_wait_loadcnt 0x0
	v_cvt_f32_f16_e32 v5, v5
.LBB8_3:                                ;   in Loop: Header=BB8_4 Depth=1
	s_wait_xcnt 0x0
	v_add_nc_u64_e32 v[6:7], s[6:7], v[2:3]
	v_add_nc_u64_e32 v[0:1], s[2:3], v[0:1]
	global_load_u16 v6, v[6:7], off
	v_cmp_le_i64_e32 vcc_lo, s[4:5], v[0:1]
	s_or_b32 s16, vcc_lo, s16
	s_wait_loadcnt 0x0
	s_wait_xcnt 0x0
	v_cvt_f32_f16_e32 v6, v6
	s_delay_alu instid0(VALU_DEP_1) | instskip(NEXT) | instid1(VALU_DEP_1)
	v_subrev_f32_e32 v6, s18, v6
	v_mul_f32_e32 v8, s19, v6
	v_add_nc_u64_e32 v[6:7], s[8:9], v[2:3]
	v_add_nc_u64_e32 v[2:3], s[0:1], v[2:3]
	s_delay_alu instid0(VALU_DEP_3)
	v_fma_mixlo_f16 v4, v4, v8, v5
	global_store_b16 v[6:7], v4, off
	s_wait_xcnt 0x0
	s_and_not1_b32 exec_lo, exec_lo, s16
	s_cbranch_execz .LBB8_8
.LBB8_4:                                ; =>This Inner Loop Header: Depth=1
	s_and_not1_b32 vcc_lo, exec_lo, s10
	s_cbranch_vccnz .LBB8_6
; %bb.5:                                ;   in Loop: Header=BB8_4 Depth=1
	v_add_nc_u64_e32 v[4:5], s[12:13], v[2:3]
	global_load_u16 v4, v[4:5], off
	s_wait_loadcnt 0x0
	s_wait_xcnt 0x0
	v_cvt_f32_f16_e32 v4, v4
	s_and_not1_b32 vcc_lo, exec_lo, s11
	s_cbranch_vccz .LBB8_2
	s_branch .LBB8_7
.LBB8_6:                                ;   in Loop: Header=BB8_4 Depth=1
	v_mov_b32_e32 v4, 1.0
	s_and_not1_b32 vcc_lo, exec_lo, s11
	s_cbranch_vccz .LBB8_2
.LBB8_7:                                ;   in Loop: Header=BB8_4 Depth=1
	v_mov_b32_e32 v5, 0
	s_branch .LBB8_3
.LBB8_8:
	s_endpgm
	.section	.rodata,"a",@progbits
	.p2align	6, 0x0
	.amdhsa_kernel _ZN2at6native12_GLOBAL__N_126LayerNormForwardCUDAKernelIN3c104HalfEfLb0EEEvlPKT_PKT0_SA_S7_S7_PS5_
		.amdhsa_group_segment_fixed_size 0
		.amdhsa_private_segment_fixed_size 0
		.amdhsa_kernarg_size 312
		.amdhsa_user_sgpr_count 2
		.amdhsa_user_sgpr_dispatch_ptr 0
		.amdhsa_user_sgpr_queue_ptr 0
		.amdhsa_user_sgpr_kernarg_segment_ptr 1
		.amdhsa_user_sgpr_dispatch_id 0
		.amdhsa_user_sgpr_kernarg_preload_length 0
		.amdhsa_user_sgpr_kernarg_preload_offset 0
		.amdhsa_user_sgpr_private_segment_size 0
		.amdhsa_wavefront_size32 1
		.amdhsa_uses_dynamic_stack 0
		.amdhsa_enable_private_segment 0
		.amdhsa_system_sgpr_workgroup_id_x 1
		.amdhsa_system_sgpr_workgroup_id_y 0
		.amdhsa_system_sgpr_workgroup_id_z 0
		.amdhsa_system_sgpr_workgroup_info 0
		.amdhsa_system_vgpr_workitem_id 0
		.amdhsa_next_free_vgpr 9
		.amdhsa_next_free_sgpr 21
		.amdhsa_named_barrier_count 0
		.amdhsa_reserve_vcc 1
		.amdhsa_float_round_mode_32 0
		.amdhsa_float_round_mode_16_64 0
		.amdhsa_float_denorm_mode_32 3
		.amdhsa_float_denorm_mode_16_64 3
		.amdhsa_fp16_overflow 0
		.amdhsa_memory_ordered 1
		.amdhsa_forward_progress 1
		.amdhsa_inst_pref_size 3
		.amdhsa_round_robin_scheduling 0
		.amdhsa_exception_fp_ieee_invalid_op 0
		.amdhsa_exception_fp_denorm_src 0
		.amdhsa_exception_fp_ieee_div_zero 0
		.amdhsa_exception_fp_ieee_overflow 0
		.amdhsa_exception_fp_ieee_underflow 0
		.amdhsa_exception_fp_ieee_inexact 0
		.amdhsa_exception_int_div_zero 0
	.end_amdhsa_kernel
	.section	.text._ZN2at6native12_GLOBAL__N_126LayerNormForwardCUDAKernelIN3c104HalfEfLb0EEEvlPKT_PKT0_SA_S7_S7_PS5_,"axG",@progbits,_ZN2at6native12_GLOBAL__N_126LayerNormForwardCUDAKernelIN3c104HalfEfLb0EEEvlPKT_PKT0_SA_S7_S7_PS5_,comdat
.Lfunc_end8:
	.size	_ZN2at6native12_GLOBAL__N_126LayerNormForwardCUDAKernelIN3c104HalfEfLb0EEEvlPKT_PKT0_SA_S7_S7_PS5_, .Lfunc_end8-_ZN2at6native12_GLOBAL__N_126LayerNormForwardCUDAKernelIN3c104HalfEfLb0EEEvlPKT_PKT0_SA_S7_S7_PS5_
                                        ; -- End function
	.set _ZN2at6native12_GLOBAL__N_126LayerNormForwardCUDAKernelIN3c104HalfEfLb0EEEvlPKT_PKT0_SA_S7_S7_PS5_.num_vgpr, 9
	.set _ZN2at6native12_GLOBAL__N_126LayerNormForwardCUDAKernelIN3c104HalfEfLb0EEEvlPKT_PKT0_SA_S7_S7_PS5_.num_agpr, 0
	.set _ZN2at6native12_GLOBAL__N_126LayerNormForwardCUDAKernelIN3c104HalfEfLb0EEEvlPKT_PKT0_SA_S7_S7_PS5_.numbered_sgpr, 21
	.set _ZN2at6native12_GLOBAL__N_126LayerNormForwardCUDAKernelIN3c104HalfEfLb0EEEvlPKT_PKT0_SA_S7_S7_PS5_.num_named_barrier, 0
	.set _ZN2at6native12_GLOBAL__N_126LayerNormForwardCUDAKernelIN3c104HalfEfLb0EEEvlPKT_PKT0_SA_S7_S7_PS5_.private_seg_size, 0
	.set _ZN2at6native12_GLOBAL__N_126LayerNormForwardCUDAKernelIN3c104HalfEfLb0EEEvlPKT_PKT0_SA_S7_S7_PS5_.uses_vcc, 1
	.set _ZN2at6native12_GLOBAL__N_126LayerNormForwardCUDAKernelIN3c104HalfEfLb0EEEvlPKT_PKT0_SA_S7_S7_PS5_.uses_flat_scratch, 0
	.set _ZN2at6native12_GLOBAL__N_126LayerNormForwardCUDAKernelIN3c104HalfEfLb0EEEvlPKT_PKT0_SA_S7_S7_PS5_.has_dyn_sized_stack, 0
	.set _ZN2at6native12_GLOBAL__N_126LayerNormForwardCUDAKernelIN3c104HalfEfLb0EEEvlPKT_PKT0_SA_S7_S7_PS5_.has_recursion, 0
	.set _ZN2at6native12_GLOBAL__N_126LayerNormForwardCUDAKernelIN3c104HalfEfLb0EEEvlPKT_PKT0_SA_S7_S7_PS5_.has_indirect_call, 0
	.section	.AMDGPU.csdata,"",@progbits
; Kernel info:
; codeLenInByte = 384
; TotalNumSgprs: 23
; NumVgprs: 9
; ScratchSize: 0
; MemoryBound: 0
; FloatMode: 240
; IeeeMode: 1
; LDSByteSize: 0 bytes/workgroup (compile time only)
; SGPRBlocks: 0
; VGPRBlocks: 0
; NumSGPRsForWavesPerEU: 23
; NumVGPRsForWavesPerEU: 9
; NamedBarCnt: 0
; Occupancy: 16
; WaveLimiterHint : 0
; COMPUTE_PGM_RSRC2:SCRATCH_EN: 0
; COMPUTE_PGM_RSRC2:USER_SGPR: 2
; COMPUTE_PGM_RSRC2:TRAP_HANDLER: 0
; COMPUTE_PGM_RSRC2:TGID_X_EN: 1
; COMPUTE_PGM_RSRC2:TGID_Y_EN: 0
; COMPUTE_PGM_RSRC2:TGID_Z_EN: 0
; COMPUTE_PGM_RSRC2:TIDIG_COMP_CNT: 0
	.section	.text._ZN2at6native12_GLOBAL__N_128vectorized_layer_norm_kernelIN3c108BFloat16EfLb0EEEviT0_PKT_S8_S8_PS5_S9_PS6_,"axG",@progbits,_ZN2at6native12_GLOBAL__N_128vectorized_layer_norm_kernelIN3c108BFloat16EfLb0EEEviT0_PKT_S8_S8_PS5_S9_PS6_,comdat
	.globl	_ZN2at6native12_GLOBAL__N_128vectorized_layer_norm_kernelIN3c108BFloat16EfLb0EEEviT0_PKT_S8_S8_PS5_S9_PS6_ ; -- Begin function _ZN2at6native12_GLOBAL__N_128vectorized_layer_norm_kernelIN3c108BFloat16EfLb0EEEviT0_PKT_S8_S8_PS5_S9_PS6_
	.p2align	8
	.type	_ZN2at6native12_GLOBAL__N_128vectorized_layer_norm_kernelIN3c108BFloat16EfLb0EEEviT0_PKT_S8_S8_PS5_S9_PS6_,@function
_ZN2at6native12_GLOBAL__N_128vectorized_layer_norm_kernelIN3c108BFloat16EfLb0EEEviT0_PKT_S8_S8_PS5_S9_PS6_: ; @_ZN2at6native12_GLOBAL__N_128vectorized_layer_norm_kernelIN3c108BFloat16EfLb0EEEviT0_PKT_S8_S8_PS5_S9_PS6_
; %bb.0:
	s_clause 0x1
	s_load_b32 s3, s[0:1], 0x44
	s_load_b128 s[12:15], s[0:1], 0x0
	s_bfe_u32 s4, ttmp6, 0x4000c
	s_and_b32 s2, ttmp6, 15
	s_add_co_i32 s4, s4, 1
	s_getreg_b32 s5, hwreg(HW_REG_IB_STS2, 6, 4)
	s_mul_i32 s4, ttmp9, s4
	v_bfe_u32 v13, v0, 10, 10
	s_add_co_i32 s2, s2, s4
	s_cmp_eq_u32 s5, 0
	v_and_b32_e32 v15, 0x3ff, v0
	s_cselect_b32 s16, ttmp9, s2
	v_dual_mov_b32 v5, 0 :: v_dual_mov_b32 v1, 0
	v_mov_b32_e32 v9, 0
	s_mov_b32 s17, 0
	s_wait_kmcnt 0x0
	s_and_b32 s6, s3, 0xffff
	s_ashr_i32 s5, s12, 31
	v_mul_u32_u24_e32 v0, s6, v13
	s_lshr_b32 s2, s5, 30
	v_mad_u32_u24 v14, v13, s6, v15
	s_add_co_i32 s2, s12, s2
	s_mov_b32 s4, s12
	s_ashr_i32 s22, s2, 2
	v_add_lshl_u32 v0, v0, v15, 3
	v_cmp_gt_i32_e64 s2, s22, v14
	s_lshr_b32 s8, s3, 16
	s_mul_u64 s[20:21], s[4:5], s[16:17]
	s_mul_i32 s18, s8, s6
	s_and_saveexec_b32 s9, s2
	s_cbranch_execz .LBB9_4
; %bb.1:
	v_dual_mov_b32 v1, 0 :: v_dual_mov_b32 v6, v14
	s_lshl_b64 s[4:5], s[20:21], 1
	s_ashr_i32 s19, s18, 31
	s_add_nc_u64 s[4:5], s[14:15], s[4:5]
	s_delay_alu instid0(VALU_DEP_1)
	v_mov_b32_e32 v9, v1
	v_add_nc_u64_e32 v[2:3], s[4:5], v[0:1]
	s_lshl_b64 s[6:7], s[18:19], 3
	s_mov_b32 s10, 0
	s_mov_b32 s11, s17
.LBB9_2:                                ; =>This Inner Loop Header: Depth=1
	global_load_b64 v[4:5], v[2:3], off
	s_add_f32 s19, s11, 1.0
	s_wait_xcnt 0x0
	v_add_nc_u64_e32 v[2:3], s[6:7], v[2:3]
	v_add_nc_u32_e32 v6, s18, v6
	s_add_f32 s23, s19, 1.0
	v_div_scale_f32 v7, null, s19, s19, 1.0
	v_div_scale_f32 v8, vcc_lo, 1.0, s19, 1.0
	s_delay_alu instid0(SALU_CYCLE_1)
	s_add_f32 s24, s23, 1.0
	v_div_scale_f32 v10, null, s23, s23, 1.0
	v_xor_b32_e32 v12, 0x80000000, v7
	v_rcp_f32_e32 v7, v7
	v_div_scale_f32 v16, null, s24, s24, 1.0
	s_add_f32 s11, s24, 1.0
	v_xor_b32_e32 v18, 0x80000000, v10
	v_rcp_f32_e32 v10, v10
	v_rcp_f32_e32 v22, v16
	v_div_scale_f32 v20, null, s11, s11, 1.0
	v_fma_f32 v19, v12, v7, 1.0
	v_xor_b32_e32 v16, 0x80000000, v16
	v_div_scale_f32 v11, s3, 1.0, s23, 1.0
	s_delay_alu instid0(VALU_DEP_4)
	v_rcp_f32_e32 v24, v20
	v_fma_f32 v23, v18, v10, 1.0
	v_fmac_f32_e32 v7, v19, v7
	v_xor_b32_e32 v19, 0x80000000, v20
	v_fma_f32 v20, v16, v22, 1.0
	v_div_scale_f32 v17, s4, 1.0, s24, 1.0
	v_div_scale_f32 v21, s5, 1.0, s11, 1.0
	s_delay_alu instid0(VALU_DEP_4) | instskip(NEXT) | instid1(VALU_DEP_4)
	v_fma_f32 v25, v19, v24, 1.0
	v_fmac_f32_e32 v22, v20, v22
	v_dual_fmac_f32 v10, v23, v10 :: v_dual_mul_f32 v23, v8, v7
	s_delay_alu instid0(VALU_DEP_1) | instskip(NEXT) | instid1(VALU_DEP_4)
	v_dual_mul_f32 v20, v11, v10 :: v_dual_fma_f32 v26, v12, v23, v8
	v_fmac_f32_e32 v24, v25, v24
	s_delay_alu instid0(VALU_DEP_2) | instskip(NEXT) | instid1(VALU_DEP_2)
	v_dual_mul_f32 v25, v17, v22 :: v_dual_fma_f32 v27, v18, v20, v11
	v_dual_fmac_f32 v23, v26, v7 :: v_dual_mul_f32 v26, v21, v24
	s_delay_alu instid0(VALU_DEP_2) | instskip(NEXT) | instid1(VALU_DEP_2)
	v_fma_f32 v28, v16, v25, v17
	v_dual_fmac_f32 v8, v12, v23 :: v_dual_fma_f32 v12, v19, v26, v21
	s_delay_alu instid0(VALU_DEP_4) | instskip(NEXT) | instid1(VALU_DEP_2)
	v_fmac_f32_e32 v20, v27, v10
	v_div_fmas_f32 v7, v8, v7, v23
	s_delay_alu instid0(VALU_DEP_3) | instskip(NEXT) | instid1(VALU_DEP_3)
	v_fmac_f32_e32 v26, v12, v24
	v_dual_fmac_f32 v25, v28, v22 :: v_dual_fmac_f32 v11, v18, v20
	s_mov_b32 vcc_lo, s3
	s_delay_alu instid0(VALU_DEP_3) | instskip(NEXT) | instid1(VALU_DEP_2)
	v_div_fixup_f32 v7, v7, s19, 1.0
	v_fmac_f32_e32 v17, v16, v25
	s_delay_alu instid0(VALU_DEP_3) | instskip(SKIP_1) | instid1(VALU_DEP_2)
	v_div_fmas_f32 v10, v11, v10, v20
	s_mov_b32 vcc_lo, s4
	v_div_fmas_f32 v16, v17, v22, v25
	s_mov_b32 vcc_lo, s5
	s_wait_loadcnt 0x0
	v_lshlrev_b32_e32 v8, 16, v4
	v_and_b32_e32 v11, 0xffff0000, v4
	v_alignbit_b32 v4, v5, v4, 16
	v_and_b32_e32 v5, 0xffff0000, v5
	s_delay_alu instid0(VALU_DEP_4) | instskip(NEXT) | instid1(VALU_DEP_3)
	v_sub_f32_e32 v12, v8, v9
	v_and_b32_e32 v4, 0xffff0000, v4
	s_delay_alu instid0(VALU_DEP_2) | instskip(SKIP_1) | instid1(VALU_DEP_2)
	v_fmac_f32_e32 v9, v7, v12
	v_div_fixup_f32 v7, v10, s23, 1.0
	v_dual_sub_f32 v10, v11, v9 :: v_dual_sub_f32 v8, v8, v9
	s_delay_alu instid0(VALU_DEP_1) | instskip(SKIP_2) | instid1(VALU_DEP_3)
	v_fmac_f32_e32 v9, v7, v10
	v_fmac_f32_e32 v21, v19, v26
	v_div_fixup_f32 v7, v16, s24, 1.0
	v_dual_fmac_f32 v1, v12, v8 :: v_dual_sub_f32 v11, v11, v9
	v_sub_f32_e32 v16, v4, v9
	s_delay_alu instid0(VALU_DEP_4) | instskip(SKIP_1) | instid1(VALU_DEP_4)
	v_div_fmas_f32 v17, v21, v24, v26
	v_cmp_le_i32_e32 vcc_lo, s22, v6
	v_fmac_f32_e32 v1, v10, v11
	s_delay_alu instid0(VALU_DEP_4) | instskip(NEXT) | instid1(VALU_DEP_4)
	v_fmac_f32_e32 v9, v7, v16
	v_div_fixup_f32 v7, v17, s11, 1.0
	s_or_b32 s10, vcc_lo, s10
	s_delay_alu instid0(VALU_DEP_2) | instskip(NEXT) | instid1(VALU_DEP_1)
	v_dual_sub_f32 v8, v5, v9 :: v_dual_sub_f32 v4, v4, v9
	v_fmac_f32_e32 v9, v7, v8
	s_delay_alu instid0(VALU_DEP_1) | instskip(NEXT) | instid1(VALU_DEP_1)
	v_dual_fmac_f32 v1, v16, v4 :: v_dual_sub_f32 v4, v5, v9
	v_dual_mov_b32 v5, s11 :: v_dual_fmac_f32 v1, v8, v4
	s_and_not1_b32 exec_lo, exec_lo, s10
	s_cbranch_execnz .LBB9_2
; %bb.3:
	s_or_b32 exec_lo, exec_lo, s10
.LBB9_4:
	s_delay_alu instid0(SALU_CYCLE_1) | instskip(SKIP_3) | instid1(VALU_DEP_2)
	s_or_b32 exec_lo, exec_lo, s9
	v_mbcnt_lo_u32_b32 v16, -1, 0
	s_mov_b32 s3, exec_lo
	v_dual_mov_b32 v4, 0 :: v_dual_mov_b32 v3, 0
	v_lshlrev_b32_e32 v2, 2, v16
	s_delay_alu instid0(VALU_DEP_1)
	v_or_b32_e32 v2, 64, v2
	ds_bpermute_b32 v8, v2, v5
	s_wait_dscnt 0x0
	v_add_f32_e32 v11, v5, v8
	ds_bpermute_b32 v6, v2, v9
	ds_bpermute_b32 v10, v2, v1
	v_mov_b32_e32 v2, 0
	v_cmpx_lt_f32_e32 0, v11
	s_cbranch_execz .LBB9_6
; %bb.5:
	v_div_scale_f32 v2, null, v11, v11, 1.0
	v_div_scale_f32 v12, vcc_lo, 1.0, v11, 1.0
	s_wait_dscnt 0x0
	v_add_f32_e32 v19, v1, v10
	s_delay_alu instid0(VALU_DEP_3) | instskip(SKIP_1) | instid1(TRANS32_DEP_1)
	v_rcp_f32_e32 v3, v2
	v_nop
	v_fma_f32 v7, -v2, v3, 1.0
	s_delay_alu instid0(VALU_DEP_1) | instskip(NEXT) | instid1(VALU_DEP_1)
	v_fmac_f32_e32 v3, v7, v3
	v_mul_f32_e32 v7, v12, v3
	s_delay_alu instid0(VALU_DEP_1) | instskip(NEXT) | instid1(VALU_DEP_1)
	v_fma_f32 v17, -v2, v7, v12
	v_fmac_f32_e32 v7, v17, v3
	s_delay_alu instid0(VALU_DEP_1) | instskip(NEXT) | instid1(VALU_DEP_1)
	v_fma_f32 v2, -v2, v7, v12
	v_div_fmas_f32 v2, v2, v3, v7
	v_sub_f32_e32 v3, v9, v6
	s_delay_alu instid0(VALU_DEP_2) | instskip(NEXT) | instid1(VALU_DEP_1)
	v_div_fixup_f32 v2, v2, v11, 1.0
	v_dual_mul_f32 v3, v3, v3 :: v_dual_mul_f32 v7, v5, v2
	s_delay_alu instid0(VALU_DEP_1) | instskip(NEXT) | instid1(VALU_DEP_2)
	v_pk_mul_f32 v[2:3], v[2:3], v[8:9] op_sel_hi:[1,0]
	v_mul_f32_e32 v18, v9, v7
	s_delay_alu instid0(VALU_DEP_1)
	v_pk_fma_f32 v[2:3], v[2:3], v[6:7], v[18:19]
.LBB9_6:
	s_or_b32 exec_lo, exec_lo, s3
	v_cmp_gt_u32_e32 vcc_lo, 24, v16
	s_mov_b32 s3, exec_lo
	v_mov_b32_e32 v5, 0
	v_cndmask_b32_e64 v1, 0, 8, vcc_lo
	s_delay_alu instid0(VALU_DEP_1)
	v_add_lshl_u32 v1, v1, v16, 2
	s_wait_dscnt 0x0
	ds_bpermute_b32 v10, v1, v11
	ds_bpermute_b32 v6, v1, v2
	ds_bpermute_b32 v9, v1, v3
	s_wait_dscnt 0x2
	v_add_f32_e32 v1, v11, v10
	s_delay_alu instid0(VALU_DEP_1)
	v_cmpx_lt_f32_e32 0, v1
	s_cbranch_execz .LBB9_8
; %bb.7:
	v_div_scale_f32 v4, null, v1, v1, 1.0
	v_div_scale_f32 v8, vcc_lo, 1.0, v1, 1.0
	s_delay_alu instid0(VALU_DEP_2) | instskip(SKIP_1) | instid1(TRANS32_DEP_1)
	v_rcp_f32_e32 v5, v4
	v_nop
	v_fma_f32 v7, -v4, v5, 1.0
	s_delay_alu instid0(VALU_DEP_1) | instskip(NEXT) | instid1(VALU_DEP_1)
	v_fmac_f32_e32 v5, v7, v5
	v_mul_f32_e32 v7, v8, v5
	s_delay_alu instid0(VALU_DEP_1) | instskip(NEXT) | instid1(VALU_DEP_1)
	v_fma_f32 v12, -v4, v7, v8
	v_fmac_f32_e32 v7, v12, v5
	s_delay_alu instid0(VALU_DEP_1) | instskip(NEXT) | instid1(VALU_DEP_1)
	v_fma_f32 v4, -v4, v7, v8
	v_div_fmas_f32 v4, v4, v5, v7
	s_wait_dscnt 0x1
	v_sub_f32_e32 v5, v2, v6
	s_delay_alu instid0(VALU_DEP_2) | instskip(NEXT) | instid1(VALU_DEP_1)
	v_div_fixup_f32 v4, v4, v1, 1.0
	v_dual_mul_f32 v5, v5, v5 :: v_dual_mul_f32 v8, v11, v4
	s_delay_alu instid0(VALU_DEP_1) | instskip(SKIP_1) | instid1(VALU_DEP_2)
	v_pk_mul_f32 v[4:5], v[4:5], v[10:11] op_sel_hi:[1,0]
	s_wait_dscnt 0x0
	v_pk_add_f32 v[18:19], v[2:3], v[8:9]
	v_pk_mul_f32 v[2:3], v[2:3], v[8:9]
	s_delay_alu instid0(VALU_DEP_2) | instskip(NEXT) | instid1(VALU_DEP_1)
	v_dual_mov_b32 v7, v8 :: v_dual_mov_b32 v3, v19
	v_pk_fma_f32 v[4:5], v[4:5], v[6:7], v[2:3]
.LBB9_8:
	s_or_b32 exec_lo, exec_lo, s3
	v_cmp_gt_u32_e32 vcc_lo, 28, v16
	s_wait_dscnt 0x1
	v_dual_mov_b32 v6, 0 :: v_dual_mov_b32 v7, 0
	s_mov_b32 s3, exec_lo
	v_cndmask_b32_e64 v2, 0, 4, vcc_lo
	s_delay_alu instid0(VALU_DEP_1)
	v_add_lshl_u32 v2, v2, v16, 2
	ds_bpermute_b32 v12, v2, v1
	ds_bpermute_b32 v8, v2, v4
	;; [unrolled: 1-line block ×3, first 2 shown]
	s_wait_dscnt 0x2
	v_dual_mov_b32 v2, 0 :: v_dual_add_f32 v17, v1, v12
	s_delay_alu instid0(VALU_DEP_1)
	v_cmpx_lt_f32_e32 0, v17
	s_cbranch_execz .LBB9_10
; %bb.9:
	v_div_scale_f32 v3, null, v17, v17, 1.0
	v_div_scale_f32 v9, vcc_lo, 1.0, v17, 1.0
	s_delay_alu instid0(VALU_DEP_2) | instskip(SKIP_1) | instid1(TRANS32_DEP_1)
	v_rcp_f32_e32 v6, v3
	v_nop
	v_fma_f32 v7, -v3, v6, 1.0
	s_delay_alu instid0(VALU_DEP_1) | instskip(NEXT) | instid1(VALU_DEP_1)
	v_fmac_f32_e32 v6, v7, v6
	v_mul_f32_e32 v7, v9, v6
	s_delay_alu instid0(VALU_DEP_1) | instskip(NEXT) | instid1(VALU_DEP_1)
	v_fma_f32 v10, -v3, v7, v9
	v_fmac_f32_e32 v7, v10, v6
	s_delay_alu instid0(VALU_DEP_1) | instskip(NEXT) | instid1(VALU_DEP_1)
	v_fma_f32 v3, -v3, v7, v9
	v_div_fmas_f32 v3, v3, v6, v7
	s_delay_alu instid0(VALU_DEP_1) | instskip(SKIP_1) | instid1(VALU_DEP_1)
	v_div_fixup_f32 v6, v3, v17, 1.0
	s_wait_dscnt 0x1
	v_dual_sub_f32 v3, v4, v8 :: v_dual_mul_f32 v10, v1, v6
	s_delay_alu instid0(VALU_DEP_1) | instskip(SKIP_3) | instid1(VALU_DEP_3)
	v_dual_mul_f32 v7, v3, v3 :: v_dual_mov_b32 v9, v10
	s_wait_dscnt 0x0
	v_pk_add_f32 v[18:19], v[4:5], v[10:11]
	v_pk_mul_f32 v[4:5], v[4:5], v[10:11]
	v_pk_mul_f32 v[6:7], v[6:7], v[12:13] op_sel_hi:[1,0]
	s_delay_alu instid0(VALU_DEP_3) | instskip(NEXT) | instid1(VALU_DEP_1)
	v_mov_b32_e32 v5, v19
	v_pk_fma_f32 v[6:7], v[6:7], v[8:9], v[4:5]
.LBB9_10:
	s_or_b32 exec_lo, exec_lo, s3
	v_cmp_gt_u32_e32 vcc_lo, 30, v16
	s_mov_b32 s3, exec_lo
	v_mov_b32_e32 v3, 0
	v_cndmask_b32_e64 v1, 0, 2, vcc_lo
	s_delay_alu instid0(VALU_DEP_1)
	v_add_lshl_u32 v1, v1, v16, 2
	ds_bpermute_b32 v10, v1, v17
	ds_bpermute_b32 v4, v1, v6
	;; [unrolled: 1-line block ×3, first 2 shown]
	s_wait_dscnt 0x2
	v_add_f32_e32 v11, v17, v10
	s_delay_alu instid0(VALU_DEP_1)
	v_cmpx_lt_f32_e32 0, v11
	s_cbranch_execz .LBB9_12
; %bb.11:
	v_div_scale_f32 v1, null, v11, v11, 1.0
	v_div_scale_f32 v5, vcc_lo, 1.0, v11, 1.0
	s_delay_alu instid0(VALU_DEP_2) | instskip(SKIP_1) | instid1(TRANS32_DEP_1)
	v_rcp_f32_e32 v2, v1
	v_nop
	v_fma_f32 v3, -v1, v2, 1.0
	s_delay_alu instid0(VALU_DEP_1) | instskip(NEXT) | instid1(VALU_DEP_1)
	v_fmac_f32_e32 v2, v3, v2
	v_mul_f32_e32 v3, v5, v2
	s_delay_alu instid0(VALU_DEP_1) | instskip(NEXT) | instid1(VALU_DEP_1)
	v_fma_f32 v8, -v1, v3, v5
	v_fmac_f32_e32 v3, v8, v2
	s_delay_alu instid0(VALU_DEP_1) | instskip(NEXT) | instid1(VALU_DEP_1)
	v_fma_f32 v1, -v1, v3, v5
	v_div_fmas_f32 v1, v1, v2, v3
	s_delay_alu instid0(VALU_DEP_1) | instskip(SKIP_1) | instid1(VALU_DEP_1)
	v_div_fixup_f32 v2, v1, v11, 1.0
	s_wait_dscnt 0x1
	v_dual_sub_f32 v1, v6, v4 :: v_dual_mul_f32 v8, v17, v2
	s_delay_alu instid0(VALU_DEP_1) | instskip(SKIP_3) | instid1(VALU_DEP_3)
	v_dual_mul_f32 v3, v1, v1 :: v_dual_mov_b32 v5, v8
	s_wait_dscnt 0x0
	v_pk_add_f32 v[18:19], v[6:7], v[8:9]
	v_pk_mul_f32 v[6:7], v[6:7], v[8:9]
	v_pk_mul_f32 v[2:3], v[2:3], v[10:11] op_sel_hi:[1,0]
	s_delay_alu instid0(VALU_DEP_3) | instskip(NEXT) | instid1(VALU_DEP_1)
	v_mov_b32_e32 v7, v19
	v_pk_fma_f32 v[2:3], v[2:3], v[4:5], v[6:7]
.LBB9_12:
	s_or_b32 exec_lo, exec_lo, s3
	v_cmp_ne_u32_e32 vcc_lo, 31, v16
	s_mov_b32 s3, exec_lo
	s_wait_dscnt 0x1
	v_dual_mov_b32 v4, 0 :: v_dual_mov_b32 v5, 0
	v_add_co_ci_u32_e64 v1, null, 0, v16, vcc_lo
	s_delay_alu instid0(VALU_DEP_1)
	v_lshlrev_b32_e32 v1, 2, v1
	ds_bpermute_b32 v10, v1, v11
	ds_bpermute_b32 v6, v1, v2
	s_wait_dscnt 0x2
	ds_bpermute_b32 v9, v1, v3
	s_wait_dscnt 0x2
	v_add_f32_e32 v1, v11, v10
	s_delay_alu instid0(VALU_DEP_1)
	v_cmpx_lt_f32_e32 0, v1
	s_cbranch_execz .LBB9_14
; %bb.13:
	v_div_scale_f32 v4, null, v1, v1, 1.0
	v_div_scale_f32 v8, vcc_lo, 1.0, v1, 1.0
	s_delay_alu instid0(VALU_DEP_2) | instskip(SKIP_1) | instid1(TRANS32_DEP_1)
	v_rcp_f32_e32 v5, v4
	v_nop
	v_fma_f32 v7, -v4, v5, 1.0
	s_delay_alu instid0(VALU_DEP_1) | instskip(NEXT) | instid1(VALU_DEP_1)
	v_fmac_f32_e32 v5, v7, v5
	v_mul_f32_e32 v7, v8, v5
	s_delay_alu instid0(VALU_DEP_1) | instskip(NEXT) | instid1(VALU_DEP_1)
	v_fma_f32 v12, -v4, v7, v8
	v_fmac_f32_e32 v7, v12, v5
	s_delay_alu instid0(VALU_DEP_1) | instskip(NEXT) | instid1(VALU_DEP_1)
	v_fma_f32 v4, -v4, v7, v8
	v_div_fmas_f32 v4, v4, v5, v7
	s_wait_dscnt 0x1
	v_sub_f32_e32 v5, v2, v6
	s_delay_alu instid0(VALU_DEP_2) | instskip(NEXT) | instid1(VALU_DEP_1)
	v_div_fixup_f32 v4, v4, v1, 1.0
	v_dual_mul_f32 v5, v5, v5 :: v_dual_mul_f32 v8, v11, v4
	s_delay_alu instid0(VALU_DEP_1) | instskip(SKIP_1) | instid1(VALU_DEP_2)
	v_pk_mul_f32 v[4:5], v[4:5], v[10:11] op_sel_hi:[1,0]
	s_wait_dscnt 0x0
	v_pk_add_f32 v[16:17], v[2:3], v[8:9]
	v_pk_mul_f32 v[2:3], v[2:3], v[8:9]
	s_delay_alu instid0(VALU_DEP_2) | instskip(NEXT) | instid1(VALU_DEP_1)
	v_dual_mov_b32 v7, v8 :: v_dual_mov_b32 v3, v17
	v_pk_fma_f32 v[4:5], v[4:5], v[6:7], v[2:3]
.LBB9_14:
	s_or_b32 exec_lo, exec_lo, s3
	s_cmp_lt_u32 s8, 2
	s_cbranch_scc0 .LBB9_16
; %bb.15:
	v_mov_b32_e32 v2, 0
	s_cvt_f32_i32 s3, s12
	ds_bpermute_b32 v3, v2, v5
	s_wait_dscnt 0x0
	v_div_scale_f32 v6, null, s3, s3, v3
	s_delay_alu instid0(VALU_DEP_1) | instskip(SKIP_1) | instid1(TRANS32_DEP_1)
	v_rcp_f32_e32 v7, v6
	v_nop
	v_fma_f32 v8, -v6, v7, 1.0
	s_delay_alu instid0(VALU_DEP_1) | instskip(SKIP_3) | instid1(VALU_DEP_1)
	v_fmac_f32_e32 v7, v8, v7
	v_div_scale_f32 v8, vcc_lo, v3, s3, v3
	ds_bpermute_b32 v2, v2, v4
	v_mul_f32_e32 v9, v8, v7
	v_fma_f32 v10, -v6, v9, v8
	s_delay_alu instid0(VALU_DEP_1) | instskip(NEXT) | instid1(VALU_DEP_1)
	v_fmac_f32_e32 v9, v10, v7
	v_fma_f32 v6, -v6, v9, v8
	s_delay_alu instid0(VALU_DEP_1) | instskip(NEXT) | instid1(VALU_DEP_1)
	v_div_fmas_f32 v6, v6, v7, v9
	v_div_fixup_f32 v3, v6, s3, v3
	s_cbranch_execz .LBB9_17
	s_branch .LBB9_29
.LBB9_16:
                                        ; implicit-def: $vgpr2_vgpr3
.LBB9_17:
	s_wait_dscnt 0x0
	v_lshlrev_b32_e32 v2, 3, v13
	s_lshl_b32 s3, s8, 2
	s_delay_alu instid0(SALU_CYCLE_1)
	s_add_co_i32 s5, s3, 0
	v_cmp_eq_u32_e64 s3, 0, v15
	v_lshl_add_u32 v6, v13, 2, s5
	v_add_nc_u32_e32 v7, 0, v2
.LBB9_18:                               ; =>This Inner Loop Header: Depth=1
	s_lshr_b32 s6, s8, 1
	s_and_b32 s4, s8, 0xfffe
	v_cmp_le_u32_e32 vcc_lo, s6, v13
	v_cmp_gt_u32_e64 s4, s4, v13
	s_and_b32 s7, s3, vcc_lo
	s_delay_alu instid0(SALU_CYCLE_1) | instskip(NEXT) | instid1(SALU_CYCLE_1)
	s_and_b32 s7, s7, s4
	s_and_saveexec_b32 s4, s7
	s_cbranch_execz .LBB9_20
; %bb.19:                               ;   in Loop: Header=BB9_18 Depth=1
	v_subrev_nc_u32_e32 v2, s6, v13
	s_delay_alu instid0(VALU_DEP_1)
	v_lshl_add_u32 v3, v2, 3, 0
	v_lshl_add_u32 v2, v2, 2, s5
	ds_store_2addr_b32 v3, v4, v5 offset1:1
	ds_store_b32 v2, v1
.LBB9_20:                               ;   in Loop: Header=BB9_18 Depth=1
	s_or_b32 exec_lo, exec_lo, s4
	v_cmp_gt_u32_e32 vcc_lo, s6, v13
	s_wait_dscnt 0x0
	s_barrier_signal -1
	s_barrier_wait -1
	s_and_b32 s7, s3, vcc_lo
	s_delay_alu instid0(SALU_CYCLE_1)
	s_and_saveexec_b32 s4, s7
	s_cbranch_execz .LBB9_24
; %bb.21:                               ;   in Loop: Header=BB9_18 Depth=1
	ds_load_b32 v9, v6
	v_mov_b32_e32 v2, 0
	s_mov_b32 s7, exec_lo
	s_wait_dscnt 0x0
	v_dual_mov_b32 v3, 0 :: v_dual_add_f32 v8, v1, v9
	s_delay_alu instid0(VALU_DEP_1)
	v_cmpx_lt_f32_e32 0, v8
	s_cbranch_execz .LBB9_23
; %bb.22:                               ;   in Loop: Header=BB9_18 Depth=1
	v_div_scale_f32 v10, null, v8, v8, 1.0
	v_div_scale_f32 v12, vcc_lo, 1.0, v8, 1.0
	s_delay_alu instid0(VALU_DEP_2) | instskip(SKIP_1) | instid1(TRANS32_DEP_1)
	v_rcp_f32_e32 v11, v10
	v_nop
	v_fma_f32 v2, -v10, v11, 1.0
	s_delay_alu instid0(VALU_DEP_1) | instskip(SKIP_2) | instid1(VALU_DEP_1)
	v_fmac_f32_e32 v11, v2, v11
	ds_load_2addr_b32 v[2:3], v7 offset1:1
	v_mul_f32_e32 v16, v12, v11
	v_fma_f32 v17, -v10, v16, v12
	s_delay_alu instid0(VALU_DEP_1) | instskip(NEXT) | instid1(VALU_DEP_1)
	v_fmac_f32_e32 v16, v17, v11
	v_fma_f32 v10, -v10, v16, v12
	s_delay_alu instid0(VALU_DEP_1) | instskip(SKIP_2) | instid1(VALU_DEP_2)
	v_div_fmas_f32 v10, v10, v11, v16
	s_wait_dscnt 0x0
	v_sub_f32_e32 v11, v4, v2
	v_div_fixup_f32 v10, v10, v8, 1.0
	s_delay_alu instid0(VALU_DEP_1) | instskip(SKIP_2) | instid1(VALU_DEP_3)
	v_dual_mul_f32 v11, v11, v11 :: v_dual_mul_f32 v12, v9, v10
	v_add_f32_e32 v3, v5, v3
	v_mul_f32_e32 v10, v1, v10
	v_dual_mul_f32 v5, v9, v11 :: v_dual_mul_f32 v2, v12, v2
	s_delay_alu instid0(VALU_DEP_1)
	v_pk_fma_f32 v[2:3], v[4:5], v[10:11], v[2:3] op_sel_hi:[1,0,1]
.LBB9_23:                               ;   in Loop: Header=BB9_18 Depth=1
	s_or_b32 exec_lo, exec_lo, s7
	s_delay_alu instid0(VALU_DEP_1) | instskip(NEXT) | instid1(VALU_DEP_2)
	v_dual_mov_b32 v1, v8 :: v_dual_mov_b32 v4, v2
	v_mov_b32_e32 v5, v3
.LBB9_24:                               ;   in Loop: Header=BB9_18 Depth=1
	s_or_b32 exec_lo, exec_lo, s4
	s_cmp_lt_u32 s8, 4
	s_barrier_signal -1
	s_barrier_wait -1
	s_cbranch_scc1 .LBB9_26
; %bb.25:                               ;   in Loop: Header=BB9_18 Depth=1
	s_mov_b32 s8, s6
	s_branch .LBB9_18
.LBB9_26:
	v_or_b32_e32 v1, v15, v13
	s_mov_b32 s3, exec_lo
	s_delay_alu instid0(VALU_DEP_1)
	v_cmpx_eq_u32_e32 0, v1
	s_cbranch_execz .LBB9_28
; %bb.27:
	s_cvt_f32_i32 s4, s12
	s_delay_alu instid0(SALU_CYCLE_3) | instskip(SKIP_1) | instid1(VALU_DEP_2)
	v_div_scale_f32 v1, null, s4, s4, v5
	v_div_scale_f32 v6, vcc_lo, v5, s4, v5
	v_rcp_f32_e32 v2, v1
	v_nop
	s_delay_alu instid0(TRANS32_DEP_1) | instskip(NEXT) | instid1(VALU_DEP_1)
	v_fma_f32 v3, -v1, v2, 1.0
	v_fmac_f32_e32 v2, v3, v2
	s_delay_alu instid0(VALU_DEP_1) | instskip(NEXT) | instid1(VALU_DEP_1)
	v_mul_f32_e32 v3, v6, v2
	v_fma_f32 v7, -v1, v3, v6
	s_delay_alu instid0(VALU_DEP_1) | instskip(NEXT) | instid1(VALU_DEP_1)
	v_fmac_f32_e32 v3, v7, v2
	v_fma_f32 v1, -v1, v3, v6
	s_delay_alu instid0(VALU_DEP_1) | instskip(SKIP_1) | instid1(VALU_DEP_2)
	v_div_fmas_f32 v1, v1, v2, v3
	v_mov_b32_e32 v2, 0
	v_div_fixup_f32 v1, v1, s4, v5
	ds_store_2addr_b32 v2, v4, v1 offset1:1
.LBB9_28:
	s_or_b32 exec_lo, exec_lo, s3
	v_mov_b32_e32 v1, 0
	s_wait_dscnt 0x0
	s_barrier_signal -1
	s_barrier_wait -1
	ds_load_2addr_b32 v[2:3], v1 offset1:1
.LBB9_29:
	s_wait_dscnt 0x0
	s_delay_alu instid0(VALU_DEP_1) | instskip(SKIP_3) | instid1(VALU_DEP_1)
	v_add_f32_e32 v1, s13, v3
	s_clause 0x1
	s_load_b256 s[4:11], s[0:1], 0x10
	s_load_b64 s[12:13], s[0:1], 0x30
	v_mul_f32_e32 v3, 0x4b800000, v1
	v_cmp_gt_f32_e32 vcc_lo, 0x800000, v1
	s_delay_alu instid0(VALU_DEP_2) | instskip(NEXT) | instid1(VALU_DEP_1)
	v_cndmask_b32_e32 v1, v1, v3, vcc_lo
	v_rsq_f32_e32 v1, v1
	v_nop
	s_delay_alu instid0(TRANS32_DEP_1) | instskip(NEXT) | instid1(VALU_DEP_1)
	v_mul_f32_e32 v3, 0x45800000, v1
	v_cndmask_b32_e32 v4, v1, v3, vcc_lo
	s_and_saveexec_b32 s23, s2
	s_cbranch_execz .LBB9_44
; %bb.30:
	s_wait_kmcnt 0x0
	s_cmp_eq_u64 s[4:5], 0
	v_dual_mov_b32 v7, 0 :: v_dual_mov_b32 v5, v4
	s_cselect_b32 s24, -1, 0
	s_cmp_eq_u64 s[6:7], 0
	s_delay_alu instid0(VALU_DEP_1)
	v_dual_mov_b32 v3, v2 :: v_dual_mov_b32 v1, v7
	s_cselect_b32 s25, -1, 0
	v_mov_b32_e32 v16, v14
	v_cndmask_b32_e64 v15, 0, 1, s25
	s_lshl_b64 s[2:3], s[20:21], 1
	s_ashr_i32 s19, s18, 31
	s_add_nc_u64 s[0:1], s[12:13], s[2:3]
	s_add_nc_u64 s[2:3], s[14:15], s[2:3]
	s_or_b32 s14, s24, s25
	s_lshl_b64 s[12:13], s[18:19], 3
	s_mov_b32 s15, 0
	s_branch .LBB9_32
.LBB9_31:                               ;   in Loop: Header=BB9_32 Depth=1
	s_wait_xcnt 0x0
	s_delay_alu instid0(VALU_DEP_1)
	v_bfe_u32 v8, v11, 16, 1
	v_and_b32_e32 v9, 0xffff, v13
	v_cmp_o_f32_e32 vcc_lo, v11, v11
	v_add_nc_u32_e32 v16, s18, v16
	v_lshl_or_b32 v10, v12, 16, v6
	v_add3_u32 v8, v11, v8, 0x7fff
	v_or_b32_e32 v13, v7, v9
	s_add_nc_u64 s[2:3], s[2:3], s[12:13]
	s_add_nc_u64 s[4:5], s[4:5], s[12:13]
	;; [unrolled: 1-line block ×3, first 2 shown]
	v_and_b32_e32 v8, 0xffff0000, v8
	s_delay_alu instid0(VALU_DEP_1) | instskip(SKIP_3) | instid1(VALU_DEP_3)
	v_cndmask_b32_e32 v11, 0x7fc00000, v8, vcc_lo
	v_add_nc_u64_e32 v[8:9], s[0:1], v[0:1]
	v_cmp_le_i32_e32 vcc_lo, s22, v16
	s_add_nc_u64 s[0:1], s[0:1], s[12:13]
	v_or_b32_e32 v11, v13, v11
	s_or_b32 s15, vcc_lo, s15
	global_store_b64 v[8:9], v[10:11], off
	s_wait_xcnt 0x0
	s_and_not1_b32 exec_lo, exec_lo, s15
	s_cbranch_execz .LBB9_44
.LBB9_32:                               ; =>This Inner Loop Header: Depth=1
	v_add_nc_u64_e32 v[8:9], s[2:3], v[0:1]
	s_and_b32 vcc_lo, exec_lo, s14
	s_mov_b32 s19, -1
                                        ; implicit-def: $vgpr12_vgpr13
                                        ; implicit-def: $vgpr6
	global_load_b64 v[8:9], v[8:9], off
	s_wait_loadcnt 0x0
	v_lshrrev_b64 v[10:11], 16, v[8:9]
                                        ; implicit-def: $vgpr11
	s_cbranch_vccz .LBB9_42
; %bb.33:                               ;   in Loop: Header=BB9_32 Depth=1
	s_and_b32 vcc_lo, exec_lo, s24
                                        ; implicit-def: $vgpr12_vgpr13
                                        ; implicit-def: $vgpr11
                                        ; implicit-def: $vgpr6
	s_cbranch_vccz .LBB9_39
; %bb.34:                               ;   in Loop: Header=BB9_32 Depth=1
	v_cmp_ne_u32_e32 vcc_lo, 1, v15
                                        ; implicit-def: $vgpr12_vgpr13
                                        ; implicit-def: $vgpr11
                                        ; implicit-def: $vgpr6
	s_cbranch_vccnz .LBB9_36
; %bb.35:                               ;   in Loop: Header=BB9_32 Depth=1
	s_delay_alu instid0(VALU_DEP_2) | instskip(SKIP_2) | instid1(VALU_DEP_2)
	v_dual_lshlrev_b32 v13, 16, v9 :: v_dual_lshlrev_b32 v12, 16, v10
	v_and_b32_e32 v19, 0xffff0000, v9
	s_mov_b32 s19, 0
	v_pk_add_f32 v[12:13], v[12:13], v[2:3] neg_lo:[0,1] neg_hi:[0,1]
	s_delay_alu instid0(VALU_DEP_1) | instskip(NEXT) | instid1(VALU_DEP_1)
	v_pk_mul_f32 v[12:13], v[4:5], v[12:13]
	v_dual_lshlrev_b32 v6, 16, v8 :: v_dual_lshrrev_b32 v11, 16, v13
	s_delay_alu instid0(VALU_DEP_1) | instskip(NEXT) | instid1(VALU_DEP_1)
	v_dual_sub_f32 v6, v6, v2 :: v_dual_lshrrev_b32 v17, 16, v12
	v_dual_mul_f32 v6, v4, v6 :: v_dual_bitop2_b32 v11, 1, v11 bitop3:0x40
	s_delay_alu instid0(VALU_DEP_1) | instskip(NEXT) | instid1(VALU_DEP_2)
	v_add3_u32 v11, v13, v11, 0x7fff
	v_bfe_u32 v18, v6, 16, 1
	v_cmp_o_f32_e32 vcc_lo, v6, v6
	s_delay_alu instid0(VALU_DEP_3) | instskip(NEXT) | instid1(VALU_DEP_3)
	v_dual_sub_f32 v19, v19, v2 :: v_dual_lshrrev_b32 v11, 16, v11
	v_add3_u32 v18, v6, v18, 0x7fff
	s_delay_alu instid0(VALU_DEP_1) | instskip(NEXT) | instid1(VALU_DEP_1)
	v_dual_lshrrev_b32 v18, 16, v18 :: v_dual_bitop2_b32 v17, 1, v17 bitop3:0x40
	v_add3_u32 v17, v12, v17, 0x7fff
	s_delay_alu instid0(VALU_DEP_1) | instskip(SKIP_3) | instid1(VALU_DEP_4)
	v_dual_cndmask_b32 v6, 0x7fc0, v18 :: v_dual_lshrrev_b32 v17, 16, v17
	v_cmp_o_f32_e32 vcc_lo, v13, v13
	v_cndmask_b32_e32 v13, 0x7fc0, v11, vcc_lo
	v_cmp_o_f32_e32 vcc_lo, v12, v12
	v_dual_mul_f32 v11, v4, v19 :: v_dual_cndmask_b32 v12, 0x7fc0, v17
.LBB9_36:                               ;   in Loop: Header=BB9_32 Depth=1
	s_and_not1_b32 vcc_lo, exec_lo, s19
	s_cbranch_vccnz .LBB9_38
; %bb.37:                               ;   in Loop: Header=BB9_32 Depth=1
	v_add_nc_u64_e32 v[12:13], s[6:7], v[0:1]
	global_load_b64 v[18:19], v[12:13], off
	s_wait_xcnt 0x0
	v_dual_lshlrev_b32 v13, 16, v9 :: v_dual_lshlrev_b32 v12, 16, v10
	v_lshlrev_b32_e32 v6, 16, v8
	s_delay_alu instid0(VALU_DEP_2) | instskip(SKIP_3) | instid1(VALU_DEP_1)
	v_pk_add_f32 v[12:13], v[12:13], v[2:3] neg_lo:[0,1] neg_hi:[0,1]
	s_wait_loadcnt 0x0
	v_lshlrev_b32_e32 v21, 16, v19
	v_and_b32_e32 v20, 0xffff0000, v18
	v_pk_fma_f32 v[12:13], v[4:5], v[12:13], v[20:21]
	v_sub_f32_e32 v6, v6, v2
	v_and_b32_e32 v20, 0xffff0000, v9
	s_delay_alu instid0(VALU_DEP_3) | instskip(NEXT) | instid1(VALU_DEP_3)
	v_lshrrev_b32_e32 v11, 16, v13
	v_fma_mix_f32_bf16 v6, v4, v6, v18 op_sel_hi:[0,0,1]
	s_delay_alu instid0(VALU_DEP_2) | instskip(NEXT) | instid1(VALU_DEP_2)
	v_dual_lshrrev_b32 v17, 16, v12 :: v_dual_bitop2_b32 v11, 1, v11 bitop3:0x40
	v_bfe_u32 v18, v6, 16, 1
	v_cmp_o_f32_e32 vcc_lo, v6, v6
	s_delay_alu instid0(VALU_DEP_3) | instskip(NEXT) | instid1(VALU_DEP_3)
	v_add3_u32 v11, v13, v11, 0x7fff
	v_add3_u32 v18, v6, v18, 0x7fff
	v_dual_sub_f32 v20, v20, v2 :: v_dual_bitop2_b32 v17, 1, v17 bitop3:0x40
	s_delay_alu instid0(VALU_DEP_2) | instskip(NEXT) | instid1(VALU_DEP_2)
	v_dual_lshrrev_b32 v11, 16, v11 :: v_dual_lshrrev_b32 v18, 16, v18
	v_add3_u32 v17, v12, v17, 0x7fff
	s_delay_alu instid0(VALU_DEP_1) | instskip(SKIP_1) | instid1(VALU_DEP_4)
	v_dual_cndmask_b32 v6, 0x7fc0, v18 :: v_dual_lshrrev_b32 v17, 16, v17
	v_cmp_o_f32_e32 vcc_lo, v13, v13
	v_cndmask_b32_e32 v13, 0x7fc0, v11, vcc_lo
	v_cmp_o_f32_e32 vcc_lo, v12, v12
	v_fma_mix_f32_bf16 v11, v4, v20, v19 op_sel:[0,0,1] op_sel_hi:[0,0,1]
	v_cndmask_b32_e32 v12, 0x7fc0, v17, vcc_lo
.LBB9_38:                               ;   in Loop: Header=BB9_32 Depth=1
	s_mov_b32 s19, 0
.LBB9_39:                               ;   in Loop: Header=BB9_32 Depth=1
	s_delay_alu instid0(SALU_CYCLE_1)
	s_and_not1_b32 vcc_lo, exec_lo, s19
	s_cbranch_vccnz .LBB9_41
; %bb.40:                               ;   in Loop: Header=BB9_32 Depth=1
	v_add_nc_u64_e32 v[12:13], s[4:5], v[0:1]
	v_dual_lshlrev_b32 v19, 16, v9 :: v_dual_lshlrev_b32 v18, 16, v10
	v_and_b32_e32 v17, 0xffff0000, v9
	s_delay_alu instid0(VALU_DEP_2) | instskip(SKIP_3) | instid1(VALU_DEP_2)
	v_pk_add_f32 v[18:19], v[18:19], v[2:3] neg_lo:[0,1] neg_hi:[0,1]
	global_load_b64 v[12:13], v[12:13], off
	v_dual_sub_f32 v17, v17, v2 :: v_dual_lshlrev_b32 v6, 16, v8
	v_pk_mul_f32 v[18:19], v[4:5], v[18:19]
	v_mul_f32_e32 v17, v4, v17
	s_wait_loadcnt 0x0
	s_delay_alu instid0(VALU_DEP_3) | instskip(SKIP_2) | instid1(VALU_DEP_1)
	v_dual_sub_f32 v6, v6, v2 :: v_dual_lshlrev_b32 v21, 16, v13
	v_lshlrev_b32_e32 v11, 16, v12
	v_and_b32_e32 v20, 0xffff0000, v12
	v_pk_mul_f32 v[18:19], v[18:19], v[20:21]
	s_delay_alu instid0(VALU_DEP_4) | instskip(SKIP_2) | instid1(VALU_DEP_2)
	v_mul_f32_e32 v6, v4, v6
	v_and_b32_e32 v21, 0xffff0000, v13
	s_wait_xcnt 0x0
	v_dual_lshrrev_b32 v12, 16, v18 :: v_dual_mul_f32 v6, v6, v11
	s_delay_alu instid0(VALU_DEP_1) | instskip(NEXT) | instid1(VALU_DEP_2)
	v_dual_lshrrev_b32 v11, 16, v19 :: v_dual_bitop2_b32 v12, 1, v12 bitop3:0x40
	v_bfe_u32 v20, v6, 16, 1
	s_delay_alu instid0(VALU_DEP_2) | instskip(SKIP_1) | instid1(VALU_DEP_4)
	v_and_b32_e32 v11, 1, v11
	v_cmp_o_f32_e32 vcc_lo, v6, v6
	v_add3_u32 v12, v18, v12, 0x7fff
	s_delay_alu instid0(VALU_DEP_4) | instskip(NEXT) | instid1(VALU_DEP_4)
	v_add3_u32 v20, v6, v20, 0x7fff
	v_add3_u32 v11, v19, v11, 0x7fff
	s_delay_alu instid0(VALU_DEP_1) | instskip(NEXT) | instid1(VALU_DEP_1)
	v_dual_lshrrev_b32 v20, 16, v20 :: v_dual_lshrrev_b32 v11, 16, v11
	v_cndmask_b32_e32 v6, 0x7fc0, v20, vcc_lo
	v_cmp_o_f32_e32 vcc_lo, v19, v19
	s_delay_alu instid0(VALU_DEP_3) | instskip(SKIP_1) | instid1(VALU_DEP_2)
	v_dual_cndmask_b32 v13, 0x7fc0, v11 :: v_dual_lshrrev_b32 v12, 16, v12
	v_cmp_o_f32_e32 vcc_lo, v18, v18
	v_dual_mul_f32 v11, v17, v21 :: v_dual_cndmask_b32 v12, 0x7fc0, v12
.LBB9_41:                               ;   in Loop: Header=BB9_32 Depth=1
	s_mov_b32 s19, 0
.LBB9_42:                               ;   in Loop: Header=BB9_32 Depth=1
	s_delay_alu instid0(SALU_CYCLE_1)
	s_and_not1_b32 vcc_lo, exec_lo, s19
	s_cbranch_vccnz .LBB9_31
; %bb.43:                               ;   in Loop: Header=BB9_32 Depth=1
	v_add_nc_u64_e32 v[12:13], s[4:5], v[0:1]
	v_add_nc_u64_e32 v[18:19], s[6:7], v[0:1]
	s_delay_alu instid0(VALU_DEP_3)
	v_dual_lshlrev_b32 v11, 16, v9 :: v_dual_lshlrev_b32 v10, 16, v10
	s_wait_xcnt 0x0
	v_and_b32_e32 v9, 0xffff0000, v9
	global_load_b64 v[20:21], v[12:13], off
	global_load_b64 v[22:23], v[18:19], off
	v_lshlrev_b32_e32 v6, 16, v8
	v_pk_add_f32 v[10:11], v[10:11], v[2:3] neg_lo:[0,1] neg_hi:[0,1]
	v_sub_f32_e32 v9, v9, v2
	s_delay_alu instid0(VALU_DEP_2)
	v_pk_mul_f32 v[10:11], v[4:5], v[10:11]
	s_wait_loadcnt 0x1
	s_wait_xcnt 0x1
	v_dual_sub_f32 v6, v6, v2 :: v_dual_lshlrev_b32 v13, 16, v21
	s_wait_loadcnt 0x0
	s_wait_xcnt 0x0
	v_lshlrev_b32_e32 v19, 16, v23
	v_and_b32_e32 v12, 0xffff0000, v20
	v_and_b32_e32 v18, 0xffff0000, v22
	s_delay_alu instid0(VALU_DEP_1) | instskip(NEXT) | instid1(VALU_DEP_1)
	v_pk_fma_f32 v[10:11], v[10:11], v[12:13], v[18:19]
	v_dual_mul_f32 v6, v4, v6 :: v_dual_lshrrev_b32 v8, 16, v11
	s_delay_alu instid0(VALU_DEP_1) | instskip(NEXT) | instid1(VALU_DEP_2)
	v_fma_mix_f32_bf16 v6, v6, v20, v22 op_sel_hi:[0,1,1]
	v_dual_lshrrev_b32 v12, 16, v10 :: v_dual_bitop2_b32 v8, 1, v8 bitop3:0x40
	s_delay_alu instid0(VALU_DEP_2) | instskip(NEXT) | instid1(VALU_DEP_2)
	v_bfe_u32 v13, v6, 16, 1
	v_and_b32_e32 v12, 1, v12
	v_cmp_o_f32_e32 vcc_lo, v6, v6
	s_delay_alu instid0(VALU_DEP_4) | instskip(NEXT) | instid1(VALU_DEP_4)
	v_add3_u32 v8, v11, v8, 0x7fff
	v_add3_u32 v13, v6, v13, 0x7fff
	s_delay_alu instid0(VALU_DEP_4) | instskip(NEXT) | instid1(VALU_DEP_3)
	v_add3_u32 v12, v10, v12, 0x7fff
	v_dual_mul_f32 v9, v4, v9 :: v_dual_lshrrev_b32 v8, 16, v8
	s_delay_alu instid0(VALU_DEP_2) | instskip(NEXT) | instid1(VALU_DEP_1)
	v_dual_lshrrev_b32 v13, 16, v13 :: v_dual_lshrrev_b32 v12, 16, v12
	v_cndmask_b32_e32 v6, 0x7fc0, v13, vcc_lo
	v_cmp_o_f32_e32 vcc_lo, v11, v11
	s_delay_alu instid0(VALU_DEP_4)
	v_fma_mix_f32_bf16 v11, v9, v21, v23 op_sel:[0,1,1] op_sel_hi:[0,1,1]
	v_cndmask_b32_e32 v13, 0x7fc0, v8, vcc_lo
	v_cmp_o_f32_e32 vcc_lo, v10, v10
	v_cndmask_b32_e32 v12, 0x7fc0, v12, vcc_lo
	s_branch .LBB9_31
.LBB9_44:
	s_or_b32 exec_lo, exec_lo, s23
	s_wait_xcnt 0x0
	s_mov_b32 s0, exec_lo
	v_cmpx_eq_u32_e32 0, v14
	s_cbranch_execz .LBB9_46
; %bb.45:
	v_mov_b32_e32 v0, 0
	s_lshl_b64 s[0:1], s[16:17], 2
	s_wait_kmcnt 0x0
	s_add_nc_u64 s[2:3], s[8:9], s[0:1]
	s_add_nc_u64 s[0:1], s[10:11], s[0:1]
	s_clause 0x1
	global_store_b32 v0, v2, s[2:3]
	global_store_b32 v0, v4, s[0:1]
.LBB9_46:
	s_endpgm
	.section	.rodata,"a",@progbits
	.p2align	6, 0x0
	.amdhsa_kernel _ZN2at6native12_GLOBAL__N_128vectorized_layer_norm_kernelIN3c108BFloat16EfLb0EEEviT0_PKT_S8_S8_PS5_S9_PS6_
		.amdhsa_group_segment_fixed_size 0
		.amdhsa_private_segment_fixed_size 0
		.amdhsa_kernarg_size 312
		.amdhsa_user_sgpr_count 2
		.amdhsa_user_sgpr_dispatch_ptr 0
		.amdhsa_user_sgpr_queue_ptr 0
		.amdhsa_user_sgpr_kernarg_segment_ptr 1
		.amdhsa_user_sgpr_dispatch_id 0
		.amdhsa_user_sgpr_kernarg_preload_length 0
		.amdhsa_user_sgpr_kernarg_preload_offset 0
		.amdhsa_user_sgpr_private_segment_size 0
		.amdhsa_wavefront_size32 1
		.amdhsa_uses_dynamic_stack 0
		.amdhsa_enable_private_segment 0
		.amdhsa_system_sgpr_workgroup_id_x 1
		.amdhsa_system_sgpr_workgroup_id_y 0
		.amdhsa_system_sgpr_workgroup_id_z 0
		.amdhsa_system_sgpr_workgroup_info 0
		.amdhsa_system_vgpr_workitem_id 1
		.amdhsa_next_free_vgpr 29
		.amdhsa_next_free_sgpr 26
		.amdhsa_named_barrier_count 0
		.amdhsa_reserve_vcc 1
		.amdhsa_float_round_mode_32 0
		.amdhsa_float_round_mode_16_64 0
		.amdhsa_float_denorm_mode_32 3
		.amdhsa_float_denorm_mode_16_64 3
		.amdhsa_fp16_overflow 0
		.amdhsa_memory_ordered 1
		.amdhsa_forward_progress 1
		.amdhsa_inst_pref_size 34
		.amdhsa_round_robin_scheduling 0
		.amdhsa_exception_fp_ieee_invalid_op 0
		.amdhsa_exception_fp_denorm_src 0
		.amdhsa_exception_fp_ieee_div_zero 0
		.amdhsa_exception_fp_ieee_overflow 0
		.amdhsa_exception_fp_ieee_underflow 0
		.amdhsa_exception_fp_ieee_inexact 0
		.amdhsa_exception_int_div_zero 0
	.end_amdhsa_kernel
	.section	.text._ZN2at6native12_GLOBAL__N_128vectorized_layer_norm_kernelIN3c108BFloat16EfLb0EEEviT0_PKT_S8_S8_PS5_S9_PS6_,"axG",@progbits,_ZN2at6native12_GLOBAL__N_128vectorized_layer_norm_kernelIN3c108BFloat16EfLb0EEEviT0_PKT_S8_S8_PS5_S9_PS6_,comdat
.Lfunc_end9:
	.size	_ZN2at6native12_GLOBAL__N_128vectorized_layer_norm_kernelIN3c108BFloat16EfLb0EEEviT0_PKT_S8_S8_PS5_S9_PS6_, .Lfunc_end9-_ZN2at6native12_GLOBAL__N_128vectorized_layer_norm_kernelIN3c108BFloat16EfLb0EEEviT0_PKT_S8_S8_PS5_S9_PS6_
                                        ; -- End function
	.set _ZN2at6native12_GLOBAL__N_128vectorized_layer_norm_kernelIN3c108BFloat16EfLb0EEEviT0_PKT_S8_S8_PS5_S9_PS6_.num_vgpr, 29
	.set _ZN2at6native12_GLOBAL__N_128vectorized_layer_norm_kernelIN3c108BFloat16EfLb0EEEviT0_PKT_S8_S8_PS5_S9_PS6_.num_agpr, 0
	.set _ZN2at6native12_GLOBAL__N_128vectorized_layer_norm_kernelIN3c108BFloat16EfLb0EEEviT0_PKT_S8_S8_PS5_S9_PS6_.numbered_sgpr, 26
	.set _ZN2at6native12_GLOBAL__N_128vectorized_layer_norm_kernelIN3c108BFloat16EfLb0EEEviT0_PKT_S8_S8_PS5_S9_PS6_.num_named_barrier, 0
	.set _ZN2at6native12_GLOBAL__N_128vectorized_layer_norm_kernelIN3c108BFloat16EfLb0EEEviT0_PKT_S8_S8_PS5_S9_PS6_.private_seg_size, 0
	.set _ZN2at6native12_GLOBAL__N_128vectorized_layer_norm_kernelIN3c108BFloat16EfLb0EEEviT0_PKT_S8_S8_PS5_S9_PS6_.uses_vcc, 1
	.set _ZN2at6native12_GLOBAL__N_128vectorized_layer_norm_kernelIN3c108BFloat16EfLb0EEEviT0_PKT_S8_S8_PS5_S9_PS6_.uses_flat_scratch, 0
	.set _ZN2at6native12_GLOBAL__N_128vectorized_layer_norm_kernelIN3c108BFloat16EfLb0EEEviT0_PKT_S8_S8_PS5_S9_PS6_.has_dyn_sized_stack, 0
	.set _ZN2at6native12_GLOBAL__N_128vectorized_layer_norm_kernelIN3c108BFloat16EfLb0EEEviT0_PKT_S8_S8_PS5_S9_PS6_.has_recursion, 0
	.set _ZN2at6native12_GLOBAL__N_128vectorized_layer_norm_kernelIN3c108BFloat16EfLb0EEEviT0_PKT_S8_S8_PS5_S9_PS6_.has_indirect_call, 0
	.section	.AMDGPU.csdata,"",@progbits
; Kernel info:
; codeLenInByte = 4256
; TotalNumSgprs: 28
; NumVgprs: 29
; ScratchSize: 0
; MemoryBound: 0
; FloatMode: 240
; IeeeMode: 1
; LDSByteSize: 0 bytes/workgroup (compile time only)
; SGPRBlocks: 0
; VGPRBlocks: 1
; NumSGPRsForWavesPerEU: 28
; NumVGPRsForWavesPerEU: 29
; NamedBarCnt: 0
; Occupancy: 16
; WaveLimiterHint : 0
; COMPUTE_PGM_RSRC2:SCRATCH_EN: 0
; COMPUTE_PGM_RSRC2:USER_SGPR: 2
; COMPUTE_PGM_RSRC2:TRAP_HANDLER: 0
; COMPUTE_PGM_RSRC2:TGID_X_EN: 1
; COMPUTE_PGM_RSRC2:TGID_Y_EN: 0
; COMPUTE_PGM_RSRC2:TGID_Z_EN: 0
; COMPUTE_PGM_RSRC2:TIDIG_COMP_CNT: 1
	.section	.text._ZN2at6native12_GLOBAL__N_124RowwiseMomentsCUDAKernelIN3c108BFloat16EfLb0EEEvlT0_PKT_PS5_S9_,"axG",@progbits,_ZN2at6native12_GLOBAL__N_124RowwiseMomentsCUDAKernelIN3c108BFloat16EfLb0EEEvlT0_PKT_PS5_S9_,comdat
	.globl	_ZN2at6native12_GLOBAL__N_124RowwiseMomentsCUDAKernelIN3c108BFloat16EfLb0EEEvlT0_PKT_PS5_S9_ ; -- Begin function _ZN2at6native12_GLOBAL__N_124RowwiseMomentsCUDAKernelIN3c108BFloat16EfLb0EEEvlT0_PKT_PS5_S9_
	.p2align	8
	.type	_ZN2at6native12_GLOBAL__N_124RowwiseMomentsCUDAKernelIN3c108BFloat16EfLb0EEEvlT0_PKT_PS5_S9_,@function
_ZN2at6native12_GLOBAL__N_124RowwiseMomentsCUDAKernelIN3c108BFloat16EfLb0EEEvlT0_PKT_PS5_S9_: ; @_ZN2at6native12_GLOBAL__N_124RowwiseMomentsCUDAKernelIN3c108BFloat16EfLb0EEEvlT0_PKT_PS5_S9_
; %bb.0:
	s_clause 0x2
	s_load_b64 s[10:11], s[0:1], 0x0
	s_load_b128 s[4:7], s[0:1], 0x10
	s_load_b64 s[2:3], s[0:1], 0x20
	s_bfe_u32 s8, ttmp6, 0x4000c
	s_and_b32 s9, ttmp6, 15
	s_add_co_i32 s8, s8, 1
	v_mov_b64_e32 v[6:7], 0
	s_mul_i32 s8, ttmp9, s8
	v_mov_b64_e32 v[2:3], 0
	s_getreg_b32 s12, hwreg(HW_REG_IB_STS2, 6, 4)
	v_mov_b32_e32 v1, 0
	s_add_co_i32 s8, s9, s8
	s_cmp_eq_u32 s12, 0
	s_mov_b32 s9, 0
	s_cselect_b32 s8, ttmp9, s8
	s_mov_b32 s16, exec_lo
	s_wait_kmcnt 0x0
	v_cmpx_gt_i64_e64 s[10:11], v[0:1]
	s_cbranch_execz .LBB10_4
; %bb.1:
	s_load_b32 s12, s[0:1], 0x34
	s_mul_u64 s[14:15], s[10:11], s[8:9]
	v_dual_mov_b32 v5, 0 :: v_dual_lshlrev_b32 v4, 1, v0
	s_lshl_b64 s[18:19], s[14:15], 1
	v_mov_b64_e32 v[8:9], v[0:1]
	s_add_nc_u64 s[4:5], s[4:5], s[18:19]
	s_mov_b32 s13, s9
	v_add_nc_u64_e32 v[10:11], s[4:5], v[4:5]
	v_mov_b32_e32 v3, v5
	s_mov_b32 s15, s9
	s_mov_b64 s[4:5], 0
	s_mov_b32 s17, s9
	s_wait_kmcnt 0x0
	s_and_b32 s12, s12, 0xffff
	s_delay_alu instid0(SALU_CYCLE_1)
	s_lshl_b32 s14, s12, 1
.LBB10_2:                               ; =>This Inner Loop Header: Depth=1
	global_load_u16 v1, v[10:11], off
	s_add_nc_u64 s[4:5], s[4:5], 1
	v_add_nc_u64_e32 v[8:9], s[12:13], v[8:9]
	s_clz_i32_u32 s18, s5
	s_wait_xcnt 0x0
	v_add_nc_u64_e32 v[10:11], s[14:15], v[10:11]
	s_min_u32 s20, s18, 32
	s_delay_alu instid0(SALU_CYCLE_1) | instskip(NEXT) | instid1(SALU_CYCLE_1)
	s_lshl_b64 s[18:19], s[4:5], s20
	s_min_u32 s18, s18, 1
	s_delay_alu instid0(SALU_CYCLE_1) | instskip(SKIP_4) | instid1(SALU_CYCLE_1)
	s_or_b32 s18, s19, s18
	s_sub_co_i32 s19, 32, s20
	s_cvt_f32_u32 s18, s18
	s_wait_loadcnt 0x0
	v_lshlrev_b32_e32 v2, 16, v1
	v_ldexp_f32 v1, s18, s19
	s_delay_alu instid0(VALU_DEP_2) | instskip(NEXT) | instid1(VALU_DEP_1)
	v_sub_f32_e32 v4, v2, v3
	v_div_scale_f32 v6, null, v1, v1, v4
	v_div_scale_f32 v13, vcc_lo, v4, v1, v4
	s_delay_alu instid0(VALU_DEP_2) | instskip(SKIP_1) | instid1(TRANS32_DEP_1)
	v_rcp_f32_e32 v7, v6
	v_nop
	v_fma_f32 v12, -v6, v7, 1.0
	s_delay_alu instid0(VALU_DEP_1) | instskip(NEXT) | instid1(VALU_DEP_1)
	v_fmac_f32_e32 v7, v12, v7
	v_mul_f32_e32 v12, v13, v7
	s_delay_alu instid0(VALU_DEP_1) | instskip(NEXT) | instid1(VALU_DEP_1)
	v_fma_f32 v14, -v6, v12, v13
	v_fmac_f32_e32 v12, v14, v7
	s_delay_alu instid0(VALU_DEP_1) | instskip(NEXT) | instid1(VALU_DEP_1)
	v_fma_f32 v6, -v6, v12, v13
	v_div_fmas_f32 v6, v6, v7, v12
	v_cmp_le_i64_e32 vcc_lo, s[10:11], v[8:9]
	s_delay_alu instid0(VALU_DEP_2) | instskip(SKIP_1) | instid1(VALU_DEP_1)
	v_div_fixup_f32 v6, v6, v1, v4
	s_or_b32 s17, vcc_lo, s17
	v_add_f32_e32 v3, v3, v6
	v_mov_b64_e32 v[6:7], s[4:5]
	s_delay_alu instid0(VALU_DEP_2) | instskip(NEXT) | instid1(VALU_DEP_1)
	v_sub_f32_e32 v2, v2, v3
	v_fmac_f32_e32 v5, v4, v2
	s_and_not1_b32 exec_lo, exec_lo, s17
	s_cbranch_execnz .LBB10_2
; %bb.3:
	s_or_b32 exec_lo, exec_lo, s17
	s_delay_alu instid0(VALU_DEP_1)
	v_mov_b32_e32 v2, v5
.LBB10_4:
	s_or_b32 exec_lo, exec_lo, s16
	v_mbcnt_lo_u32_b32 v13, -1, 0
	s_mov_b32 s4, exec_lo
	s_delay_alu instid0(VALU_DEP_1)
	v_lshl_or_b32 v10, v13, 2, 64
	ds_bpermute_b32 v5, v10, v3
	ds_bpermute_b32 v4, v10, v2
	;; [unrolled: 1-line block ×5, first 2 shown]
	v_cmpx_neq_f32_e32 0, v1
	s_cbranch_execz .LBB10_8
; %bb.5:
	s_mov_b32 s5, exec_lo
	s_wait_dscnt 0x0
	v_cmpx_neq_f32_e32 0, v11
	s_cbranch_execz .LBB10_7
; %bb.6:
	v_add_f32_e32 v12, v1, v11
	s_delay_alu instid0(VALU_DEP_1) | instskip(SKIP_1) | instid1(VALU_DEP_2)
	v_div_scale_f32 v6, null, v12, v12, v11
	v_div_scale_f32 v14, vcc_lo, v11, v12, v11
	v_rcp_f32_e32 v7, v6
	v_nop
	s_delay_alu instid0(TRANS32_DEP_1) | instskip(NEXT) | instid1(VALU_DEP_1)
	v_fma_f32 v8, -v6, v7, 1.0
	v_fmac_f32_e32 v7, v8, v7
	s_delay_alu instid0(VALU_DEP_1) | instskip(NEXT) | instid1(VALU_DEP_1)
	v_mul_f32_e32 v15, v14, v7
	v_fma_f32 v8, -v6, v15, v14
	s_delay_alu instid0(VALU_DEP_1) | instskip(SKIP_2) | instid1(VALU_DEP_3)
	v_fmac_f32_e32 v15, v8, v7
	v_pk_add_f32 v[8:9], v[4:5], v[2:3] neg_lo:[0,1] neg_hi:[0,1]
	v_pk_add_f32 v[4:5], v[2:3], v[4:5]
	v_dual_mov_b32 v5, v3 :: v_dual_fma_f32 v6, -v6, v15, v14
	s_delay_alu instid0(VALU_DEP_3) | instskip(NEXT) | instid1(VALU_DEP_2)
	v_mul_f32_e32 v8, v9, v9
	v_div_fmas_f32 v6, v6, v7, v15
	s_delay_alu instid0(VALU_DEP_2) | instskip(NEXT) | instid1(VALU_DEP_2)
	v_dual_mul_f32 v8, v1, v8 :: v_dual_mov_b32 v1, v12
	v_div_fixup_f32 v2, v6, v12, v11
	v_mov_b64_e32 v[6:7], -1
	s_delay_alu instid0(VALU_DEP_2)
	v_pk_fma_f32 v[2:3], v[8:9], v[2:3], v[4:5] op_sel_hi:[1,0,1]
.LBB10_7:
	s_or_b32 exec_lo, exec_lo, s5
	s_delay_alu instid0(VALU_DEP_2) | instskip(NEXT) | instid1(VALU_DEP_2)
	v_mov_b64_e32 v[8:9], v[6:7]
	v_mov_b64_e32 v[4:5], v[2:3]
	v_mov_b32_e32 v11, v1
.LBB10_8:
	s_or_b32 exec_lo, exec_lo, s4
	v_cmp_gt_u32_e32 vcc_lo, 24, v13
	s_mov_b32 s4, exec_lo
	v_cndmask_b32_e64 v1, 0, 8, vcc_lo
	s_delay_alu instid0(VALU_DEP_1)
	v_add_lshl_u32 v1, v1, v13, 2
	s_wait_dscnt 0x4
	ds_bpermute_b32 v3, v1, v5
	s_wait_dscnt 0x4
	ds_bpermute_b32 v2, v1, v4
	;; [unrolled: 2-line block ×5, first 2 shown]
	v_cmpx_neq_f32_e32 0, v11
	s_cbranch_execz .LBB10_12
; %bb.9:
	s_mov_b32 s5, exec_lo
	s_wait_dscnt 0x0
	v_cmpx_neq_f32_e32 0, v12
	s_cbranch_execz .LBB10_11
; %bb.10:
	v_add_f32_e32 v14, v11, v12
	s_delay_alu instid0(VALU_DEP_1) | instskip(NEXT) | instid1(VALU_DEP_1)
	v_div_scale_f32 v8, null, v14, v14, v12
	v_rcp_f32_e32 v9, v8
	v_nop
	s_delay_alu instid0(TRANS32_DEP_1) | instskip(NEXT) | instid1(VALU_DEP_1)
	v_fma_f32 v6, -v8, v9, 1.0
	v_fmac_f32_e32 v9, v6, v9
	v_div_scale_f32 v15, vcc_lo, v12, v14, v12
	s_delay_alu instid0(VALU_DEP_1) | instskip(NEXT) | instid1(VALU_DEP_1)
	v_mul_f32_e32 v16, v15, v9
	v_fma_f32 v6, -v8, v16, v15
	s_delay_alu instid0(VALU_DEP_1) | instskip(SKIP_2) | instid1(VALU_DEP_3)
	v_fmac_f32_e32 v16, v6, v9
	v_pk_add_f32 v[6:7], v[2:3], v[4:5] neg_lo:[0,1] neg_hi:[0,1]
	v_pk_add_f32 v[2:3], v[4:5], v[2:3]
	v_dual_mov_b32 v3, v5 :: v_dual_fma_f32 v6, -v8, v16, v15
	s_delay_alu instid0(VALU_DEP_3) | instskip(NEXT) | instid1(VALU_DEP_2)
	v_mul_f32_e32 v8, v7, v7
	v_div_fmas_f32 v9, v6, v9, v16
	s_delay_alu instid0(VALU_DEP_2) | instskip(NEXT) | instid1(VALU_DEP_2)
	v_dual_mul_f32 v6, v11, v8 :: v_dual_mov_b32 v11, v14
	v_div_fixup_f32 v4, v9, v14, v12
	v_mov_b64_e32 v[8:9], -1
	s_delay_alu instid0(VALU_DEP_2)
	v_pk_fma_f32 v[4:5], v[6:7], v[4:5], v[2:3] op_sel_hi:[1,0,1]
.LBB10_11:
	s_or_b32 exec_lo, exec_lo, s5
	s_delay_alu instid0(VALU_DEP_2) | instskip(NEXT) | instid1(VALU_DEP_2)
	v_mov_b64_e32 v[6:7], v[8:9]
	v_mov_b64_e32 v[2:3], v[4:5]
	v_mov_b32_e32 v12, v11
.LBB10_12:
	s_or_b32 exec_lo, exec_lo, s4
	v_cmp_gt_u32_e32 vcc_lo, 28, v13
	s_mov_b32 s4, exec_lo
	v_cndmask_b32_e64 v4, 0, 4, vcc_lo
	s_delay_alu instid0(VALU_DEP_1)
	v_add_lshl_u32 v11, v4, v13, 2
	s_wait_dscnt 0x4
	ds_bpermute_b32 v5, v11, v3
	s_wait_dscnt 0x4
	ds_bpermute_b32 v4, v11, v2
	;; [unrolled: 2-line block ×5, first 2 shown]
	v_cmpx_neq_f32_e32 0, v12
	s_cbranch_execz .LBB10_16
; %bb.13:
	s_mov_b32 s5, exec_lo
	s_wait_dscnt 0x0
	v_cmpx_neq_f32_e32 0, v14
	s_cbranch_execz .LBB10_15
; %bb.14:
	v_add_f32_e32 v15, v12, v14
	s_delay_alu instid0(VALU_DEP_1) | instskip(SKIP_1) | instid1(VALU_DEP_2)
	v_div_scale_f32 v6, null, v15, v15, v14
	v_div_scale_f32 v16, vcc_lo, v14, v15, v14
	v_rcp_f32_e32 v7, v6
	v_nop
	s_delay_alu instid0(TRANS32_DEP_1) | instskip(NEXT) | instid1(VALU_DEP_1)
	v_fma_f32 v8, -v6, v7, 1.0
	v_fmac_f32_e32 v7, v8, v7
	s_delay_alu instid0(VALU_DEP_1) | instskip(NEXT) | instid1(VALU_DEP_1)
	v_mul_f32_e32 v17, v16, v7
	v_fma_f32 v8, -v6, v17, v16
	s_delay_alu instid0(VALU_DEP_1) | instskip(SKIP_2) | instid1(VALU_DEP_3)
	v_fmac_f32_e32 v17, v8, v7
	v_pk_add_f32 v[8:9], v[4:5], v[2:3] neg_lo:[0,1] neg_hi:[0,1]
	v_pk_add_f32 v[4:5], v[2:3], v[4:5]
	v_dual_mov_b32 v5, v3 :: v_dual_fma_f32 v6, -v6, v17, v16
	s_delay_alu instid0(VALU_DEP_3) | instskip(NEXT) | instid1(VALU_DEP_2)
	v_mul_f32_e32 v8, v9, v9
	v_div_fmas_f32 v6, v6, v7, v17
	s_delay_alu instid0(VALU_DEP_2) | instskip(NEXT) | instid1(VALU_DEP_2)
	v_dual_mul_f32 v8, v12, v8 :: v_dual_mov_b32 v12, v15
	v_div_fixup_f32 v2, v6, v15, v14
	v_mov_b64_e32 v[6:7], -1
	s_delay_alu instid0(VALU_DEP_2)
	v_pk_fma_f32 v[2:3], v[8:9], v[2:3], v[4:5] op_sel_hi:[1,0,1]
.LBB10_15:
	s_or_b32 exec_lo, exec_lo, s5
	s_delay_alu instid0(VALU_DEP_2) | instskip(NEXT) | instid1(VALU_DEP_2)
	v_mov_b64_e32 v[8:9], v[6:7]
	v_mov_b64_e32 v[4:5], v[2:3]
	v_mov_b32_e32 v14, v12
.LBB10_16:
	s_or_b32 exec_lo, exec_lo, s4
	v_cmp_gt_u32_e32 vcc_lo, 30, v13
	s_mov_b32 s4, exec_lo
	v_cndmask_b32_e64 v2, 0, 2, vcc_lo
	s_delay_alu instid0(VALU_DEP_1)
	v_add_lshl_u32 v12, v2, v13, 2
	s_wait_dscnt 0x4
	ds_bpermute_b32 v3, v12, v5
	s_wait_dscnt 0x4
	ds_bpermute_b32 v2, v12, v4
	;; [unrolled: 2-line block ×5, first 2 shown]
	v_cmpx_neq_f32_e32 0, v14
	s_cbranch_execz .LBB10_20
; %bb.17:
	s_mov_b32 s5, exec_lo
	s_wait_dscnt 0x0
	v_cmpx_neq_f32_e32 0, v15
	s_cbranch_execz .LBB10_19
; %bb.18:
	v_add_f32_e32 v16, v14, v15
	s_delay_alu instid0(VALU_DEP_1) | instskip(SKIP_1) | instid1(VALU_DEP_2)
	v_div_scale_f32 v8, null, v16, v16, v15
	v_div_scale_f32 v17, vcc_lo, v15, v16, v15
	v_rcp_f32_e32 v9, v8
	v_nop
	s_delay_alu instid0(TRANS32_DEP_1) | instskip(NEXT) | instid1(VALU_DEP_1)
	v_fma_f32 v6, -v8, v9, 1.0
	v_fmac_f32_e32 v9, v6, v9
	s_delay_alu instid0(VALU_DEP_1) | instskip(NEXT) | instid1(VALU_DEP_1)
	v_mul_f32_e32 v18, v17, v9
	v_fma_f32 v6, -v8, v18, v17
	s_delay_alu instid0(VALU_DEP_1) | instskip(SKIP_2) | instid1(VALU_DEP_3)
	v_fmac_f32_e32 v18, v6, v9
	v_pk_add_f32 v[6:7], v[2:3], v[4:5] neg_lo:[0,1] neg_hi:[0,1]
	v_pk_add_f32 v[2:3], v[4:5], v[2:3]
	v_dual_mov_b32 v3, v5 :: v_dual_fma_f32 v6, -v8, v18, v17
	s_delay_alu instid0(VALU_DEP_3) | instskip(NEXT) | instid1(VALU_DEP_2)
	v_mul_f32_e32 v8, v7, v7
	v_div_fmas_f32 v9, v6, v9, v18
	s_delay_alu instid0(VALU_DEP_2) | instskip(NEXT) | instid1(VALU_DEP_2)
	v_dual_mul_f32 v6, v14, v8 :: v_dual_mov_b32 v14, v16
	v_div_fixup_f32 v4, v9, v16, v15
	v_mov_b64_e32 v[8:9], -1
	s_delay_alu instid0(VALU_DEP_2)
	v_pk_fma_f32 v[4:5], v[6:7], v[4:5], v[2:3] op_sel_hi:[1,0,1]
.LBB10_19:
	s_or_b32 exec_lo, exec_lo, s5
	s_delay_alu instid0(VALU_DEP_2) | instskip(NEXT) | instid1(VALU_DEP_2)
	v_mov_b64_e32 v[6:7], v[8:9]
	v_mov_b64_e32 v[2:3], v[4:5]
	v_mov_b32_e32 v15, v14
.LBB10_20:
	s_or_b32 exec_lo, exec_lo, s4
	v_cmp_ne_u32_e32 vcc_lo, 31, v13
	s_mov_b32 s4, exec_lo
	v_add_co_ci_u32_e64 v4, null, 0, v13, vcc_lo
	s_delay_alu instid0(VALU_DEP_1)
	v_lshlrev_b32_e32 v13, 2, v4
	s_wait_dscnt 0x4
	ds_bpermute_b32 v5, v13, v3
	s_wait_dscnt 0x4
	ds_bpermute_b32 v4, v13, v2
	;; [unrolled: 2-line block ×5, first 2 shown]
	v_cmpx_neq_f32_e32 0, v15
	s_cbranch_execz .LBB10_24
; %bb.21:
	s_mov_b32 s5, exec_lo
	s_wait_dscnt 0x0
	v_cmpx_neq_f32_e32 0, v14
	s_cbranch_execz .LBB10_23
; %bb.22:
	v_add_f32_e32 v16, v15, v14
	s_delay_alu instid0(VALU_DEP_1) | instskip(NEXT) | instid1(VALU_DEP_1)
	v_div_scale_f32 v6, null, v16, v16, v14
	v_rcp_f32_e32 v7, v6
	v_nop
	s_delay_alu instid0(TRANS32_DEP_1) | instskip(NEXT) | instid1(VALU_DEP_1)
	v_fma_f32 v8, -v6, v7, 1.0
	v_fmac_f32_e32 v7, v8, v7
	v_div_scale_f32 v17, vcc_lo, v14, v16, v14
	s_delay_alu instid0(VALU_DEP_1) | instskip(NEXT) | instid1(VALU_DEP_1)
	v_mul_f32_e32 v18, v17, v7
	v_fma_f32 v8, -v6, v18, v17
	s_delay_alu instid0(VALU_DEP_1) | instskip(SKIP_2) | instid1(VALU_DEP_2)
	v_fmac_f32_e32 v18, v8, v7
	v_pk_add_f32 v[8:9], v[4:5], v[2:3] neg_lo:[0,1] neg_hi:[0,1]
	v_pk_add_f32 v[4:5], v[2:3], v[4:5]
	v_dual_mov_b32 v5, v3 :: v_dual_mul_f32 v8, v9, v9
	s_delay_alu instid0(VALU_DEP_1) | instskip(SKIP_1) | instid1(VALU_DEP_2)
	v_dual_fma_f32 v6, -v6, v18, v17 :: v_dual_mul_f32 v8, v15, v8
	v_mov_b32_e32 v15, v16
	v_div_fmas_f32 v6, v6, v7, v18
	s_delay_alu instid0(VALU_DEP_1) | instskip(SKIP_1) | instid1(VALU_DEP_2)
	v_div_fixup_f32 v2, v6, v16, v14
	v_mov_b64_e32 v[6:7], -1
	v_pk_fma_f32 v[2:3], v[8:9], v[2:3], v[4:5] op_sel_hi:[1,0,1]
.LBB10_23:
	s_or_b32 exec_lo, exec_lo, s5
	s_delay_alu instid0(VALU_DEP_2) | instskip(NEXT) | instid1(VALU_DEP_2)
	v_mov_b64_e32 v[8:9], v[6:7]
	v_mov_b64_e32 v[4:5], v[2:3]
	v_mov_b32_e32 v14, v15
.LBB10_24:
	s_or_b32 exec_lo, exec_lo, s4
	v_and_b32_e32 v2, 31, v0
	s_mov_b32 s4, exec_lo
	s_wait_dscnt 0x0
	s_barrier_signal -1
	s_barrier_wait -1
	v_cmpx_eq_u32_e32 0, v2
	s_cbranch_execz .LBB10_26
; %bb.25:
	v_dual_mov_b32 v6, v5 :: v_dual_lshrrev_b32 v3, 5, v0
	v_mov_b32_e32 v7, v4
	s_delay_alu instid0(VALU_DEP_2)
	v_mul_u32_u24_e32 v3, 24, v3
	ds_store_2addr_b64 v3, v[6:7], v[8:9] offset1:1
	ds_store_b32 v3, v14 offset:16
.LBB10_26:
	s_or_b32 exec_lo, exec_lo, s4
	s_wait_dscnt 0x0
	s_barrier_signal -1
	s_barrier_wait -1
	s_load_b32 s4, s[0:1], 0x34
	v_mul_u32_u24_e32 v4, 24, v2
	v_dual_mov_b32 v2, 0 :: v_dual_mov_b32 v3, 0
	s_wait_kmcnt 0x0
	s_bfe_u32 s4, s4, 0xb0005
	s_delay_alu instid0(SALU_CYCLE_1)
	v_cmp_gt_u32_e32 vcc_lo, s4, v0
	s_and_saveexec_b32 s4, vcc_lo
	s_cbranch_execnz .LBB10_55
; %bb.27:
	s_or_b32 exec_lo, exec_lo, s4
	s_and_saveexec_b32 s4, vcc_lo
	s_cbranch_execnz .LBB10_56
.LBB10_28:
	s_or_b32 exec_lo, exec_lo, s4
	v_mov_b32_e32 v8, 0
	s_and_saveexec_b32 s4, vcc_lo
.LBB10_29:
	ds_load_b32 v8, v4 offset:16
.LBB10_30:
	s_or_b32 exec_lo, exec_lo, s4
	s_delay_alu instid0(SALU_CYCLE_1)
	s_mov_b32 s4, exec_lo
	v_cmpx_gt_u32_e32 32, v0
	s_cbranch_execz .LBB10_52
; %bb.31:
	s_wait_dscnt 0x0
	ds_bpermute_b32 v5, v10, v3
	ds_bpermute_b32 v4, v10, v2
	;; [unrolled: 1-line block ×3, first 2 shown]
	s_mov_b32 s5, exec_lo
	v_cmpx_neq_f32_e32 0, v8
	s_cbranch_execz .LBB10_35
; %bb.32:
	s_mov_b32 s10, exec_lo
	s_wait_dscnt 0x0
	v_cmpx_neq_f32_e32 0, v6
	s_cbranch_execz .LBB10_34
; %bb.33:
	v_add_f32_e32 v7, v8, v6
	s_delay_alu instid0(VALU_DEP_1) | instskip(SKIP_1) | instid1(VALU_DEP_2)
	v_div_scale_f32 v9, null, v7, v7, v6
	v_div_scale_f32 v15, vcc_lo, v6, v7, v6
	v_rcp_f32_e32 v10, v9
	v_nop
	s_delay_alu instid0(TRANS32_DEP_1) | instskip(NEXT) | instid1(VALU_DEP_1)
	v_fma_f32 v14, -v9, v10, 1.0
	v_fmac_f32_e32 v10, v14, v10
	s_delay_alu instid0(VALU_DEP_1) | instskip(NEXT) | instid1(VALU_DEP_1)
	v_mul_f32_e32 v16, v15, v10
	v_fma_f32 v14, -v9, v16, v15
	s_delay_alu instid0(VALU_DEP_1) | instskip(NEXT) | instid1(VALU_DEP_1)
	v_fmac_f32_e32 v16, v14, v10
	v_fma_f32 v9, -v9, v16, v15
	v_pk_add_f32 v[14:15], v[4:5], v[2:3] neg_lo:[0,1] neg_hi:[0,1]
	v_add_f32_e32 v2, v2, v4
	s_delay_alu instid0(VALU_DEP_3) | instskip(NEXT) | instid1(VALU_DEP_3)
	v_div_fmas_f32 v5, v9, v10, v16
	v_mul_f32_e32 v9, v15, v15
	s_delay_alu instid0(VALU_DEP_2) | instskip(NEXT) | instid1(VALU_DEP_2)
	v_div_fixup_f32 v14, v5, v7, v6
	v_dual_mul_f32 v4, v8, v9 :: v_dual_mov_b32 v8, v7
	s_delay_alu instid0(VALU_DEP_2) | instskip(NEXT) | instid1(VALU_DEP_1)
	v_mov_b32_e32 v5, v14
	v_pk_fma_f32 v[2:3], v[14:15], v[4:5], v[2:3]
.LBB10_34:
	s_or_b32 exec_lo, exec_lo, s10
	s_delay_alu instid0(VALU_DEP_1)
	v_mov_b64_e32 v[4:5], v[2:3]
	v_mov_b32_e32 v6, v8
.LBB10_35:
	s_or_b32 exec_lo, exec_lo, s5
	s_wait_dscnt 0x2
	ds_bpermute_b32 v3, v1, v5
	s_wait_dscnt 0x2
	ds_bpermute_b32 v2, v1, v4
	;; [unrolled: 2-line block ×3, first 2 shown]
	s_mov_b32 s5, exec_lo
	v_cmpx_neq_f32_e32 0, v6
	s_cbranch_execz .LBB10_39
; %bb.36:
	s_mov_b32 s10, exec_lo
	s_wait_dscnt 0x0
	v_cmpx_neq_f32_e32 0, v1
	s_cbranch_execz .LBB10_38
; %bb.37:
	v_add_f32_e32 v7, v6, v1
	s_delay_alu instid0(VALU_DEP_1) | instskip(NEXT) | instid1(VALU_DEP_1)
	v_div_scale_f32 v10, null, v7, v7, v1
	v_rcp_f32_e32 v14, v10
	v_nop
	s_delay_alu instid0(TRANS32_DEP_1) | instskip(NEXT) | instid1(VALU_DEP_1)
	v_fma_f32 v8, -v10, v14, 1.0
	v_fmac_f32_e32 v14, v8, v14
	v_div_scale_f32 v15, vcc_lo, v1, v7, v1
	s_delay_alu instid0(VALU_DEP_1) | instskip(NEXT) | instid1(VALU_DEP_1)
	v_mul_f32_e32 v16, v15, v14
	v_fma_f32 v8, -v10, v16, v15
	s_delay_alu instid0(VALU_DEP_1) | instskip(SKIP_2) | instid1(VALU_DEP_3)
	v_fmac_f32_e32 v16, v8, v14
	v_pk_add_f32 v[8:9], v[2:3], v[4:5] neg_lo:[0,1] neg_hi:[0,1]
	v_pk_add_f32 v[2:3], v[4:5], v[2:3]
	v_dual_mov_b32 v3, v5 :: v_dual_fma_f32 v8, -v10, v16, v15
	s_delay_alu instid0(VALU_DEP_3) | instskip(NEXT) | instid1(VALU_DEP_2)
	v_mul_f32_e32 v10, v9, v9
	v_div_fmas_f32 v14, v8, v14, v16
	s_delay_alu instid0(VALU_DEP_2) | instskip(NEXT) | instid1(VALU_DEP_2)
	v_dual_mul_f32 v8, v6, v10 :: v_dual_mov_b32 v6, v7
	v_div_fixup_f32 v4, v14, v7, v1
	s_delay_alu instid0(VALU_DEP_1)
	v_pk_fma_f32 v[4:5], v[8:9], v[4:5], v[2:3] op_sel_hi:[1,0,1]
.LBB10_38:
	s_or_b32 exec_lo, exec_lo, s10
	s_delay_alu instid0(VALU_DEP_1)
	v_mov_b64_e32 v[2:3], v[4:5]
	v_mov_b32_e32 v1, v6
.LBB10_39:
	s_or_b32 exec_lo, exec_lo, s5
	s_wait_dscnt 0x2
	ds_bpermute_b32 v5, v11, v3
	s_wait_dscnt 0x2
	ds_bpermute_b32 v4, v11, v2
	;; [unrolled: 2-line block ×3, first 2 shown]
	s_mov_b32 s5, exec_lo
	v_cmpx_neq_f32_e32 0, v1
	s_cbranch_execz .LBB10_43
; %bb.40:
	s_mov_b32 s10, exec_lo
	s_wait_dscnt 0x0
	v_cmpx_neq_f32_e32 0, v8
	s_cbranch_execz .LBB10_42
; %bb.41:
	v_add_f32_e32 v9, v1, v8
	s_delay_alu instid0(VALU_DEP_1) | instskip(NEXT) | instid1(VALU_DEP_1)
	v_div_scale_f32 v10, null, v9, v9, v8
	v_rcp_f32_e32 v11, v10
	v_nop
	s_delay_alu instid0(TRANS32_DEP_1) | instskip(NEXT) | instid1(VALU_DEP_1)
	v_fma_f32 v6, -v10, v11, 1.0
	v_fmac_f32_e32 v11, v6, v11
	v_div_scale_f32 v14, vcc_lo, v8, v9, v8
	s_delay_alu instid0(VALU_DEP_1) | instskip(NEXT) | instid1(VALU_DEP_1)
	v_mul_f32_e32 v15, v14, v11
	v_fma_f32 v6, -v10, v15, v14
	s_delay_alu instid0(VALU_DEP_1) | instskip(SKIP_2) | instid1(VALU_DEP_3)
	v_fmac_f32_e32 v15, v6, v11
	v_pk_add_f32 v[6:7], v[4:5], v[2:3] neg_lo:[0,1] neg_hi:[0,1]
	v_pk_add_f32 v[4:5], v[2:3], v[4:5]
	v_dual_mov_b32 v5, v3 :: v_dual_fma_f32 v6, -v10, v15, v14
	s_delay_alu instid0(VALU_DEP_3) | instskip(NEXT) | instid1(VALU_DEP_2)
	v_mul_f32_e32 v10, v7, v7
	v_div_fmas_f32 v11, v6, v11, v15
	s_delay_alu instid0(VALU_DEP_2) | instskip(SKIP_1) | instid1(VALU_DEP_3)
	v_mul_f32_e32 v6, v1, v10
	v_mov_b32_e32 v1, v9
	v_div_fixup_f32 v2, v11, v9, v8
	s_delay_alu instid0(VALU_DEP_1)
	v_pk_fma_f32 v[2:3], v[6:7], v[2:3], v[4:5] op_sel_hi:[1,0,1]
.LBB10_42:
	s_or_b32 exec_lo, exec_lo, s10
	s_delay_alu instid0(VALU_DEP_1)
	v_mov_b64_e32 v[4:5], v[2:3]
	v_mov_b32_e32 v8, v1
.LBB10_43:
	s_or_b32 exec_lo, exec_lo, s5
	s_wait_dscnt 0x2
	ds_bpermute_b32 v7, v12, v5
	s_wait_dscnt 0x2
	ds_bpermute_b32 v6, v12, v4
	;; [unrolled: 2-line block ×3, first 2 shown]
	s_mov_b32 s5, exec_lo
	v_cmpx_neq_f32_e32 0, v8
	s_cbranch_execz .LBB10_47
; %bb.44:
	s_mov_b32 s10, exec_lo
	s_wait_dscnt 0x0
	v_cmpx_neq_f32_e32 0, v1
	s_cbranch_execz .LBB10_46
; %bb.45:
	v_add_f32_e32 v9, v8, v1
	s_delay_alu instid0(VALU_DEP_1) | instskip(NEXT) | instid1(VALU_DEP_1)
	v_div_scale_f32 v10, null, v9, v9, v1
	v_rcp_f32_e32 v11, v10
	v_nop
	s_delay_alu instid0(TRANS32_DEP_1) | instskip(NEXT) | instid1(VALU_DEP_1)
	v_fma_f32 v2, -v10, v11, 1.0
	v_fmac_f32_e32 v11, v2, v11
	v_div_scale_f32 v12, vcc_lo, v1, v9, v1
	s_delay_alu instid0(VALU_DEP_1) | instskip(NEXT) | instid1(VALU_DEP_1)
	v_mul_f32_e32 v14, v12, v11
	v_fma_f32 v2, -v10, v14, v12
	s_delay_alu instid0(VALU_DEP_1) | instskip(SKIP_2) | instid1(VALU_DEP_3)
	v_fmac_f32_e32 v14, v2, v11
	v_pk_add_f32 v[2:3], v[6:7], v[4:5] neg_lo:[0,1] neg_hi:[0,1]
	v_pk_add_f32 v[6:7], v[4:5], v[6:7]
	v_dual_mov_b32 v7, v5 :: v_dual_fma_f32 v2, -v10, v14, v12
	s_delay_alu instid0(VALU_DEP_3) | instskip(NEXT) | instid1(VALU_DEP_2)
	v_mul_f32_e32 v10, v3, v3
	v_div_fmas_f32 v11, v2, v11, v14
	s_delay_alu instid0(VALU_DEP_2) | instskip(NEXT) | instid1(VALU_DEP_2)
	v_dual_mul_f32 v2, v8, v10 :: v_dual_mov_b32 v8, v9
	v_div_fixup_f32 v4, v11, v9, v1
	s_delay_alu instid0(VALU_DEP_1)
	v_pk_fma_f32 v[4:5], v[2:3], v[4:5], v[6:7] op_sel_hi:[1,0,1]
.LBB10_46:
	s_or_b32 exec_lo, exec_lo, s10
	s_delay_alu instid0(VALU_DEP_1)
	v_mov_b64_e32 v[6:7], v[4:5]
	v_mov_b32_e32 v1, v8
.LBB10_47:
	s_or_b32 exec_lo, exec_lo, s5
	s_wait_dscnt 0x2
	ds_bpermute_b32 v3, v13, v7
	s_wait_dscnt 0x2
	ds_bpermute_b32 v2, v13, v6
	;; [unrolled: 2-line block ×3, first 2 shown]
	s_mov_b32 s5, exec_lo
	v_cmpx_neq_f32_e32 0, v1
	s_cbranch_execz .LBB10_51
; %bb.48:
	s_mov_b32 s10, exec_lo
	s_wait_dscnt 0x0
	v_cmpx_neq_f32_e32 0, v8
	s_cbranch_execz .LBB10_50
; %bb.49:
	v_add_f32_e32 v9, v1, v8
	s_delay_alu instid0(VALU_DEP_1) | instskip(NEXT) | instid1(VALU_DEP_1)
	v_div_scale_f32 v10, null, v9, v9, v8
	v_rcp_f32_e32 v11, v10
	v_nop
	s_delay_alu instid0(TRANS32_DEP_1) | instskip(NEXT) | instid1(VALU_DEP_1)
	v_fma_f32 v4, -v10, v11, 1.0
	v_fmac_f32_e32 v11, v4, v11
	v_div_scale_f32 v12, vcc_lo, v8, v9, v8
	s_delay_alu instid0(VALU_DEP_1) | instskip(NEXT) | instid1(VALU_DEP_1)
	v_mul_f32_e32 v13, v12, v11
	v_fma_f32 v4, -v10, v13, v12
	s_delay_alu instid0(VALU_DEP_1) | instskip(SKIP_2) | instid1(VALU_DEP_3)
	v_fmac_f32_e32 v13, v4, v11
	v_pk_add_f32 v[4:5], v[2:3], v[6:7] neg_lo:[0,1] neg_hi:[0,1]
	v_pk_add_f32 v[2:3], v[6:7], v[2:3]
	v_dual_mov_b32 v3, v7 :: v_dual_fma_f32 v4, -v10, v13, v12
	s_delay_alu instid0(VALU_DEP_3) | instskip(NEXT) | instid1(VALU_DEP_2)
	v_mul_f32_e32 v10, v5, v5
	v_div_fmas_f32 v11, v4, v11, v13
	s_delay_alu instid0(VALU_DEP_2) | instskip(SKIP_1) | instid1(VALU_DEP_3)
	v_mul_f32_e32 v4, v1, v10
	v_mov_b32_e32 v1, v9
	v_div_fixup_f32 v6, v11, v9, v8
	s_delay_alu instid0(VALU_DEP_1)
	v_pk_fma_f32 v[6:7], v[4:5], v[6:7], v[2:3] op_sel_hi:[1,0,1]
.LBB10_50:
	s_or_b32 exec_lo, exec_lo, s10
	s_delay_alu instid0(VALU_DEP_1)
	v_mov_b64_e32 v[2:3], v[6:7]
	v_mov_b32_e32 v8, v1
.LBB10_51:
	s_or_b32 exec_lo, exec_lo, s5
.LBB10_52:
	s_delay_alu instid0(SALU_CYCLE_1) | instskip(NEXT) | instid1(SALU_CYCLE_1)
	s_or_b32 exec_lo, exec_lo, s4
	s_mov_b32 s4, exec_lo
	v_cmpx_eq_u32_e32 0, v0
	s_cbranch_execz .LBB10_54
; %bb.53:
	s_wait_dscnt 0x0
	v_max_num_f32_e32 v0, v8, v8
	s_load_b32 s0, s[0:1], 0x8
	s_delay_alu instid0(VALU_DEP_1) | instskip(NEXT) | instid1(VALU_DEP_1)
	v_max_num_f32_e32 v0, 0, v0
	v_div_scale_f32 v1, null, v0, v0, v2
	s_delay_alu instid0(VALU_DEP_1) | instskip(SKIP_1) | instid1(TRANS32_DEP_1)
	v_rcp_f32_e32 v4, v1
	v_nop
	v_fma_f32 v5, -v1, v4, 1.0
	s_delay_alu instid0(VALU_DEP_1) | instskip(SKIP_1) | instid1(VALU_DEP_1)
	v_fmac_f32_e32 v4, v5, v4
	v_div_scale_f32 v5, vcc_lo, v2, v0, v2
	v_mul_f32_e32 v6, v5, v4
	s_delay_alu instid0(VALU_DEP_1) | instskip(NEXT) | instid1(VALU_DEP_1)
	v_fma_f32 v7, -v1, v6, v5
	v_fmac_f32_e32 v6, v7, v4
	s_delay_alu instid0(VALU_DEP_1) | instskip(NEXT) | instid1(VALU_DEP_1)
	v_fma_f32 v1, -v1, v6, v5
	v_div_fmas_f32 v1, v1, v4, v6
	s_delay_alu instid0(VALU_DEP_1) | instskip(SKIP_1) | instid1(VALU_DEP_1)
	v_div_fixup_f32 v0, v1, v0, v2
	s_wait_kmcnt 0x0
	v_dual_mov_b32 v2, 0 :: v_dual_add_f32 v0, s0, v0
	s_lshl_b64 s[0:1], s[8:9], 2
	s_delay_alu instid0(SALU_CYCLE_1) | instskip(SKIP_1) | instid1(VALU_DEP_1)
	s_add_nc_u64 s[4:5], s[6:7], s[0:1]
	s_add_nc_u64 s[0:1], s[2:3], s[0:1]
	v_mul_f32_e32 v1, 0x4b800000, v0
	v_cmp_gt_f32_e32 vcc_lo, 0x800000, v0
	s_delay_alu instid0(VALU_DEP_2) | instskip(NEXT) | instid1(VALU_DEP_1)
	v_cndmask_b32_e32 v0, v0, v1, vcc_lo
	v_rsq_f32_e32 v0, v0
	v_nop
	s_delay_alu instid0(TRANS32_DEP_1) | instskip(NEXT) | instid1(VALU_DEP_1)
	v_mul_f32_e32 v1, 0x45800000, v0
	v_cndmask_b32_e32 v0, v0, v1, vcc_lo
	s_clause 0x1
	global_store_b32 v2, v3, s[4:5]
	global_store_b32 v2, v0, s[0:1]
.LBB10_54:
	s_endpgm
.LBB10_55:
	ds_load_b32 v3, v4
	s_or_b32 exec_lo, exec_lo, s4
	s_and_saveexec_b32 s4, vcc_lo
	s_cbranch_execz .LBB10_28
.LBB10_56:
	ds_load_b32 v2, v4 offset:4
	s_or_b32 exec_lo, exec_lo, s4
	v_mov_b32_e32 v8, 0
	s_and_saveexec_b32 s4, vcc_lo
	s_cbranch_execnz .LBB10_29
	s_branch .LBB10_30
	.section	.rodata,"a",@progbits
	.p2align	6, 0x0
	.amdhsa_kernel _ZN2at6native12_GLOBAL__N_124RowwiseMomentsCUDAKernelIN3c108BFloat16EfLb0EEEvlT0_PKT_PS5_S9_
		.amdhsa_group_segment_fixed_size 768
		.amdhsa_private_segment_fixed_size 0
		.amdhsa_kernarg_size 296
		.amdhsa_user_sgpr_count 2
		.amdhsa_user_sgpr_dispatch_ptr 0
		.amdhsa_user_sgpr_queue_ptr 0
		.amdhsa_user_sgpr_kernarg_segment_ptr 1
		.amdhsa_user_sgpr_dispatch_id 0
		.amdhsa_user_sgpr_kernarg_preload_length 0
		.amdhsa_user_sgpr_kernarg_preload_offset 0
		.amdhsa_user_sgpr_private_segment_size 0
		.amdhsa_wavefront_size32 1
		.amdhsa_uses_dynamic_stack 0
		.amdhsa_enable_private_segment 0
		.amdhsa_system_sgpr_workgroup_id_x 1
		.amdhsa_system_sgpr_workgroup_id_y 0
		.amdhsa_system_sgpr_workgroup_id_z 0
		.amdhsa_system_sgpr_workgroup_info 0
		.amdhsa_system_vgpr_workitem_id 0
		.amdhsa_next_free_vgpr 19
		.amdhsa_next_free_sgpr 21
		.amdhsa_named_barrier_count 0
		.amdhsa_reserve_vcc 1
		.amdhsa_float_round_mode_32 0
		.amdhsa_float_round_mode_16_64 0
		.amdhsa_float_denorm_mode_32 3
		.amdhsa_float_denorm_mode_16_64 3
		.amdhsa_fp16_overflow 0
		.amdhsa_memory_ordered 1
		.amdhsa_forward_progress 1
		.amdhsa_inst_pref_size 28
		.amdhsa_round_robin_scheduling 0
		.amdhsa_exception_fp_ieee_invalid_op 0
		.amdhsa_exception_fp_denorm_src 0
		.amdhsa_exception_fp_ieee_div_zero 0
		.amdhsa_exception_fp_ieee_overflow 0
		.amdhsa_exception_fp_ieee_underflow 0
		.amdhsa_exception_fp_ieee_inexact 0
		.amdhsa_exception_int_div_zero 0
	.end_amdhsa_kernel
	.section	.text._ZN2at6native12_GLOBAL__N_124RowwiseMomentsCUDAKernelIN3c108BFloat16EfLb0EEEvlT0_PKT_PS5_S9_,"axG",@progbits,_ZN2at6native12_GLOBAL__N_124RowwiseMomentsCUDAKernelIN3c108BFloat16EfLb0EEEvlT0_PKT_PS5_S9_,comdat
.Lfunc_end10:
	.size	_ZN2at6native12_GLOBAL__N_124RowwiseMomentsCUDAKernelIN3c108BFloat16EfLb0EEEvlT0_PKT_PS5_S9_, .Lfunc_end10-_ZN2at6native12_GLOBAL__N_124RowwiseMomentsCUDAKernelIN3c108BFloat16EfLb0EEEvlT0_PKT_PS5_S9_
                                        ; -- End function
	.set _ZN2at6native12_GLOBAL__N_124RowwiseMomentsCUDAKernelIN3c108BFloat16EfLb0EEEvlT0_PKT_PS5_S9_.num_vgpr, 19
	.set _ZN2at6native12_GLOBAL__N_124RowwiseMomentsCUDAKernelIN3c108BFloat16EfLb0EEEvlT0_PKT_PS5_S9_.num_agpr, 0
	.set _ZN2at6native12_GLOBAL__N_124RowwiseMomentsCUDAKernelIN3c108BFloat16EfLb0EEEvlT0_PKT_PS5_S9_.numbered_sgpr, 21
	.set _ZN2at6native12_GLOBAL__N_124RowwiseMomentsCUDAKernelIN3c108BFloat16EfLb0EEEvlT0_PKT_PS5_S9_.num_named_barrier, 0
	.set _ZN2at6native12_GLOBAL__N_124RowwiseMomentsCUDAKernelIN3c108BFloat16EfLb0EEEvlT0_PKT_PS5_S9_.private_seg_size, 0
	.set _ZN2at6native12_GLOBAL__N_124RowwiseMomentsCUDAKernelIN3c108BFloat16EfLb0EEEvlT0_PKT_PS5_S9_.uses_vcc, 1
	.set _ZN2at6native12_GLOBAL__N_124RowwiseMomentsCUDAKernelIN3c108BFloat16EfLb0EEEvlT0_PKT_PS5_S9_.uses_flat_scratch, 0
	.set _ZN2at6native12_GLOBAL__N_124RowwiseMomentsCUDAKernelIN3c108BFloat16EfLb0EEEvlT0_PKT_PS5_S9_.has_dyn_sized_stack, 0
	.set _ZN2at6native12_GLOBAL__N_124RowwiseMomentsCUDAKernelIN3c108BFloat16EfLb0EEEvlT0_PKT_PS5_S9_.has_recursion, 0
	.set _ZN2at6native12_GLOBAL__N_124RowwiseMomentsCUDAKernelIN3c108BFloat16EfLb0EEEvlT0_PKT_PS5_S9_.has_indirect_call, 0
	.section	.AMDGPU.csdata,"",@progbits
; Kernel info:
; codeLenInByte = 3468
; TotalNumSgprs: 23
; NumVgprs: 19
; ScratchSize: 0
; MemoryBound: 0
; FloatMode: 240
; IeeeMode: 1
; LDSByteSize: 768 bytes/workgroup (compile time only)
; SGPRBlocks: 0
; VGPRBlocks: 1
; NumSGPRsForWavesPerEU: 23
; NumVGPRsForWavesPerEU: 19
; NamedBarCnt: 0
; Occupancy: 16
; WaveLimiterHint : 0
; COMPUTE_PGM_RSRC2:SCRATCH_EN: 0
; COMPUTE_PGM_RSRC2:USER_SGPR: 2
; COMPUTE_PGM_RSRC2:TRAP_HANDLER: 0
; COMPUTE_PGM_RSRC2:TGID_X_EN: 1
; COMPUTE_PGM_RSRC2:TGID_Y_EN: 0
; COMPUTE_PGM_RSRC2:TGID_Z_EN: 0
; COMPUTE_PGM_RSRC2:TIDIG_COMP_CNT: 0
	.section	.text._ZN2at6native12_GLOBAL__N_126LayerNormForwardCUDAKernelIN3c108BFloat16EfLb0EEEvlPKT_PKT0_SA_S7_S7_PS5_,"axG",@progbits,_ZN2at6native12_GLOBAL__N_126LayerNormForwardCUDAKernelIN3c108BFloat16EfLb0EEEvlPKT_PKT0_SA_S7_S7_PS5_,comdat
	.globl	_ZN2at6native12_GLOBAL__N_126LayerNormForwardCUDAKernelIN3c108BFloat16EfLb0EEEvlPKT_PKT0_SA_S7_S7_PS5_ ; -- Begin function _ZN2at6native12_GLOBAL__N_126LayerNormForwardCUDAKernelIN3c108BFloat16EfLb0EEEvlPKT_PKT0_SA_S7_S7_PS5_
	.p2align	8
	.type	_ZN2at6native12_GLOBAL__N_126LayerNormForwardCUDAKernelIN3c108BFloat16EfLb0EEEvlPKT_PKT0_SA_S7_S7_PS5_,@function
_ZN2at6native12_GLOBAL__N_126LayerNormForwardCUDAKernelIN3c108BFloat16EfLb0EEEvlPKT_PKT0_SA_S7_S7_PS5_: ; @_ZN2at6native12_GLOBAL__N_126LayerNormForwardCUDAKernelIN3c108BFloat16EfLb0EEEvlPKT_PKT0_SA_S7_S7_PS5_
; %bb.0:
	s_load_b256 s[4:11], s[0:1], 0x0
	v_mov_b32_e32 v1, 0
	s_mov_b32 s2, exec_lo
	s_wait_kmcnt 0x0
	s_delay_alu instid0(VALU_DEP_1)
	v_cmpx_gt_i64_e64 s[4:5], v[0:1]
	s_cbranch_execz .LBB11_8
; %bb.1:
	s_bfe_u32 s2, ttmp6, 0x4000c
	s_load_b256 s[12:19], s[0:1], 0x20
	s_add_co_i32 s2, s2, 1
	s_and_b32 s3, ttmp6, 15
	s_mul_i32 s2, ttmp9, s2
	s_wait_kmcnt 0x0
	s_getreg_b32 s18, hwreg(HW_REG_IB_STS2, 6, 4)
	s_add_co_i32 s3, s3, s2
	s_load_b32 s0, s[0:1], 0x44
	s_cmp_eq_u32 s18, 0
	v_dual_mov_b32 v3, v1 :: v_dual_lshlrev_b32 v2, 1, v0
	s_cselect_b32 s2, ttmp9, s3
	s_wait_xcnt 0x0
	s_load_b32 s1, s[8:9], s2 offset:0x0 scale_offset
	s_load_b32 s18, s[10:11], s2 offset:0x0 scale_offset
	s_mov_b32 s3, 0
	s_wait_xcnt 0x0
	s_mul_u64 s[10:11], s[4:5], s[2:3]
	s_mov_b32 s9, s3
	s_cmp_lg_u64 s[12:13], 0
	s_cselect_b32 s19, -1, 0
	s_cmp_lg_u64 s[14:15], 0
	s_cselect_b32 s20, -1, 0
	s_lshl_b64 s[10:11], s[10:11], 1
	s_wait_kmcnt 0x0
	s_and_b32 s8, s0, 0xffff
	s_add_nc_u64 s[6:7], s[6:7], s[10:11]
	s_lshl_b32 s2, s8, 1
	s_add_nc_u64 s[10:11], s[16:17], s[10:11]
	s_mov_b32 s16, s3
	s_branch .LBB11_4
.LBB11_2:                               ;   in Loop: Header=BB11_4 Depth=1
	v_add_nc_u64_e32 v[6:7], s[14:15], v[2:3]
	global_load_u16 v4, v[6:7], off
	s_wait_loadcnt 0x0
	v_lshlrev_b32_e32 v4, 16, v4
.LBB11_3:                               ;   in Loop: Header=BB11_4 Depth=1
	s_wait_xcnt 0x0
	v_add_nc_u64_e32 v[6:7], s[6:7], v[2:3]
	v_add_nc_u64_e32 v[0:1], s[8:9], v[0:1]
	global_load_u16 v6, v[6:7], off
	v_cmp_le_i64_e32 vcc_lo, s[4:5], v[0:1]
	s_or_b32 s16, vcc_lo, s16
	s_wait_loadcnt 0x0
	s_wait_xcnt 0x0
	v_lshlrev_b32_e32 v6, 16, v6
	s_delay_alu instid0(VALU_DEP_1) | instskip(NEXT) | instid1(VALU_DEP_1)
	v_subrev_f32_e32 v6, s1, v6
	v_mul_f32_e32 v6, s18, v6
	s_delay_alu instid0(VALU_DEP_1) | instskip(SKIP_2) | instid1(VALU_DEP_3)
	v_fmac_f32_e32 v4, v5, v6
	v_add_nc_u64_e32 v[6:7], s[10:11], v[2:3]
	v_add_nc_u64_e32 v[2:3], s[2:3], v[2:3]
	v_bfe_u32 v5, v4, 16, 1
	v_cmp_o_f32_e64 s0, v4, v4
	s_delay_alu instid0(VALU_DEP_2) | instskip(NEXT) | instid1(VALU_DEP_1)
	v_add3_u32 v5, v4, v5, 0x7fff
	v_lshrrev_b32_e32 v5, 16, v5
	s_delay_alu instid0(VALU_DEP_1)
	v_cndmask_b32_e64 v4, 0x7fc0, v5, s0
	global_store_b16 v[6:7], v4, off
	s_wait_xcnt 0x0
	s_and_not1_b32 exec_lo, exec_lo, s16
	s_cbranch_execz .LBB11_8
.LBB11_4:                               ; =>This Inner Loop Header: Depth=1
	s_and_not1_b32 vcc_lo, exec_lo, s19
	s_cbranch_vccnz .LBB11_6
; %bb.5:                                ;   in Loop: Header=BB11_4 Depth=1
	v_add_nc_u64_e32 v[4:5], s[12:13], v[2:3]
	global_load_u16 v4, v[4:5], off
	s_wait_loadcnt 0x0
	s_wait_xcnt 0x0
	v_lshlrev_b32_e32 v5, 16, v4
	s_and_not1_b32 vcc_lo, exec_lo, s20
	s_cbranch_vccz .LBB11_2
	s_branch .LBB11_7
.LBB11_6:                               ;   in Loop: Header=BB11_4 Depth=1
	v_mov_b32_e32 v5, 1.0
	s_and_not1_b32 vcc_lo, exec_lo, s20
	s_cbranch_vccz .LBB11_2
.LBB11_7:                               ;   in Loop: Header=BB11_4 Depth=1
	v_mov_b32_e32 v4, 0
	s_branch .LBB11_3
.LBB11_8:
	s_endpgm
	.section	.rodata,"a",@progbits
	.p2align	6, 0x0
	.amdhsa_kernel _ZN2at6native12_GLOBAL__N_126LayerNormForwardCUDAKernelIN3c108BFloat16EfLb0EEEvlPKT_PKT0_SA_S7_S7_PS5_
		.amdhsa_group_segment_fixed_size 0
		.amdhsa_private_segment_fixed_size 0
		.amdhsa_kernarg_size 312
		.amdhsa_user_sgpr_count 2
		.amdhsa_user_sgpr_dispatch_ptr 0
		.amdhsa_user_sgpr_queue_ptr 0
		.amdhsa_user_sgpr_kernarg_segment_ptr 1
		.amdhsa_user_sgpr_dispatch_id 0
		.amdhsa_user_sgpr_kernarg_preload_length 0
		.amdhsa_user_sgpr_kernarg_preload_offset 0
		.amdhsa_user_sgpr_private_segment_size 0
		.amdhsa_wavefront_size32 1
		.amdhsa_uses_dynamic_stack 0
		.amdhsa_enable_private_segment 0
		.amdhsa_system_sgpr_workgroup_id_x 1
		.amdhsa_system_sgpr_workgroup_id_y 0
		.amdhsa_system_sgpr_workgroup_id_z 0
		.amdhsa_system_sgpr_workgroup_info 0
		.amdhsa_system_vgpr_workitem_id 0
		.amdhsa_next_free_vgpr 8
		.amdhsa_next_free_sgpr 21
		.amdhsa_named_barrier_count 0
		.amdhsa_reserve_vcc 1
		.amdhsa_float_round_mode_32 0
		.amdhsa_float_round_mode_16_64 0
		.amdhsa_float_denorm_mode_32 3
		.amdhsa_float_denorm_mode_16_64 3
		.amdhsa_fp16_overflow 0
		.amdhsa_memory_ordered 1
		.amdhsa_forward_progress 1
		.amdhsa_inst_pref_size 4
		.amdhsa_round_robin_scheduling 0
		.amdhsa_exception_fp_ieee_invalid_op 0
		.amdhsa_exception_fp_denorm_src 0
		.amdhsa_exception_fp_ieee_div_zero 0
		.amdhsa_exception_fp_ieee_overflow 0
		.amdhsa_exception_fp_ieee_underflow 0
		.amdhsa_exception_fp_ieee_inexact 0
		.amdhsa_exception_int_div_zero 0
	.end_amdhsa_kernel
	.section	.text._ZN2at6native12_GLOBAL__N_126LayerNormForwardCUDAKernelIN3c108BFloat16EfLb0EEEvlPKT_PKT0_SA_S7_S7_PS5_,"axG",@progbits,_ZN2at6native12_GLOBAL__N_126LayerNormForwardCUDAKernelIN3c108BFloat16EfLb0EEEvlPKT_PKT0_SA_S7_S7_PS5_,comdat
.Lfunc_end11:
	.size	_ZN2at6native12_GLOBAL__N_126LayerNormForwardCUDAKernelIN3c108BFloat16EfLb0EEEvlPKT_PKT0_SA_S7_S7_PS5_, .Lfunc_end11-_ZN2at6native12_GLOBAL__N_126LayerNormForwardCUDAKernelIN3c108BFloat16EfLb0EEEvlPKT_PKT0_SA_S7_S7_PS5_
                                        ; -- End function
	.set _ZN2at6native12_GLOBAL__N_126LayerNormForwardCUDAKernelIN3c108BFloat16EfLb0EEEvlPKT_PKT0_SA_S7_S7_PS5_.num_vgpr, 8
	.set _ZN2at6native12_GLOBAL__N_126LayerNormForwardCUDAKernelIN3c108BFloat16EfLb0EEEvlPKT_PKT0_SA_S7_S7_PS5_.num_agpr, 0
	.set _ZN2at6native12_GLOBAL__N_126LayerNormForwardCUDAKernelIN3c108BFloat16EfLb0EEEvlPKT_PKT0_SA_S7_S7_PS5_.numbered_sgpr, 21
	.set _ZN2at6native12_GLOBAL__N_126LayerNormForwardCUDAKernelIN3c108BFloat16EfLb0EEEvlPKT_PKT0_SA_S7_S7_PS5_.num_named_barrier, 0
	.set _ZN2at6native12_GLOBAL__N_126LayerNormForwardCUDAKernelIN3c108BFloat16EfLb0EEEvlPKT_PKT0_SA_S7_S7_PS5_.private_seg_size, 0
	.set _ZN2at6native12_GLOBAL__N_126LayerNormForwardCUDAKernelIN3c108BFloat16EfLb0EEEvlPKT_PKT0_SA_S7_S7_PS5_.uses_vcc, 1
	.set _ZN2at6native12_GLOBAL__N_126LayerNormForwardCUDAKernelIN3c108BFloat16EfLb0EEEvlPKT_PKT0_SA_S7_S7_PS5_.uses_flat_scratch, 0
	.set _ZN2at6native12_GLOBAL__N_126LayerNormForwardCUDAKernelIN3c108BFloat16EfLb0EEEvlPKT_PKT0_SA_S7_S7_PS5_.has_dyn_sized_stack, 0
	.set _ZN2at6native12_GLOBAL__N_126LayerNormForwardCUDAKernelIN3c108BFloat16EfLb0EEEvlPKT_PKT0_SA_S7_S7_PS5_.has_recursion, 0
	.set _ZN2at6native12_GLOBAL__N_126LayerNormForwardCUDAKernelIN3c108BFloat16EfLb0EEEvlPKT_PKT0_SA_S7_S7_PS5_.has_indirect_call, 0
	.section	.AMDGPU.csdata,"",@progbits
; Kernel info:
; codeLenInByte = 432
; TotalNumSgprs: 23
; NumVgprs: 8
; ScratchSize: 0
; MemoryBound: 0
; FloatMode: 240
; IeeeMode: 1
; LDSByteSize: 0 bytes/workgroup (compile time only)
; SGPRBlocks: 0
; VGPRBlocks: 0
; NumSGPRsForWavesPerEU: 23
; NumVGPRsForWavesPerEU: 8
; NamedBarCnt: 0
; Occupancy: 16
; WaveLimiterHint : 0
; COMPUTE_PGM_RSRC2:SCRATCH_EN: 0
; COMPUTE_PGM_RSRC2:USER_SGPR: 2
; COMPUTE_PGM_RSRC2:TRAP_HANDLER: 0
; COMPUTE_PGM_RSRC2:TGID_X_EN: 1
; COMPUTE_PGM_RSRC2:TGID_Y_EN: 0
; COMPUTE_PGM_RSRC2:TGID_Z_EN: 0
; COMPUTE_PGM_RSRC2:TIDIG_COMP_CNT: 0
	.section	.text.unlikely._ZN2at6native12_GLOBAL__N_128vectorized_layer_norm_kernelIddLb1EEEviT0_PKT_S6_S6_PS3_S7_PS4_,"axG",@progbits,_ZN2at6native12_GLOBAL__N_128vectorized_layer_norm_kernelIddLb1EEEviT0_PKT_S6_S6_PS3_S7_PS4_,comdat
	.globl	_ZN2at6native12_GLOBAL__N_128vectorized_layer_norm_kernelIddLb1EEEviT0_PKT_S6_S6_PS3_S7_PS4_ ; -- Begin function _ZN2at6native12_GLOBAL__N_128vectorized_layer_norm_kernelIddLb1EEEviT0_PKT_S6_S6_PS3_S7_PS4_
	.p2align	8
	.type	_ZN2at6native12_GLOBAL__N_128vectorized_layer_norm_kernelIddLb1EEEviT0_PKT_S6_S6_PS3_S7_PS4_,@function
_ZN2at6native12_GLOBAL__N_128vectorized_layer_norm_kernelIddLb1EEEviT0_PKT_S6_S6_PS3_S7_PS4_: ; @_ZN2at6native12_GLOBAL__N_128vectorized_layer_norm_kernelIddLb1EEEviT0_PKT_S6_S6_PS3_S7_PS4_
; %bb.0:
	s_trap 2
	.section	.rodata,"a",@progbits
	.p2align	6, 0x0
	.amdhsa_kernel _ZN2at6native12_GLOBAL__N_128vectorized_layer_norm_kernelIddLb1EEEviT0_PKT_S6_S6_PS3_S7_PS4_
		.amdhsa_group_segment_fixed_size 0
		.amdhsa_private_segment_fixed_size 0
		.amdhsa_kernarg_size 64
		.amdhsa_user_sgpr_count 2
		.amdhsa_user_sgpr_dispatch_ptr 0
		.amdhsa_user_sgpr_queue_ptr 0
		.amdhsa_user_sgpr_kernarg_segment_ptr 1
		.amdhsa_user_sgpr_dispatch_id 0
		.amdhsa_user_sgpr_kernarg_preload_length 0
		.amdhsa_user_sgpr_kernarg_preload_offset 0
		.amdhsa_user_sgpr_private_segment_size 0
		.amdhsa_wavefront_size32 1
		.amdhsa_uses_dynamic_stack 0
		.amdhsa_enable_private_segment 0
		.amdhsa_system_sgpr_workgroup_id_x 1
		.amdhsa_system_sgpr_workgroup_id_y 0
		.amdhsa_system_sgpr_workgroup_id_z 0
		.amdhsa_system_sgpr_workgroup_info 0
		.amdhsa_system_vgpr_workitem_id 0
		.amdhsa_next_free_vgpr 1
		.amdhsa_next_free_sgpr 1
		.amdhsa_named_barrier_count 0
		.amdhsa_reserve_vcc 0
		.amdhsa_float_round_mode_32 0
		.amdhsa_float_round_mode_16_64 0
		.amdhsa_float_denorm_mode_32 3
		.amdhsa_float_denorm_mode_16_64 3
		.amdhsa_fp16_overflow 0
		.amdhsa_memory_ordered 1
		.amdhsa_forward_progress 1
		.amdhsa_inst_pref_size 1
		.amdhsa_round_robin_scheduling 0
		.amdhsa_exception_fp_ieee_invalid_op 0
		.amdhsa_exception_fp_denorm_src 0
		.amdhsa_exception_fp_ieee_div_zero 0
		.amdhsa_exception_fp_ieee_overflow 0
		.amdhsa_exception_fp_ieee_underflow 0
		.amdhsa_exception_fp_ieee_inexact 0
		.amdhsa_exception_int_div_zero 0
	.end_amdhsa_kernel
	.section	.text.unlikely._ZN2at6native12_GLOBAL__N_128vectorized_layer_norm_kernelIddLb1EEEviT0_PKT_S6_S6_PS3_S7_PS4_,"axG",@progbits,_ZN2at6native12_GLOBAL__N_128vectorized_layer_norm_kernelIddLb1EEEviT0_PKT_S6_S6_PS3_S7_PS4_,comdat
.Lfunc_end12:
	.size	_ZN2at6native12_GLOBAL__N_128vectorized_layer_norm_kernelIddLb1EEEviT0_PKT_S6_S6_PS3_S7_PS4_, .Lfunc_end12-_ZN2at6native12_GLOBAL__N_128vectorized_layer_norm_kernelIddLb1EEEviT0_PKT_S6_S6_PS3_S7_PS4_
                                        ; -- End function
	.set _ZN2at6native12_GLOBAL__N_128vectorized_layer_norm_kernelIddLb1EEEviT0_PKT_S6_S6_PS3_S7_PS4_.num_vgpr, 0
	.set _ZN2at6native12_GLOBAL__N_128vectorized_layer_norm_kernelIddLb1EEEviT0_PKT_S6_S6_PS3_S7_PS4_.num_agpr, 0
	.set _ZN2at6native12_GLOBAL__N_128vectorized_layer_norm_kernelIddLb1EEEviT0_PKT_S6_S6_PS3_S7_PS4_.numbered_sgpr, 0
	.set _ZN2at6native12_GLOBAL__N_128vectorized_layer_norm_kernelIddLb1EEEviT0_PKT_S6_S6_PS3_S7_PS4_.num_named_barrier, 0
	.set _ZN2at6native12_GLOBAL__N_128vectorized_layer_norm_kernelIddLb1EEEviT0_PKT_S6_S6_PS3_S7_PS4_.private_seg_size, 0
	.set _ZN2at6native12_GLOBAL__N_128vectorized_layer_norm_kernelIddLb1EEEviT0_PKT_S6_S6_PS3_S7_PS4_.uses_vcc, 0
	.set _ZN2at6native12_GLOBAL__N_128vectorized_layer_norm_kernelIddLb1EEEviT0_PKT_S6_S6_PS3_S7_PS4_.uses_flat_scratch, 0
	.set _ZN2at6native12_GLOBAL__N_128vectorized_layer_norm_kernelIddLb1EEEviT0_PKT_S6_S6_PS3_S7_PS4_.has_dyn_sized_stack, 0
	.set _ZN2at6native12_GLOBAL__N_128vectorized_layer_norm_kernelIddLb1EEEviT0_PKT_S6_S6_PS3_S7_PS4_.has_recursion, 0
	.set _ZN2at6native12_GLOBAL__N_128vectorized_layer_norm_kernelIddLb1EEEviT0_PKT_S6_S6_PS3_S7_PS4_.has_indirect_call, 0
	.section	.AMDGPU.csdata,"",@progbits
; Kernel info:
; codeLenInByte = 4
; TotalNumSgprs: 0
; NumVgprs: 0
; ScratchSize: 0
; MemoryBound: 0
; FloatMode: 240
; IeeeMode: 1
; LDSByteSize: 0 bytes/workgroup (compile time only)
; SGPRBlocks: 0
; VGPRBlocks: 0
; NumSGPRsForWavesPerEU: 1
; NumVGPRsForWavesPerEU: 1
; NamedBarCnt: 0
; Occupancy: 16
; WaveLimiterHint : 0
; COMPUTE_PGM_RSRC2:SCRATCH_EN: 0
; COMPUTE_PGM_RSRC2:USER_SGPR: 2
; COMPUTE_PGM_RSRC2:TRAP_HANDLER: 0
; COMPUTE_PGM_RSRC2:TGID_X_EN: 1
; COMPUTE_PGM_RSRC2:TGID_Y_EN: 0
; COMPUTE_PGM_RSRC2:TGID_Z_EN: 0
; COMPUTE_PGM_RSRC2:TIDIG_COMP_CNT: 0
	.section	.text._ZN2at6native12_GLOBAL__N_124RowwiseMomentsCUDAKernelIddLb1EEEvlT0_PKT_PS3_S7_,"axG",@progbits,_ZN2at6native12_GLOBAL__N_124RowwiseMomentsCUDAKernelIddLb1EEEvlT0_PKT_PS3_S7_,comdat
	.globl	_ZN2at6native12_GLOBAL__N_124RowwiseMomentsCUDAKernelIddLb1EEEvlT0_PKT_PS3_S7_ ; -- Begin function _ZN2at6native12_GLOBAL__N_124RowwiseMomentsCUDAKernelIddLb1EEEvlT0_PKT_PS3_S7_
	.p2align	8
	.type	_ZN2at6native12_GLOBAL__N_124RowwiseMomentsCUDAKernelIddLb1EEEvlT0_PKT_PS3_S7_,@function
_ZN2at6native12_GLOBAL__N_124RowwiseMomentsCUDAKernelIddLb1EEEvlT0_PKT_PS3_S7_: ; @_ZN2at6native12_GLOBAL__N_124RowwiseMomentsCUDAKernelIddLb1EEEvlT0_PKT_PS3_S7_
; %bb.0:
	s_clause 0x1
	s_load_b128 s[4:7], s[0:1], 0x0
	s_load_b64 s[12:13], s[0:1], 0x10
	s_bfe_u32 s3, ttmp6, 0x4000c
	s_and_b32 s2, ttmp6, 15
	s_add_co_i32 s3, s3, 1
	v_mov_b64_e32 v[14:15], 0
	v_mov_b64_e32 v[6:7], 0
	;; [unrolled: 1-line block ×3, first 2 shown]
	s_mul_i32 s3, ttmp9, s3
	v_mov_b64_e32 v[4:5], 0
	s_getreg_b32 s8, hwreg(HW_REG_IB_STS2, 6, 4)
	v_mov_b32_e32 v1, 0
	s_add_co_i32 s2, s2, s3
	s_cmp_eq_u32 s8, 0
	s_mov_b32 s3, 0
	s_cselect_b32 s2, ttmp9, s2
	s_mov_b32 s14, exec_lo
	s_wait_kmcnt 0x0
	v_cmpx_gt_i64_e64 s[4:5], v[0:1]
	s_cbranch_execz .LBB13_4
; %bb.1:
	s_load_b32 s8, s[0:1], 0x34
	s_mul_u64 s[16:17], s[4:5], s[2:3]
	v_dual_mov_b32 v7, v1 :: v_dual_lshlrev_b32 v6, 3, v0
	s_lshl_b64 s[16:17], s[16:17], 3
	v_mov_b64_e32 v[2:3], 0
	s_add_nc_u64 s[12:13], s[12:13], s[16:17]
	v_mov_b64_e32 v[4:5], 0
	v_add_nc_u64_e32 v[8:9], s[12:13], v[6:7]
	v_mov_b64_e32 v[10:11], v[0:1]
	s_mov_b32 s9, s3
	s_mov_b32 s11, s3
	s_mov_b64 s[12:13], 0
	s_mov_b32 s15, s3
	s_wait_kmcnt 0x0
	s_and_b32 s8, s8, 0xffff
	s_delay_alu instid0(SALU_CYCLE_1)
	s_lshl_b32 s10, s8, 3
.LBB13_2:                               ; =>This Inner Loop Header: Depth=1
	global_load_b64 v[12:13], v[8:9], off
	s_add_nc_u64 s[12:13], s[12:13], 1
	v_add_nc_u64_e32 v[10:11], s[8:9], v[10:11]
	v_cvt_f64_u32_e32 v[6:7], s13
	v_cvt_f64_u32_e32 v[14:15], s12
	s_wait_xcnt 0x0
	v_add_nc_u64_e32 v[8:9], s[10:11], v[8:9]
	s_delay_alu instid0(VALU_DEP_3) | instskip(NEXT) | instid1(VALU_DEP_1)
	v_ldexp_f64 v[6:7], v[6:7], 32
	v_add_f64_e32 v[6:7], v[6:7], v[14:15]
	s_wait_loadcnt 0x0
	v_add_f64_e64 v[14:15], v[12:13], -v[4:5]
	s_delay_alu instid0(VALU_DEP_1) | instskip(SKIP_1) | instid1(VALU_DEP_2)
	v_div_scale_f64 v[16:17], null, v[6:7], v[6:7], v[14:15]
	v_div_scale_f64 v[22:23], vcc_lo, v[14:15], v[6:7], v[14:15]
	v_rcp_f64_e32 v[18:19], v[16:17]
	v_nop
	s_delay_alu instid0(TRANS32_DEP_1) | instskip(NEXT) | instid1(VALU_DEP_1)
	v_fma_f64 v[20:21], -v[16:17], v[18:19], 1.0
	v_fmac_f64_e32 v[18:19], v[18:19], v[20:21]
	s_delay_alu instid0(VALU_DEP_1) | instskip(NEXT) | instid1(VALU_DEP_1)
	v_fma_f64 v[20:21], -v[16:17], v[18:19], 1.0
	v_fmac_f64_e32 v[18:19], v[18:19], v[20:21]
	s_delay_alu instid0(VALU_DEP_1) | instskip(NEXT) | instid1(VALU_DEP_1)
	v_mul_f64_e32 v[20:21], v[22:23], v[18:19]
	v_fma_f64 v[16:17], -v[16:17], v[20:21], v[22:23]
	s_delay_alu instid0(VALU_DEP_1) | instskip(SKIP_2) | instid1(VALU_DEP_2)
	v_div_fmas_f64 v[16:17], v[16:17], v[18:19], v[20:21]
	v_cmp_le_i64_e32 vcc_lo, s[4:5], v[10:11]
	s_or_b32 s15, vcc_lo, s15
	v_div_fixup_f64 v[16:17], v[16:17], v[6:7], v[14:15]
	s_delay_alu instid0(VALU_DEP_1) | instskip(NEXT) | instid1(VALU_DEP_1)
	v_add_f64_e32 v[4:5], v[4:5], v[16:17]
	v_add_f64_e64 v[12:13], v[12:13], -v[4:5]
	s_delay_alu instid0(VALU_DEP_1)
	v_fmac_f64_e32 v[2:3], v[14:15], v[12:13]
	v_mov_b64_e32 v[14:15], s[12:13]
	s_and_not1_b32 exec_lo, exec_lo, s15
	s_cbranch_execnz .LBB13_2
; %bb.3:
	s_or_b32 exec_lo, exec_lo, s15
.LBB13_4:
	s_delay_alu instid0(SALU_CYCLE_1) | instskip(SKIP_2) | instid1(VALU_DEP_1)
	s_or_b32 exec_lo, exec_lo, s14
	v_mbcnt_lo_u32_b32 v22, -1, 0
	s_mov_b32 s4, exec_lo
	v_lshl_or_b32 v1, v22, 2, 64
	ds_bpermute_b32 v10, v1, v4
	ds_bpermute_b32 v11, v1, v5
	;; [unrolled: 1-line block ×8, first 2 shown]
	v_cmpx_neq_f64_e32 0, v[6:7]
	s_cbranch_execz .LBB13_8
; %bb.5:
	s_mov_b32 s5, exec_lo
	s_wait_dscnt 0x0
	v_cmpx_neq_f64_e32 0, v[12:13]
	s_cbranch_execz .LBB13_7
; %bb.6:
	v_add_f64_e32 v[16:17], v[6:7], v[12:13]
	v_add_f64_e64 v[10:11], v[10:11], -v[4:5]
	v_add_f64_e32 v[2:3], v[2:3], v[8:9]
	s_delay_alu instid0(VALU_DEP_3) | instskip(SKIP_1) | instid1(VALU_DEP_2)
	v_div_scale_f64 v[14:15], null, v[16:17], v[16:17], v[12:13]
	v_div_scale_f64 v[24:25], vcc_lo, v[12:13], v[16:17], v[12:13]
	v_rcp_f64_e32 v[18:19], v[14:15]
	v_nop
	s_delay_alu instid0(TRANS32_DEP_1) | instskip(NEXT) | instid1(VALU_DEP_1)
	v_fma_f64 v[20:21], -v[14:15], v[18:19], 1.0
	v_fmac_f64_e32 v[18:19], v[18:19], v[20:21]
	s_delay_alu instid0(VALU_DEP_1) | instskip(NEXT) | instid1(VALU_DEP_1)
	v_fma_f64 v[20:21], -v[14:15], v[18:19], 1.0
	v_fmac_f64_e32 v[18:19], v[18:19], v[20:21]
	s_delay_alu instid0(VALU_DEP_1) | instskip(NEXT) | instid1(VALU_DEP_1)
	v_mul_f64_e32 v[20:21], v[24:25], v[18:19]
	v_fma_f64 v[14:15], -v[14:15], v[20:21], v[24:25]
	s_delay_alu instid0(VALU_DEP_1) | instskip(SKIP_1) | instid1(VALU_DEP_2)
	v_div_fmas_f64 v[14:15], v[14:15], v[18:19], v[20:21]
	v_mul_f64_e32 v[18:19], v[10:11], v[10:11]
	v_div_fixup_f64 v[8:9], v[14:15], v[16:17], v[12:13]
	s_delay_alu instid0(VALU_DEP_2) | instskip(SKIP_1) | instid1(VALU_DEP_3)
	v_mul_f64_e32 v[6:7], v[6:7], v[18:19]
	v_mov_b64_e32 v[14:15], -1
	v_fmac_f64_e32 v[4:5], v[10:11], v[8:9]
	s_delay_alu instid0(VALU_DEP_3)
	v_fmac_f64_e32 v[2:3], v[6:7], v[8:9]
	v_mov_b64_e32 v[6:7], v[16:17]
.LBB13_7:
	s_or_b32 exec_lo, exec_lo, s5
	s_delay_alu instid0(VALU_DEP_1) | instskip(SKIP_1) | instid1(VALU_DEP_4)
	v_mov_b64_e32 v[12:13], v[6:7]
	v_mov_b64_e32 v[16:17], v[14:15]
	;; [unrolled: 1-line block ×4, first 2 shown]
.LBB13_8:
	s_or_b32 exec_lo, exec_lo, s4
	v_cmp_gt_u32_e32 vcc_lo, 24, v22
	s_mov_b32 s4, exec_lo
	v_cndmask_b32_e64 v2, 0, 8, vcc_lo
	s_delay_alu instid0(VALU_DEP_1)
	v_add_lshl_u32 v20, v2, v22, 2
	s_wait_dscnt 0x7
	ds_bpermute_b32 v6, v20, v10
	s_wait_dscnt 0x7
	ds_bpermute_b32 v7, v20, v11
	;; [unrolled: 2-line block ×8, first 2 shown]
	v_cmpx_neq_f64_e32 0, v[12:13]
	s_cbranch_execz .LBB13_12
; %bb.9:
	s_mov_b32 s5, exec_lo
	s_wait_dscnt 0x0
	v_cmpx_neq_f64_e32 0, v[14:15]
	s_cbranch_execz .LBB13_11
; %bb.10:
	v_add_f64_e32 v[4:5], v[12:13], v[14:15]
	v_add_f64_e64 v[6:7], v[6:7], -v[10:11]
	v_add_f64_e32 v[8:9], v[8:9], v[2:3]
	s_delay_alu instid0(VALU_DEP_3) | instskip(SKIP_1) | instid1(VALU_DEP_2)
	v_div_scale_f64 v[16:17], null, v[4:5], v[4:5], v[14:15]
	v_div_scale_f64 v[26:27], vcc_lo, v[14:15], v[4:5], v[14:15]
	v_rcp_f64_e32 v[18:19], v[16:17]
	v_nop
	s_delay_alu instid0(TRANS32_DEP_1) | instskip(NEXT) | instid1(VALU_DEP_1)
	v_fma_f64 v[24:25], -v[16:17], v[18:19], 1.0
	v_fmac_f64_e32 v[18:19], v[18:19], v[24:25]
	s_delay_alu instid0(VALU_DEP_1) | instskip(NEXT) | instid1(VALU_DEP_1)
	v_fma_f64 v[24:25], -v[16:17], v[18:19], 1.0
	v_fmac_f64_e32 v[18:19], v[18:19], v[24:25]
	s_delay_alu instid0(VALU_DEP_1) | instskip(NEXT) | instid1(VALU_DEP_1)
	v_mul_f64_e32 v[24:25], v[26:27], v[18:19]
	v_fma_f64 v[16:17], -v[16:17], v[24:25], v[26:27]
	s_delay_alu instid0(VALU_DEP_1) | instskip(SKIP_1) | instid1(VALU_DEP_2)
	v_div_fmas_f64 v[16:17], v[16:17], v[18:19], v[24:25]
	v_mul_f64_e32 v[18:19], v[6:7], v[6:7]
	v_div_fixup_f64 v[2:3], v[16:17], v[4:5], v[14:15]
	s_delay_alu instid0(VALU_DEP_2) | instskip(SKIP_1) | instid1(VALU_DEP_3)
	v_mul_f64_e32 v[12:13], v[12:13], v[18:19]
	v_mov_b64_e32 v[16:17], -1
	v_fmac_f64_e32 v[10:11], v[6:7], v[2:3]
	s_delay_alu instid0(VALU_DEP_3)
	v_fmac_f64_e32 v[8:9], v[12:13], v[2:3]
	v_mov_b64_e32 v[12:13], v[4:5]
.LBB13_11:
	s_or_b32 exec_lo, exec_lo, s5
	s_delay_alu instid0(VALU_DEP_1) | instskip(SKIP_1) | instid1(VALU_DEP_4)
	v_mov_b64_e32 v[14:15], v[12:13]
	v_mov_b64_e32 v[18:19], v[16:17]
	v_mov_b64_e32 v[2:3], v[8:9]
	v_mov_b64_e32 v[6:7], v[10:11]
.LBB13_12:
	s_or_b32 exec_lo, exec_lo, s4
	v_cmp_gt_u32_e32 vcc_lo, 28, v22
	s_mov_b32 s4, exec_lo
	v_cndmask_b32_e64 v4, 0, 4, vcc_lo
	s_delay_alu instid0(VALU_DEP_1)
	v_add_lshl_u32 v21, v4, v22, 2
	s_wait_dscnt 0x7
	ds_bpermute_b32 v8, v21, v6
	s_wait_dscnt 0x7
	ds_bpermute_b32 v9, v21, v7
	;; [unrolled: 2-line block ×8, first 2 shown]
	v_cmpx_neq_f64_e32 0, v[14:15]
	s_cbranch_execz .LBB13_16
; %bb.13:
	s_mov_b32 s5, exec_lo
	s_wait_dscnt 0x0
	v_cmpx_neq_f64_e32 0, v[10:11]
	s_cbranch_execz .LBB13_15
; %bb.14:
	v_add_f64_e32 v[12:13], v[14:15], v[10:11]
	v_add_f64_e64 v[8:9], v[8:9], -v[6:7]
	v_add_f64_e32 v[2:3], v[2:3], v[4:5]
	s_delay_alu instid0(VALU_DEP_3) | instskip(SKIP_1) | instid1(VALU_DEP_2)
	v_div_scale_f64 v[16:17], null, v[12:13], v[12:13], v[10:11]
	v_div_scale_f64 v[26:27], vcc_lo, v[10:11], v[12:13], v[10:11]
	v_rcp_f64_e32 v[18:19], v[16:17]
	v_nop
	s_delay_alu instid0(TRANS32_DEP_1) | instskip(NEXT) | instid1(VALU_DEP_1)
	v_fma_f64 v[24:25], -v[16:17], v[18:19], 1.0
	v_fmac_f64_e32 v[18:19], v[18:19], v[24:25]
	s_delay_alu instid0(VALU_DEP_1) | instskip(NEXT) | instid1(VALU_DEP_1)
	v_fma_f64 v[24:25], -v[16:17], v[18:19], 1.0
	v_fmac_f64_e32 v[18:19], v[18:19], v[24:25]
	s_delay_alu instid0(VALU_DEP_1) | instskip(NEXT) | instid1(VALU_DEP_1)
	v_mul_f64_e32 v[24:25], v[26:27], v[18:19]
	v_fma_f64 v[16:17], -v[16:17], v[24:25], v[26:27]
	s_delay_alu instid0(VALU_DEP_1) | instskip(SKIP_1) | instid1(VALU_DEP_2)
	v_div_fmas_f64 v[16:17], v[16:17], v[18:19], v[24:25]
	v_mul_f64_e32 v[18:19], v[8:9], v[8:9]
	v_div_fixup_f64 v[4:5], v[16:17], v[12:13], v[10:11]
	s_delay_alu instid0(VALU_DEP_2) | instskip(SKIP_2) | instid1(VALU_DEP_4)
	v_mul_f64_e32 v[10:11], v[14:15], v[18:19]
	v_mov_b64_e32 v[18:19], -1
	v_mov_b64_e32 v[14:15], v[12:13]
	v_fmac_f64_e32 v[6:7], v[8:9], v[4:5]
	s_delay_alu instid0(VALU_DEP_4)
	v_fmac_f64_e32 v[2:3], v[10:11], v[4:5]
.LBB13_15:
	s_or_b32 exec_lo, exec_lo, s5
	s_delay_alu instid0(VALU_DEP_3) | instskip(SKIP_1) | instid1(VALU_DEP_3)
	v_mov_b64_e32 v[10:11], v[14:15]
	v_mov_b64_e32 v[16:17], v[18:19]
	;; [unrolled: 1-line block ×4, first 2 shown]
.LBB13_16:
	s_or_b32 exec_lo, exec_lo, s4
	v_cmp_gt_u32_e32 vcc_lo, 30, v22
	s_mov_b32 s4, exec_lo
	v_cndmask_b32_e64 v2, 0, 2, vcc_lo
	s_delay_alu instid0(VALU_DEP_1)
	v_add_lshl_u32 v18, v2, v22, 2
	s_wait_dscnt 0x7
	ds_bpermute_b32 v6, v18, v8
	s_wait_dscnt 0x7
	ds_bpermute_b32 v7, v18, v9
	;; [unrolled: 2-line block ×8, first 2 shown]
	v_cmpx_neq_f64_e32 0, v[10:11]
	s_cbranch_execz .LBB13_20
; %bb.17:
	s_mov_b32 s5, exec_lo
	s_wait_dscnt 0x0
	v_cmpx_neq_f64_e32 0, v[12:13]
	s_cbranch_execz .LBB13_19
; %bb.18:
	v_add_f64_e32 v[14:15], v[10:11], v[12:13]
	v_add_f64_e64 v[6:7], v[6:7], -v[8:9]
	v_add_f64_e32 v[4:5], v[4:5], v[2:3]
	s_delay_alu instid0(VALU_DEP_3) | instskip(SKIP_1) | instid1(VALU_DEP_2)
	v_div_scale_f64 v[16:17], null, v[14:15], v[14:15], v[12:13]
	v_div_scale_f64 v[28:29], vcc_lo, v[12:13], v[14:15], v[12:13]
	v_rcp_f64_e32 v[24:25], v[16:17]
	v_nop
	s_delay_alu instid0(TRANS32_DEP_1) | instskip(NEXT) | instid1(VALU_DEP_1)
	v_fma_f64 v[26:27], -v[16:17], v[24:25], 1.0
	v_fmac_f64_e32 v[24:25], v[24:25], v[26:27]
	s_delay_alu instid0(VALU_DEP_1) | instskip(NEXT) | instid1(VALU_DEP_1)
	v_fma_f64 v[26:27], -v[16:17], v[24:25], 1.0
	v_fmac_f64_e32 v[24:25], v[24:25], v[26:27]
	s_delay_alu instid0(VALU_DEP_1) | instskip(NEXT) | instid1(VALU_DEP_1)
	v_mul_f64_e32 v[26:27], v[28:29], v[24:25]
	v_fma_f64 v[16:17], -v[16:17], v[26:27], v[28:29]
	s_delay_alu instid0(VALU_DEP_1) | instskip(SKIP_1) | instid1(VALU_DEP_2)
	v_div_fmas_f64 v[16:17], v[16:17], v[24:25], v[26:27]
	v_mul_f64_e32 v[24:25], v[6:7], v[6:7]
	v_div_fixup_f64 v[2:3], v[16:17], v[14:15], v[12:13]
	s_delay_alu instid0(VALU_DEP_2) | instskip(SKIP_1) | instid1(VALU_DEP_3)
	v_mul_f64_e32 v[10:11], v[10:11], v[24:25]
	v_mov_b64_e32 v[16:17], -1
	v_fmac_f64_e32 v[8:9], v[6:7], v[2:3]
	s_delay_alu instid0(VALU_DEP_3)
	v_fmac_f64_e32 v[4:5], v[10:11], v[2:3]
	v_mov_b64_e32 v[10:11], v[14:15]
.LBB13_19:
	s_or_b32 exec_lo, exec_lo, s5
	s_delay_alu instid0(VALU_DEP_1) | instskip(SKIP_1) | instid1(VALU_DEP_4)
	v_mov_b64_e32 v[12:13], v[10:11]
	v_mov_b64_e32 v[14:15], v[16:17]
	;; [unrolled: 1-line block ×4, first 2 shown]
.LBB13_20:
	s_or_b32 exec_lo, exec_lo, s4
	v_cmp_ne_u32_e32 vcc_lo, 31, v22
	s_mov_b32 s4, exec_lo
	v_add_co_ci_u32_e64 v4, null, 0, v22, vcc_lo
	s_delay_alu instid0(VALU_DEP_1)
	v_lshlrev_b32_e32 v19, 2, v4
	s_wait_dscnt 0x7
	ds_bpermute_b32 v10, v19, v6
	s_wait_dscnt 0x7
	ds_bpermute_b32 v11, v19, v7
	;; [unrolled: 2-line block ×8, first 2 shown]
	v_cmpx_neq_f64_e32 0, v[12:13]
	s_cbranch_execz .LBB13_24
; %bb.21:
	s_mov_b32 s5, exec_lo
	s_wait_dscnt 0x0
	v_cmpx_neq_f64_e32 0, v[4:5]
	s_cbranch_execz .LBB13_23
; %bb.22:
	v_add_f64_e32 v[16:17], v[12:13], v[4:5]
	v_add_f64_e64 v[10:11], v[10:11], -v[6:7]
	v_add_f64_e32 v[2:3], v[2:3], v[8:9]
	s_delay_alu instid0(VALU_DEP_3) | instskip(SKIP_1) | instid1(VALU_DEP_2)
	v_div_scale_f64 v[14:15], null, v[16:17], v[16:17], v[4:5]
	v_div_scale_f64 v[26:27], vcc_lo, v[4:5], v[16:17], v[4:5]
	v_rcp_f64_e32 v[22:23], v[14:15]
	v_nop
	s_delay_alu instid0(TRANS32_DEP_1) | instskip(NEXT) | instid1(VALU_DEP_1)
	v_fma_f64 v[24:25], -v[14:15], v[22:23], 1.0
	v_fmac_f64_e32 v[22:23], v[22:23], v[24:25]
	s_delay_alu instid0(VALU_DEP_1) | instskip(NEXT) | instid1(VALU_DEP_1)
	v_fma_f64 v[24:25], -v[14:15], v[22:23], 1.0
	v_fmac_f64_e32 v[22:23], v[22:23], v[24:25]
	s_delay_alu instid0(VALU_DEP_1) | instskip(NEXT) | instid1(VALU_DEP_1)
	v_mul_f64_e32 v[24:25], v[26:27], v[22:23]
	v_fma_f64 v[14:15], -v[14:15], v[24:25], v[26:27]
	s_delay_alu instid0(VALU_DEP_1) | instskip(SKIP_1) | instid1(VALU_DEP_2)
	v_div_fmas_f64 v[14:15], v[14:15], v[22:23], v[24:25]
	v_mul_f64_e32 v[22:23], v[10:11], v[10:11]
	v_div_fixup_f64 v[4:5], v[14:15], v[16:17], v[4:5]
	s_delay_alu instid0(VALU_DEP_2) | instskip(SKIP_2) | instid1(VALU_DEP_4)
	v_mul_f64_e32 v[8:9], v[12:13], v[22:23]
	v_mov_b64_e32 v[14:15], -1
	v_mov_b64_e32 v[12:13], v[16:17]
	v_fmac_f64_e32 v[6:7], v[10:11], v[4:5]
	s_delay_alu instid0(VALU_DEP_4)
	v_fmac_f64_e32 v[2:3], v[8:9], v[4:5]
.LBB13_23:
	s_or_b32 exec_lo, exec_lo, s5
	s_delay_alu instid0(VALU_DEP_3) | instskip(SKIP_1) | instid1(VALU_DEP_3)
	v_mov_b64_e32 v[4:5], v[12:13]
	v_mov_b64_e32 v[16:17], v[14:15]
	;; [unrolled: 1-line block ×4, first 2 shown]
.LBB13_24:
	s_or_b32 exec_lo, exec_lo, s4
	v_and_b32_e32 v6, 31, v0
	s_mov_b32 s4, exec_lo
	s_wait_dscnt 0x0
	s_barrier_signal -1
	s_barrier_wait -1
	v_cmpx_eq_u32_e32 0, v6
	s_cbranch_execz .LBB13_26
; %bb.25:
	ds_store_2addr_b64 v0, v[10:11], v[8:9] offset1:1
	ds_store_2addr_b64 v0, v[16:17], v[4:5] offset0:2 offset1:3
.LBB13_26:
	s_or_b32 exec_lo, exec_lo, s4
	s_wait_dscnt 0x0
	s_barrier_signal -1
	s_barrier_wait -1
	s_load_b32 s4, s[0:1], 0x34
	v_mov_b64_e32 v[2:3], 0
	v_mov_b64_e32 v[4:5], 0
	v_lshlrev_b32_e32 v8, 5, v6
	s_wait_kmcnt 0x0
	s_bfe_u32 s4, s4, 0xb0005
	s_delay_alu instid0(SALU_CYCLE_1)
	v_cmp_gt_u32_e32 vcc_lo, s4, v0
	s_and_saveexec_b32 s4, vcc_lo
	s_cbranch_execnz .LBB13_55
; %bb.27:
	s_or_b32 exec_lo, exec_lo, s4
	s_and_saveexec_b32 s4, vcc_lo
	s_cbranch_execnz .LBB13_56
.LBB13_28:
	s_or_b32 exec_lo, exec_lo, s4
	v_mov_b64_e32 v[6:7], 0
	s_and_saveexec_b32 s4, vcc_lo
.LBB13_29:
	ds_load_b64 v[6:7], v8 offset:24
.LBB13_30:
	s_or_b32 exec_lo, exec_lo, s4
	s_delay_alu instid0(SALU_CYCLE_1)
	s_mov_b32 s4, exec_lo
	v_cmpx_gt_u32_e32 32, v0
	s_cbranch_execz .LBB13_52
; %bb.31:
	s_wait_dscnt 0x0
	ds_bpermute_b32 v10, v1, v4
	ds_bpermute_b32 v11, v1, v5
	;; [unrolled: 1-line block ×6, first 2 shown]
	s_mov_b32 s5, exec_lo
	v_cmpx_neq_f64_e32 0, v[6:7]
	s_cbranch_execz .LBB13_35
; %bb.32:
	s_mov_b32 s8, exec_lo
	s_wait_dscnt 0x0
	v_cmpx_neq_f64_e32 0, v[12:13]
	s_cbranch_execz .LBB13_34
; %bb.33:
	v_add_f64_e32 v[14:15], v[6:7], v[12:13]
	v_add_f64_e64 v[10:11], v[10:11], -v[4:5]
	v_add_f64_e32 v[2:3], v[2:3], v[8:9]
	s_delay_alu instid0(VALU_DEP_3) | instskip(SKIP_1) | instid1(VALU_DEP_2)
	v_div_scale_f64 v[16:17], null, v[14:15], v[14:15], v[12:13]
	v_div_scale_f64 v[26:27], vcc_lo, v[12:13], v[14:15], v[12:13]
	v_rcp_f64_e32 v[22:23], v[16:17]
	v_nop
	s_delay_alu instid0(TRANS32_DEP_1) | instskip(NEXT) | instid1(VALU_DEP_1)
	v_fma_f64 v[24:25], -v[16:17], v[22:23], 1.0
	v_fmac_f64_e32 v[22:23], v[22:23], v[24:25]
	s_delay_alu instid0(VALU_DEP_1) | instskip(NEXT) | instid1(VALU_DEP_1)
	v_fma_f64 v[24:25], -v[16:17], v[22:23], 1.0
	v_fmac_f64_e32 v[22:23], v[22:23], v[24:25]
	s_delay_alu instid0(VALU_DEP_1) | instskip(NEXT) | instid1(VALU_DEP_1)
	v_mul_f64_e32 v[24:25], v[26:27], v[22:23]
	v_fma_f64 v[16:17], -v[16:17], v[24:25], v[26:27]
	s_delay_alu instid0(VALU_DEP_1) | instskip(SKIP_1) | instid1(VALU_DEP_2)
	v_div_fmas_f64 v[16:17], v[16:17], v[22:23], v[24:25]
	v_mul_f64_e32 v[22:23], v[10:11], v[10:11]
	v_div_fixup_f64 v[8:9], v[16:17], v[14:15], v[12:13]
	s_delay_alu instid0(VALU_DEP_2) | instskip(NEXT) | instid1(VALU_DEP_2)
	v_mul_f64_e32 v[6:7], v[6:7], v[22:23]
	v_fmac_f64_e32 v[4:5], v[10:11], v[8:9]
	s_delay_alu instid0(VALU_DEP_2)
	v_fmac_f64_e32 v[2:3], v[6:7], v[8:9]
	v_mov_b64_e32 v[6:7], v[14:15]
.LBB13_34:
	s_or_b32 exec_lo, exec_lo, s8
	s_delay_alu instid0(VALU_DEP_1) | instskip(NEXT) | instid1(VALU_DEP_3)
	v_mov_b64_e32 v[12:13], v[6:7]
	v_mov_b64_e32 v[8:9], v[2:3]
	;; [unrolled: 1-line block ×3, first 2 shown]
.LBB13_35:
	s_or_b32 exec_lo, exec_lo, s5
	s_wait_dscnt 0x5
	ds_bpermute_b32 v6, v20, v10
	s_wait_dscnt 0x5
	ds_bpermute_b32 v7, v20, v11
	;; [unrolled: 2-line block ×6, first 2 shown]
	s_mov_b32 s5, exec_lo
	v_cmpx_neq_f64_e32 0, v[12:13]
	s_cbranch_execz .LBB13_39
; %bb.36:
	s_mov_b32 s8, exec_lo
	s_wait_dscnt 0x0
	v_cmpx_neq_f64_e32 0, v[14:15]
	s_cbranch_execz .LBB13_38
; %bb.37:
	v_add_f64_e32 v[4:5], v[12:13], v[14:15]
	v_add_f64_e64 v[6:7], v[6:7], -v[10:11]
	v_add_f64_e32 v[8:9], v[8:9], v[2:3]
	s_delay_alu instid0(VALU_DEP_3) | instskip(SKIP_1) | instid1(VALU_DEP_2)
	v_div_scale_f64 v[16:17], null, v[4:5], v[4:5], v[14:15]
	v_div_scale_f64 v[26:27], vcc_lo, v[14:15], v[4:5], v[14:15]
	v_rcp_f64_e32 v[22:23], v[16:17]
	v_nop
	s_delay_alu instid0(TRANS32_DEP_1) | instskip(NEXT) | instid1(VALU_DEP_1)
	v_fma_f64 v[24:25], -v[16:17], v[22:23], 1.0
	v_fmac_f64_e32 v[22:23], v[22:23], v[24:25]
	s_delay_alu instid0(VALU_DEP_1) | instskip(NEXT) | instid1(VALU_DEP_1)
	v_fma_f64 v[24:25], -v[16:17], v[22:23], 1.0
	v_fmac_f64_e32 v[22:23], v[22:23], v[24:25]
	s_delay_alu instid0(VALU_DEP_1) | instskip(NEXT) | instid1(VALU_DEP_1)
	v_mul_f64_e32 v[24:25], v[26:27], v[22:23]
	v_fma_f64 v[16:17], -v[16:17], v[24:25], v[26:27]
	s_delay_alu instid0(VALU_DEP_1) | instskip(SKIP_1) | instid1(VALU_DEP_2)
	v_div_fmas_f64 v[16:17], v[16:17], v[22:23], v[24:25]
	v_mul_f64_e32 v[22:23], v[6:7], v[6:7]
	v_div_fixup_f64 v[2:3], v[16:17], v[4:5], v[14:15]
	s_delay_alu instid0(VALU_DEP_2) | instskip(NEXT) | instid1(VALU_DEP_2)
	v_mul_f64_e32 v[12:13], v[12:13], v[22:23]
	v_fmac_f64_e32 v[10:11], v[6:7], v[2:3]
	s_delay_alu instid0(VALU_DEP_2)
	v_fmac_f64_e32 v[8:9], v[12:13], v[2:3]
	v_mov_b64_e32 v[12:13], v[4:5]
.LBB13_38:
	s_or_b32 exec_lo, exec_lo, s8
	s_delay_alu instid0(VALU_DEP_1) | instskip(NEXT) | instid1(VALU_DEP_3)
	v_mov_b64_e32 v[14:15], v[12:13]
	v_mov_b64_e32 v[2:3], v[8:9]
	;; [unrolled: 1-line block ×3, first 2 shown]
.LBB13_39:
	s_or_b32 exec_lo, exec_lo, s5
	s_wait_dscnt 0x5
	ds_bpermute_b32 v12, v21, v6
	s_wait_dscnt 0x5
	ds_bpermute_b32 v13, v21, v7
	s_wait_dscnt 0x5
	ds_bpermute_b32 v4, v21, v2
	s_wait_dscnt 0x5
	ds_bpermute_b32 v5, v21, v3
	s_wait_dscnt 0x5
	ds_bpermute_b32 v16, v21, v14
	s_wait_dscnt 0x5
	ds_bpermute_b32 v17, v21, v15
	s_mov_b32 s5, exec_lo
	v_cmpx_neq_f64_e32 0, v[14:15]
	s_cbranch_execz .LBB13_43
; %bb.40:
	s_mov_b32 s8, exec_lo
	s_wait_dscnt 0x0
	v_cmpx_neq_f64_e32 0, v[16:17]
	s_cbranch_execz .LBB13_42
; %bb.41:
	v_add_f64_e32 v[8:9], v[14:15], v[16:17]
	v_add_f64_e64 v[12:13], v[12:13], -v[6:7]
	v_add_f64_e32 v[2:3], v[2:3], v[4:5]
	s_delay_alu instid0(VALU_DEP_3) | instskip(SKIP_1) | instid1(VALU_DEP_2)
	v_div_scale_f64 v[10:11], null, v[8:9], v[8:9], v[16:17]
	v_div_scale_f64 v[24:25], vcc_lo, v[16:17], v[8:9], v[16:17]
	v_rcp_f64_e32 v[20:21], v[10:11]
	v_nop
	s_delay_alu instid0(TRANS32_DEP_1) | instskip(NEXT) | instid1(VALU_DEP_1)
	v_fma_f64 v[22:23], -v[10:11], v[20:21], 1.0
	v_fmac_f64_e32 v[20:21], v[20:21], v[22:23]
	s_delay_alu instid0(VALU_DEP_1) | instskip(NEXT) | instid1(VALU_DEP_1)
	v_fma_f64 v[22:23], -v[10:11], v[20:21], 1.0
	v_fmac_f64_e32 v[20:21], v[20:21], v[22:23]
	s_delay_alu instid0(VALU_DEP_1) | instskip(NEXT) | instid1(VALU_DEP_1)
	v_mul_f64_e32 v[22:23], v[24:25], v[20:21]
	v_fma_f64 v[10:11], -v[10:11], v[22:23], v[24:25]
	s_delay_alu instid0(VALU_DEP_1) | instskip(SKIP_1) | instid1(VALU_DEP_2)
	v_div_fmas_f64 v[10:11], v[10:11], v[20:21], v[22:23]
	v_mul_f64_e32 v[20:21], v[12:13], v[12:13]
	v_div_fixup_f64 v[4:5], v[10:11], v[8:9], v[16:17]
	s_delay_alu instid0(VALU_DEP_2) | instskip(SKIP_1) | instid1(VALU_DEP_3)
	v_mul_f64_e32 v[10:11], v[14:15], v[20:21]
	v_mov_b64_e32 v[14:15], v[8:9]
	v_fmac_f64_e32 v[6:7], v[12:13], v[4:5]
	s_delay_alu instid0(VALU_DEP_3)
	v_fmac_f64_e32 v[2:3], v[10:11], v[4:5]
.LBB13_42:
	s_or_b32 exec_lo, exec_lo, s8
	s_delay_alu instid0(VALU_DEP_3) | instskip(NEXT) | instid1(VALU_DEP_2)
	v_mov_b64_e32 v[16:17], v[14:15]
	v_mov_b64_e32 v[4:5], v[2:3]
	s_delay_alu instid0(VALU_DEP_4)
	v_mov_b64_e32 v[12:13], v[6:7]
.LBB13_43:
	s_or_b32 exec_lo, exec_lo, s5
	s_wait_dscnt 0x5
	ds_bpermute_b32 v14, v18, v12
	s_wait_dscnt 0x5
	ds_bpermute_b32 v15, v18, v13
	s_wait_dscnt 0x5
	ds_bpermute_b32 v8, v18, v4
	s_wait_dscnt 0x5
	ds_bpermute_b32 v9, v18, v5
	s_wait_dscnt 0x5
	ds_bpermute_b32 v10, v18, v16
	s_wait_dscnt 0x5
	ds_bpermute_b32 v11, v18, v17
	s_mov_b32 s5, exec_lo
	v_cmpx_neq_f64_e32 0, v[16:17]
	s_cbranch_execz .LBB13_47
; %bb.44:
	s_mov_b32 s8, exec_lo
	s_wait_dscnt 0x0
	v_cmpx_neq_f64_e32 0, v[10:11]
	s_cbranch_execz .LBB13_46
; %bb.45:
	v_add_f64_e32 v[2:3], v[16:17], v[10:11]
	v_add_f64_e64 v[14:15], v[14:15], -v[12:13]
	v_add_f64_e32 v[4:5], v[4:5], v[8:9]
	s_delay_alu instid0(VALU_DEP_3) | instskip(SKIP_1) | instid1(VALU_DEP_2)
	v_div_scale_f64 v[6:7], null, v[2:3], v[2:3], v[10:11]
	v_div_scale_f64 v[24:25], vcc_lo, v[10:11], v[2:3], v[10:11]
	v_rcp_f64_e32 v[20:21], v[6:7]
	v_nop
	s_delay_alu instid0(TRANS32_DEP_1) | instskip(NEXT) | instid1(VALU_DEP_1)
	v_fma_f64 v[22:23], -v[6:7], v[20:21], 1.0
	v_fmac_f64_e32 v[20:21], v[20:21], v[22:23]
	s_delay_alu instid0(VALU_DEP_1) | instskip(NEXT) | instid1(VALU_DEP_1)
	v_fma_f64 v[22:23], -v[6:7], v[20:21], 1.0
	v_fmac_f64_e32 v[20:21], v[20:21], v[22:23]
	s_delay_alu instid0(VALU_DEP_1) | instskip(NEXT) | instid1(VALU_DEP_1)
	v_mul_f64_e32 v[22:23], v[24:25], v[20:21]
	v_fma_f64 v[6:7], -v[6:7], v[22:23], v[24:25]
	s_delay_alu instid0(VALU_DEP_1) | instskip(SKIP_1) | instid1(VALU_DEP_2)
	v_div_fmas_f64 v[6:7], v[6:7], v[20:21], v[22:23]
	v_mul_f64_e32 v[20:21], v[14:15], v[14:15]
	v_div_fixup_f64 v[6:7], v[6:7], v[2:3], v[10:11]
	s_delay_alu instid0(VALU_DEP_2) | instskip(SKIP_1) | instid1(VALU_DEP_3)
	v_mul_f64_e32 v[8:9], v[16:17], v[20:21]
	v_mov_b64_e32 v[16:17], v[2:3]
	v_fmac_f64_e32 v[12:13], v[14:15], v[6:7]
	s_delay_alu instid0(VALU_DEP_3)
	v_fmac_f64_e32 v[4:5], v[8:9], v[6:7]
.LBB13_46:
	s_or_b32 exec_lo, exec_lo, s8
	s_delay_alu instid0(VALU_DEP_3) | instskip(NEXT) | instid1(VALU_DEP_2)
	v_mov_b64_e32 v[10:11], v[16:17]
	v_mov_b64_e32 v[8:9], v[4:5]
	s_delay_alu instid0(VALU_DEP_4)
	v_mov_b64_e32 v[14:15], v[12:13]
.LBB13_47:
	;; [unrolled: 57-line block ×3, first 2 shown]
	s_or_b32 exec_lo, exec_lo, s5
.LBB13_52:
	s_delay_alu instid0(SALU_CYCLE_1) | instskip(NEXT) | instid1(SALU_CYCLE_1)
	s_or_b32 exec_lo, exec_lo, s4
	s_mov_b32 s4, exec_lo
	v_cmpx_eq_u32_e32 0, v0
	s_cbranch_execz .LBB13_54
; %bb.53:
	s_wait_dscnt 0x0
	v_max_num_f64_e32 v[0:1], v[6:7], v[6:7]
	s_load_b64 s[0:1], s[0:1], 0x20
	s_lshl_b64 s[2:3], s[2:3], 3
	s_wait_kmcnt 0x0
	s_add_nc_u64 s[0:1], s[0:1], s[2:3]
	s_delay_alu instid0(VALU_DEP_1) | instskip(NEXT) | instid1(VALU_DEP_1)
	v_max_num_f64_e32 v[0:1], 0, v[0:1]
	v_div_scale_f64 v[6:7], null, v[0:1], v[0:1], v[2:3]
	v_div_scale_f64 v[12:13], vcc_lo, v[2:3], v[0:1], v[2:3]
	s_delay_alu instid0(VALU_DEP_2) | instskip(SKIP_1) | instid1(TRANS32_DEP_1)
	v_rcp_f64_e32 v[8:9], v[6:7]
	v_nop
	v_fma_f64 v[10:11], -v[6:7], v[8:9], 1.0
	s_delay_alu instid0(VALU_DEP_1) | instskip(NEXT) | instid1(VALU_DEP_1)
	v_fmac_f64_e32 v[8:9], v[8:9], v[10:11]
	v_fma_f64 v[10:11], -v[6:7], v[8:9], 1.0
	s_delay_alu instid0(VALU_DEP_1) | instskip(NEXT) | instid1(VALU_DEP_1)
	v_fmac_f64_e32 v[8:9], v[8:9], v[10:11]
	v_mul_f64_e32 v[10:11], v[12:13], v[8:9]
	s_delay_alu instid0(VALU_DEP_1) | instskip(NEXT) | instid1(VALU_DEP_1)
	v_fma_f64 v[6:7], -v[6:7], v[10:11], v[12:13]
	v_div_fmas_f64 v[6:7], v[6:7], v[8:9], v[10:11]
	s_delay_alu instid0(VALU_DEP_1) | instskip(SKIP_1) | instid1(VALU_DEP_2)
	v_div_fixup_f64 v[0:1], v[6:7], v[0:1], v[2:3]
	v_mov_b64_e32 v[6:7], 0.5
	v_fmac_f64_e32 v[0:1], v[4:5], v[4:5]
	s_delay_alu instid0(VALU_DEP_1) | instskip(NEXT) | instid1(VALU_DEP_1)
	v_add_f64_e32 v[0:1], s[6:7], v[0:1]
	v_rsq_f64_e32 v[2:3], v[0:1]
	v_nop
	s_delay_alu instid0(TRANS32_DEP_1) | instskip(SKIP_1) | instid1(VALU_DEP_2)
	v_mul_f64_e64 v[0:1], v[2:3], -v[0:1]
	v_cmp_class_f64_e64 vcc_lo, v[2:3], 0x180
	v_fma_f64 v[0:1], v[0:1], v[2:3], 1.0
	s_delay_alu instid0(VALU_DEP_1) | instskip(SKIP_1) | instid1(VALU_DEP_1)
	v_mul_f64_e32 v[4:5], v[2:3], v[0:1]
	v_fmamk_f64 v[0:1], v[0:1], 0x3fd80000, v[6:7]
	v_fma_f64 v[0:1], v[4:5], v[0:1], v[2:3]
	s_delay_alu instid0(VALU_DEP_1)
	v_dual_cndmask_b32 v1, v3, v1 :: v_dual_cndmask_b32 v0, v2, v0
	v_mov_b32_e32 v2, 0
	global_store_b64 v2, v[0:1], s[0:1]
.LBB13_54:
	s_endpgm
.LBB13_55:
	ds_load_b64 v[4:5], v8
	s_or_b32 exec_lo, exec_lo, s4
	s_and_saveexec_b32 s4, vcc_lo
	s_cbranch_execz .LBB13_28
.LBB13_56:
	ds_load_b64 v[2:3], v8 offset:8
	s_or_b32 exec_lo, exec_lo, s4
	v_mov_b64_e32 v[6:7], 0
	s_and_saveexec_b32 s4, vcc_lo
	s_cbranch_execnz .LBB13_29
	s_branch .LBB13_30
	.section	.rodata,"a",@progbits
	.p2align	6, 0x0
	.amdhsa_kernel _ZN2at6native12_GLOBAL__N_124RowwiseMomentsCUDAKernelIddLb1EEEvlT0_PKT_PS3_S7_
		.amdhsa_group_segment_fixed_size 1024
		.amdhsa_private_segment_fixed_size 0
		.amdhsa_kernarg_size 296
		.amdhsa_user_sgpr_count 2
		.amdhsa_user_sgpr_dispatch_ptr 0
		.amdhsa_user_sgpr_queue_ptr 0
		.amdhsa_user_sgpr_kernarg_segment_ptr 1
		.amdhsa_user_sgpr_dispatch_id 0
		.amdhsa_user_sgpr_kernarg_preload_length 0
		.amdhsa_user_sgpr_kernarg_preload_offset 0
		.amdhsa_user_sgpr_private_segment_size 0
		.amdhsa_wavefront_size32 1
		.amdhsa_uses_dynamic_stack 0
		.amdhsa_enable_private_segment 0
		.amdhsa_system_sgpr_workgroup_id_x 1
		.amdhsa_system_sgpr_workgroup_id_y 0
		.amdhsa_system_sgpr_workgroup_id_z 0
		.amdhsa_system_sgpr_workgroup_info 0
		.amdhsa_system_vgpr_workitem_id 0
		.amdhsa_next_free_vgpr 30
		.amdhsa_next_free_sgpr 18
		.amdhsa_named_barrier_count 0
		.amdhsa_reserve_vcc 1
		.amdhsa_float_round_mode_32 0
		.amdhsa_float_round_mode_16_64 0
		.amdhsa_float_denorm_mode_32 3
		.amdhsa_float_denorm_mode_16_64 3
		.amdhsa_fp16_overflow 0
		.amdhsa_memory_ordered 1
		.amdhsa_forward_progress 1
		.amdhsa_inst_pref_size 30
		.amdhsa_round_robin_scheduling 0
		.amdhsa_exception_fp_ieee_invalid_op 0
		.amdhsa_exception_fp_denorm_src 0
		.amdhsa_exception_fp_ieee_div_zero 0
		.amdhsa_exception_fp_ieee_overflow 0
		.amdhsa_exception_fp_ieee_underflow 0
		.amdhsa_exception_fp_ieee_inexact 0
		.amdhsa_exception_int_div_zero 0
	.end_amdhsa_kernel
	.section	.text._ZN2at6native12_GLOBAL__N_124RowwiseMomentsCUDAKernelIddLb1EEEvlT0_PKT_PS3_S7_,"axG",@progbits,_ZN2at6native12_GLOBAL__N_124RowwiseMomentsCUDAKernelIddLb1EEEvlT0_PKT_PS3_S7_,comdat
.Lfunc_end13:
	.size	_ZN2at6native12_GLOBAL__N_124RowwiseMomentsCUDAKernelIddLb1EEEvlT0_PKT_PS3_S7_, .Lfunc_end13-_ZN2at6native12_GLOBAL__N_124RowwiseMomentsCUDAKernelIddLb1EEEvlT0_PKT_PS3_S7_
                                        ; -- End function
	.set _ZN2at6native12_GLOBAL__N_124RowwiseMomentsCUDAKernelIddLb1EEEvlT0_PKT_PS3_S7_.num_vgpr, 30
	.set _ZN2at6native12_GLOBAL__N_124RowwiseMomentsCUDAKernelIddLb1EEEvlT0_PKT_PS3_S7_.num_agpr, 0
	.set _ZN2at6native12_GLOBAL__N_124RowwiseMomentsCUDAKernelIddLb1EEEvlT0_PKT_PS3_S7_.numbered_sgpr, 18
	.set _ZN2at6native12_GLOBAL__N_124RowwiseMomentsCUDAKernelIddLb1EEEvlT0_PKT_PS3_S7_.num_named_barrier, 0
	.set _ZN2at6native12_GLOBAL__N_124RowwiseMomentsCUDAKernelIddLb1EEEvlT0_PKT_PS3_S7_.private_seg_size, 0
	.set _ZN2at6native12_GLOBAL__N_124RowwiseMomentsCUDAKernelIddLb1EEEvlT0_PKT_PS3_S7_.uses_vcc, 1
	.set _ZN2at6native12_GLOBAL__N_124RowwiseMomentsCUDAKernelIddLb1EEEvlT0_PKT_PS3_S7_.uses_flat_scratch, 0
	.set _ZN2at6native12_GLOBAL__N_124RowwiseMomentsCUDAKernelIddLb1EEEvlT0_PKT_PS3_S7_.has_dyn_sized_stack, 0
	.set _ZN2at6native12_GLOBAL__N_124RowwiseMomentsCUDAKernelIddLb1EEEvlT0_PKT_PS3_S7_.has_recursion, 0
	.set _ZN2at6native12_GLOBAL__N_124RowwiseMomentsCUDAKernelIddLb1EEEvlT0_PKT_PS3_S7_.has_indirect_call, 0
	.section	.AMDGPU.csdata,"",@progbits
; Kernel info:
; codeLenInByte = 3740
; TotalNumSgprs: 20
; NumVgprs: 30
; ScratchSize: 0
; MemoryBound: 0
; FloatMode: 240
; IeeeMode: 1
; LDSByteSize: 1024 bytes/workgroup (compile time only)
; SGPRBlocks: 0
; VGPRBlocks: 1
; NumSGPRsForWavesPerEU: 20
; NumVGPRsForWavesPerEU: 30
; NamedBarCnt: 0
; Occupancy: 16
; WaveLimiterHint : 0
; COMPUTE_PGM_RSRC2:SCRATCH_EN: 0
; COMPUTE_PGM_RSRC2:USER_SGPR: 2
; COMPUTE_PGM_RSRC2:TRAP_HANDLER: 0
; COMPUTE_PGM_RSRC2:TGID_X_EN: 1
; COMPUTE_PGM_RSRC2:TGID_Y_EN: 0
; COMPUTE_PGM_RSRC2:TGID_Z_EN: 0
; COMPUTE_PGM_RSRC2:TIDIG_COMP_CNT: 0
	.section	.text._ZN2at6native12_GLOBAL__N_126LayerNormForwardCUDAKernelIddLb1EEEvlPKT_PKT0_S8_S5_S5_PS3_,"axG",@progbits,_ZN2at6native12_GLOBAL__N_126LayerNormForwardCUDAKernelIddLb1EEEvlPKT_PKT0_S8_S5_S5_PS3_,comdat
	.globl	_ZN2at6native12_GLOBAL__N_126LayerNormForwardCUDAKernelIddLb1EEEvlPKT_PKT0_S8_S5_S5_PS3_ ; -- Begin function _ZN2at6native12_GLOBAL__N_126LayerNormForwardCUDAKernelIddLb1EEEvlPKT_PKT0_S8_S5_S5_PS3_
	.p2align	8
	.type	_ZN2at6native12_GLOBAL__N_126LayerNormForwardCUDAKernelIddLb1EEEvlPKT_PKT0_S8_S5_S5_PS3_,@function
_ZN2at6native12_GLOBAL__N_126LayerNormForwardCUDAKernelIddLb1EEEvlPKT_PKT0_S8_S5_S5_PS3_: ; @_ZN2at6native12_GLOBAL__N_126LayerNormForwardCUDAKernelIddLb1EEEvlPKT_PKT0_S8_S5_S5_PS3_
; %bb.0:
	s_load_b128 s[4:7], s[0:1], 0x0
	v_mov_b32_e32 v1, 0
	s_mov_b32 s2, exec_lo
	s_wait_kmcnt 0x0
	s_delay_alu instid0(VALU_DEP_1)
	v_cmpx_gt_i64_e64 s[4:5], v[0:1]
	s_cbranch_execz .LBB14_6
; %bb.1:
	s_clause 0x2
	s_load_b128 s[8:11], s[0:1], 0x18
	s_load_b32 s2, s[0:1], 0x44
	s_load_b64 s[12:13], s[0:1], 0x30
	s_bfe_u32 s3, ttmp6, 0x4000c
	s_wait_xcnt 0x0
	s_and_b32 s0, ttmp6, 15
	s_add_co_i32 s3, s3, 1
	s_getreg_b32 s14, hwreg(HW_REG_IB_STS2, 6, 4)
	s_mul_i32 s3, ttmp9, s3
	s_mov_b32 s1, 0
	s_add_co_i32 s0, s0, s3
	s_cmp_eq_u32 s14, 0
	v_mov_b64_e32 v[4:5], v[0:1]
	s_cselect_b32 s0, ttmp9, s0
	v_dual_mov_b32 v3, v1 :: v_dual_lshlrev_b32 v2, 3, v0
	s_mul_u64 s[16:17], s[4:5], s[0:1]
	s_mov_b32 s3, s1
	s_mov_b32 s15, s1
	s_wait_kmcnt 0x0
	s_cmp_lg_u64 s[10:11], 0
	s_cselect_b32 s14, -1, 0
	s_lshl_b64 s[18:19], s[0:1], 3
	s_and_b32 s2, s2, 0xffff
	s_lshl_b64 s[16:17], s[16:17], 3
	s_add_nc_u64 s[8:9], s[8:9], s[18:19]
	s_add_nc_u64 s[6:7], s[6:7], s[16:17]
	s_lshl_b32 s0, s2, 3
	s_add_nc_u64 s[12:13], s[12:13], s[16:17]
	s_branch .LBB14_4
.LBB14_2:                               ;   in Loop: Header=BB14_4 Depth=1
	v_add_nc_u64_e32 v[6:7], s[10:11], v[2:3]
	global_load_b64 v[6:7], v[6:7], off
.LBB14_3:                               ;   in Loop: Header=BB14_4 Depth=1
	v_add_nc_u64_e32 v[8:9], s[6:7], v[2:3]
	v_add_nc_u64_e32 v[4:5], s[2:3], v[4:5]
	global_load_b64 v[10:11], v[8:9], off
	global_load_b64 v[12:13], v1, s[8:9]
	v_cmp_le_i64_e32 vcc_lo, s[4:5], v[4:5]
	s_or_b32 s15, vcc_lo, s15
	s_wait_loadcnt 0x0
	s_wait_xcnt 0x1
	v_mul_f64_e32 v[8:9], v[10:11], v[12:13]
	s_delay_alu instid0(VALU_DEP_1)
	v_mul_f64_e32 v[6:7], v[6:7], v[8:9]
	v_add_nc_u64_e32 v[8:9], s[12:13], v[2:3]
	v_add_nc_u64_e32 v[2:3], s[0:1], v[2:3]
	global_store_b64 v[8:9], v[6:7], off
	s_wait_xcnt 0x0
	s_and_not1_b32 exec_lo, exec_lo, s15
	s_cbranch_execz .LBB14_6
.LBB14_4:                               ; =>This Inner Loop Header: Depth=1
	s_and_not1_b32 vcc_lo, exec_lo, s14
	s_cbranch_vccz .LBB14_2
; %bb.5:                                ;   in Loop: Header=BB14_4 Depth=1
	v_mov_b64_e32 v[6:7], 1.0
	s_branch .LBB14_3
.LBB14_6:
	s_endpgm
	.section	.rodata,"a",@progbits
	.p2align	6, 0x0
	.amdhsa_kernel _ZN2at6native12_GLOBAL__N_126LayerNormForwardCUDAKernelIddLb1EEEvlPKT_PKT0_S8_S5_S5_PS3_
		.amdhsa_group_segment_fixed_size 0
		.amdhsa_private_segment_fixed_size 0
		.amdhsa_kernarg_size 312
		.amdhsa_user_sgpr_count 2
		.amdhsa_user_sgpr_dispatch_ptr 0
		.amdhsa_user_sgpr_queue_ptr 0
		.amdhsa_user_sgpr_kernarg_segment_ptr 1
		.amdhsa_user_sgpr_dispatch_id 0
		.amdhsa_user_sgpr_kernarg_preload_length 0
		.amdhsa_user_sgpr_kernarg_preload_offset 0
		.amdhsa_user_sgpr_private_segment_size 0
		.amdhsa_wavefront_size32 1
		.amdhsa_uses_dynamic_stack 0
		.amdhsa_enable_private_segment 0
		.amdhsa_system_sgpr_workgroup_id_x 1
		.amdhsa_system_sgpr_workgroup_id_y 0
		.amdhsa_system_sgpr_workgroup_id_z 0
		.amdhsa_system_sgpr_workgroup_info 0
		.amdhsa_system_vgpr_workitem_id 0
		.amdhsa_next_free_vgpr 14
		.amdhsa_next_free_sgpr 20
		.amdhsa_named_barrier_count 0
		.amdhsa_reserve_vcc 1
		.amdhsa_float_round_mode_32 0
		.amdhsa_float_round_mode_16_64 0
		.amdhsa_float_denorm_mode_32 3
		.amdhsa_float_denorm_mode_16_64 3
		.amdhsa_fp16_overflow 0
		.amdhsa_memory_ordered 1
		.amdhsa_forward_progress 1
		.amdhsa_inst_pref_size 3
		.amdhsa_round_robin_scheduling 0
		.amdhsa_exception_fp_ieee_invalid_op 0
		.amdhsa_exception_fp_denorm_src 0
		.amdhsa_exception_fp_ieee_div_zero 0
		.amdhsa_exception_fp_ieee_overflow 0
		.amdhsa_exception_fp_ieee_underflow 0
		.amdhsa_exception_fp_ieee_inexact 0
		.amdhsa_exception_int_div_zero 0
	.end_amdhsa_kernel
	.section	.text._ZN2at6native12_GLOBAL__N_126LayerNormForwardCUDAKernelIddLb1EEEvlPKT_PKT0_S8_S5_S5_PS3_,"axG",@progbits,_ZN2at6native12_GLOBAL__N_126LayerNormForwardCUDAKernelIddLb1EEEvlPKT_PKT0_S8_S5_S5_PS3_,comdat
.Lfunc_end14:
	.size	_ZN2at6native12_GLOBAL__N_126LayerNormForwardCUDAKernelIddLb1EEEvlPKT_PKT0_S8_S5_S5_PS3_, .Lfunc_end14-_ZN2at6native12_GLOBAL__N_126LayerNormForwardCUDAKernelIddLb1EEEvlPKT_PKT0_S8_S5_S5_PS3_
                                        ; -- End function
	.set _ZN2at6native12_GLOBAL__N_126LayerNormForwardCUDAKernelIddLb1EEEvlPKT_PKT0_S8_S5_S5_PS3_.num_vgpr, 14
	.set _ZN2at6native12_GLOBAL__N_126LayerNormForwardCUDAKernelIddLb1EEEvlPKT_PKT0_S8_S5_S5_PS3_.num_agpr, 0
	.set _ZN2at6native12_GLOBAL__N_126LayerNormForwardCUDAKernelIddLb1EEEvlPKT_PKT0_S8_S5_S5_PS3_.numbered_sgpr, 20
	.set _ZN2at6native12_GLOBAL__N_126LayerNormForwardCUDAKernelIddLb1EEEvlPKT_PKT0_S8_S5_S5_PS3_.num_named_barrier, 0
	.set _ZN2at6native12_GLOBAL__N_126LayerNormForwardCUDAKernelIddLb1EEEvlPKT_PKT0_S8_S5_S5_PS3_.private_seg_size, 0
	.set _ZN2at6native12_GLOBAL__N_126LayerNormForwardCUDAKernelIddLb1EEEvlPKT_PKT0_S8_S5_S5_PS3_.uses_vcc, 1
	.set _ZN2at6native12_GLOBAL__N_126LayerNormForwardCUDAKernelIddLb1EEEvlPKT_PKT0_S8_S5_S5_PS3_.uses_flat_scratch, 0
	.set _ZN2at6native12_GLOBAL__N_126LayerNormForwardCUDAKernelIddLb1EEEvlPKT_PKT0_S8_S5_S5_PS3_.has_dyn_sized_stack, 0
	.set _ZN2at6native12_GLOBAL__N_126LayerNormForwardCUDAKernelIddLb1EEEvlPKT_PKT0_S8_S5_S5_PS3_.has_recursion, 0
	.set _ZN2at6native12_GLOBAL__N_126LayerNormForwardCUDAKernelIddLb1EEEvlPKT_PKT0_S8_S5_S5_PS3_.has_indirect_call, 0
	.section	.AMDGPU.csdata,"",@progbits
; Kernel info:
; codeLenInByte = 308
; TotalNumSgprs: 22
; NumVgprs: 14
; ScratchSize: 0
; MemoryBound: 0
; FloatMode: 240
; IeeeMode: 1
; LDSByteSize: 0 bytes/workgroup (compile time only)
; SGPRBlocks: 0
; VGPRBlocks: 0
; NumSGPRsForWavesPerEU: 22
; NumVGPRsForWavesPerEU: 14
; NamedBarCnt: 0
; Occupancy: 16
; WaveLimiterHint : 0
; COMPUTE_PGM_RSRC2:SCRATCH_EN: 0
; COMPUTE_PGM_RSRC2:USER_SGPR: 2
; COMPUTE_PGM_RSRC2:TRAP_HANDLER: 0
; COMPUTE_PGM_RSRC2:TGID_X_EN: 1
; COMPUTE_PGM_RSRC2:TGID_Y_EN: 0
; COMPUTE_PGM_RSRC2:TGID_Z_EN: 0
; COMPUTE_PGM_RSRC2:TIDIG_COMP_CNT: 0
	.section	.text._ZN2at6native12_GLOBAL__N_128vectorized_layer_norm_kernelIffLb1EEEviT0_PKT_S6_S6_PS3_S7_PS4_,"axG",@progbits,_ZN2at6native12_GLOBAL__N_128vectorized_layer_norm_kernelIffLb1EEEviT0_PKT_S6_S6_PS3_S7_PS4_,comdat
	.globl	_ZN2at6native12_GLOBAL__N_128vectorized_layer_norm_kernelIffLb1EEEviT0_PKT_S6_S6_PS3_S7_PS4_ ; -- Begin function _ZN2at6native12_GLOBAL__N_128vectorized_layer_norm_kernelIffLb1EEEviT0_PKT_S6_S6_PS3_S7_PS4_
	.p2align	8
	.type	_ZN2at6native12_GLOBAL__N_128vectorized_layer_norm_kernelIffLb1EEEviT0_PKT_S6_S6_PS3_S7_PS4_,@function
_ZN2at6native12_GLOBAL__N_128vectorized_layer_norm_kernelIffLb1EEEviT0_PKT_S6_S6_PS3_S7_PS4_: ; @_ZN2at6native12_GLOBAL__N_128vectorized_layer_norm_kernelIffLb1EEEviT0_PKT_S6_S6_PS3_S7_PS4_
; %bb.0:
	s_clause 0x1
	s_load_b32 s3, s[0:1], 0x44
	s_load_b128 s[8:11], s[0:1], 0x0
	s_bfe_u32 s2, ttmp6, 0x4000c
	s_and_b32 s4, ttmp6, 15
	s_add_co_i32 s2, s2, 1
	s_getreg_b32 s5, hwreg(HW_REG_IB_STS2, 6, 4)
	s_mul_i32 s2, ttmp9, s2
	v_bfe_u32 v2, v0, 10, 10
	s_add_co_i32 s4, s4, s2
	s_cmp_eq_u32 s5, 0
	v_and_b32_e32 v3, 0x3ff, v0
	s_cselect_b32 s12, ttmp9, s4
	v_mov_b32_e32 v9, 0
	s_mov_b32 s13, 0
	s_wait_kmcnt 0x0
	s_and_b32 s7, s3, 0xffff
	s_ashr_i32 s5, s8, 31
	v_mul_u32_u24_e32 v0, s7, v2
	s_lshr_b32 s2, s5, 30
	v_mad_u32_u24 v14, v2, s7, v3
	s_add_co_i32 s2, s8, s2
	s_mov_b32 s4, s8
	s_ashr_i32 s18, s2, 2
	v_add_lshl_u32 v8, v0, v3, 4
	v_cmp_gt_i32_e64 s2, s18, v14
	s_lshr_b32 s6, s3, 16
	s_mul_u64 s[16:17], s[4:5], s[12:13]
	s_mul_i32 s14, s6, s7
	s_and_saveexec_b32 s3, s2
	s_cbranch_execz .LBB15_4
; %bb.1:
	v_dual_mov_b32 v9, 0 :: v_dual_mov_b32 v4, v14
	s_lshl_b64 s[4:5], s[16:17], 2
	s_ashr_i32 s15, s14, 31
	s_add_nc_u64 s[4:5], s[10:11], s[4:5]
	s_mov_b32 s7, s13
	v_add_nc_u64_e32 v[0:1], s[4:5], v[8:9]
	s_lshl_b64 s[4:5], s[14:15], 4
	s_delay_alu instid0(VALU_DEP_1)
	v_add_nc_u64_e32 v[0:1], 8, v[0:1]
.LBB15_2:                               ; =>This Inner Loop Header: Depth=1
	global_load_b128 v[10:13], v[0:1], off offset:-8
	s_wait_xcnt 0x0
	v_add_nc_u64_e32 v[0:1], s[4:5], v[0:1]
	v_add_nc_u32_e32 v4, s14, v4
	s_delay_alu instid0(VALU_DEP_1) | instskip(SKIP_4) | instid1(VALU_DEP_2)
	v_cmp_le_i32_e32 vcc_lo, s18, v4
	s_or_b32 s7, vcc_lo, s7
	s_wait_loadcnt 0x0
	v_pk_mul_f32 v[6:7], v[10:11], v[10:11]
	v_pk_mul_f32 v[10:11], v[12:13], v[12:13]
	v_add_f32_e32 v5, v9, v6
	s_delay_alu instid0(VALU_DEP_1) | instskip(NEXT) | instid1(VALU_DEP_1)
	v_add_f32_e32 v5, v5, v7
	v_add_f32_e32 v5, v5, v10
	s_delay_alu instid0(VALU_DEP_1)
	v_add_f32_e32 v9, v5, v11
	s_and_not1_b32 exec_lo, exec_lo, s7
	s_cbranch_execnz .LBB15_2
; %bb.3:
	s_or_b32 exec_lo, exec_lo, s7
.LBB15_4:
	s_delay_alu instid0(SALU_CYCLE_1) | instskip(SKIP_3) | instid1(VALU_DEP_1)
	s_or_b32 exec_lo, exec_lo, s3
	v_mbcnt_lo_u32_b32 v0, -1, 0
	s_cmp_lt_u32 s6, 2
	s_mov_b32 s3, -1
                                        ; implicit-def: $vgpr11
	v_lshlrev_b32_e32 v1, 2, v0
	v_cmp_gt_u32_e32 vcc_lo, 24, v0
	s_delay_alu instid0(VALU_DEP_2)
	v_or_b32_e32 v1, 64, v1
	v_cndmask_b32_e64 v4, 0, 8, vcc_lo
	v_cmp_gt_u32_e32 vcc_lo, 28, v0
	ds_bpermute_b32 v1, v1, v9
	v_add_lshl_u32 v4, v4, v0, 2
	v_cndmask_b32_e64 v5, 0, 4, vcc_lo
	v_cmp_gt_u32_e32 vcc_lo, 30, v0
	s_delay_alu instid0(VALU_DEP_2)
	v_add_lshl_u32 v5, v5, v0, 2
	s_wait_dscnt 0x0
	v_add_f32_e32 v1, v9, v1
	ds_bpermute_b32 v4, v4, v1
	s_wait_dscnt 0x0
	v_add_f32_e32 v1, v1, v4
	ds_bpermute_b32 v4, v5, v1
	v_cndmask_b32_e64 v5, 0, 2, vcc_lo
	v_cmp_ne_u32_e32 vcc_lo, 31, v0
	s_delay_alu instid0(VALU_DEP_2) | instskip(SKIP_1) | instid1(VALU_DEP_1)
	v_add_lshl_u32 v5, v5, v0, 2
	v_add_co_ci_u32_e64 v0, null, 0, v0, vcc_lo
	v_lshlrev_b32_e32 v0, 2, v0
	s_wait_dscnt 0x0
	v_add_f32_e32 v1, v1, v4
	ds_bpermute_b32 v4, v5, v1
	s_wait_dscnt 0x0
	v_add_f32_e32 v1, v1, v4
	ds_bpermute_b32 v0, v0, v1
	s_wait_dscnt 0x0
	v_add_f32_e32 v0, v1, v0
	s_cbranch_scc0 .LBB15_6
; %bb.5:
	v_mov_b32_e32 v1, 0
	s_cvt_f32_i32 s3, s8
	ds_bpermute_b32 v1, v1, v0
	s_wait_dscnt 0x0
	v_div_scale_f32 v4, null, s3, s3, v1
	s_delay_alu instid0(VALU_DEP_1) | instskip(SKIP_1) | instid1(TRANS32_DEP_1)
	v_rcp_f32_e32 v5, v4
	v_nop
	v_fma_f32 v6, -v4, v5, 1.0
	s_delay_alu instid0(VALU_DEP_1) | instskip(SKIP_1) | instid1(VALU_DEP_1)
	v_fmac_f32_e32 v5, v6, v5
	v_div_scale_f32 v6, vcc_lo, v1, s3, v1
	v_mul_f32_e32 v7, v6, v5
	s_delay_alu instid0(VALU_DEP_1) | instskip(NEXT) | instid1(VALU_DEP_1)
	v_fma_f32 v9, -v4, v7, v6
	v_fmac_f32_e32 v7, v9, v5
	s_delay_alu instid0(VALU_DEP_1) | instskip(NEXT) | instid1(VALU_DEP_1)
	v_fma_f32 v4, -v4, v7, v6
	v_div_fmas_f32 v4, v4, v5, v7
	s_delay_alu instid0(VALU_DEP_1)
	v_div_fixup_f32 v11, v4, s3, v1
	s_mov_b32 s3, 0
.LBB15_6:
	v_mov_b32_e32 v10, 0
	s_and_not1_b32 vcc_lo, exec_lo, s3
	s_cbranch_vccnz .LBB15_17
; %bb.7:
	v_dual_mov_b32 v4, 0 :: v_dual_lshlrev_b32 v1, 3, v2
	s_lshl_b32 s3, s6, 2
	v_cmp_eq_u32_e32 vcc_lo, 0, v3
	s_add_co_i32 s5, s3, 0
	s_delay_alu instid0(VALU_DEP_2)
	v_add_nc_u32_e32 v1, 0, v1
.LBB15_8:                               ; =>This Inner Loop Header: Depth=1
	s_lshr_b32 s7, s6, 1
	s_and_b32 s4, s6, 0xfffe
	v_cmp_le_u32_e64 s3, s7, v2
	v_cmp_gt_u32_e64 s4, s4, v2
	s_and_b32 s3, vcc_lo, s3
	s_delay_alu instid0(SALU_CYCLE_1) | instskip(NEXT) | instid1(SALU_CYCLE_1)
	s_and_b32 s4, s3, s4
	s_and_saveexec_b32 s3, s4
	s_cbranch_execz .LBB15_10
; %bb.9:                                ;   in Loop: Header=BB15_8 Depth=1
	v_subrev_nc_u32_e32 v5, s7, v2
	s_delay_alu instid0(VALU_DEP_1)
	v_lshl_add_u32 v6, v5, 3, 0
	v_lshl_add_u32 v5, v5, 2, s5
	ds_store_2addr_b32 v6, v4, v0 offset1:1
	ds_store_b32 v5, v4
.LBB15_10:                              ;   in Loop: Header=BB15_8 Depth=1
	s_or_b32 exec_lo, exec_lo, s3
	v_cmp_gt_u32_e64 s3, s7, v2
	s_wait_dscnt 0x0
	s_barrier_signal -1
	s_barrier_wait -1
	s_and_b32 s4, vcc_lo, s3
	s_delay_alu instid0(SALU_CYCLE_1)
	s_and_saveexec_b32 s3, s4
	s_cbranch_execz .LBB15_12
; %bb.11:                               ;   in Loop: Header=BB15_8 Depth=1
	ds_load_b32 v5, v1 offset:4
	s_wait_dscnt 0x0
	v_add_f32_e32 v0, v0, v5
.LBB15_12:                              ;   in Loop: Header=BB15_8 Depth=1
	s_or_b32 exec_lo, exec_lo, s3
	s_cmp_lt_u32 s6, 4
	s_barrier_signal -1
	s_barrier_wait -1
	s_cbranch_scc1 .LBB15_14
; %bb.13:                               ;   in Loop: Header=BB15_8 Depth=1
	s_mov_b32 s6, s7
	s_branch .LBB15_8
.LBB15_14:
	v_or_b32_e32 v1, v3, v2
	s_mov_b32 s3, exec_lo
	s_delay_alu instid0(VALU_DEP_1)
	v_cmpx_eq_u32_e32 0, v1
	s_cbranch_execz .LBB15_16
; %bb.15:
	s_cvt_f32_i32 s4, s8
	s_delay_alu instid0(SALU_CYCLE_3) | instskip(SKIP_1) | instid1(VALU_DEP_2)
	v_div_scale_f32 v1, null, s4, s4, v0
	v_div_scale_f32 v4, vcc_lo, v0, s4, v0
	v_rcp_f32_e32 v2, v1
	v_nop
	s_delay_alu instid0(TRANS32_DEP_1) | instskip(NEXT) | instid1(VALU_DEP_1)
	v_fma_f32 v3, -v1, v2, 1.0
	v_fmac_f32_e32 v2, v3, v2
	s_delay_alu instid0(VALU_DEP_1) | instskip(NEXT) | instid1(VALU_DEP_1)
	v_mul_f32_e32 v3, v4, v2
	v_fma_f32 v5, -v1, v3, v4
	s_delay_alu instid0(VALU_DEP_1) | instskip(NEXT) | instid1(VALU_DEP_1)
	v_fmac_f32_e32 v3, v5, v2
	v_fma_f32 v1, -v1, v3, v4
	s_delay_alu instid0(VALU_DEP_1) | instskip(NEXT) | instid1(VALU_DEP_1)
	v_div_fmas_f32 v1, v1, v2, v3
	v_div_fixup_f32 v0, v1, s4, v0
	v_mov_b32_e32 v1, 0
	ds_store_2addr_b32 v1, v1, v0 offset1:1
.LBB15_16:
	s_or_b32 exec_lo, exec_lo, s3
	v_mov_b32_e32 v0, 0
	s_wait_dscnt 0x0
	s_barrier_signal -1
	s_barrier_wait -1
	ds_load_2addr_b32 v[10:11], v0 offset1:1
.LBB15_17:
	s_wait_dscnt 0x0
	v_add_f32_e32 v0, s9, v11
	s_load_b128 s[4:7], s[0:1], 0x28
	s_delay_alu instid0(VALU_DEP_1) | instskip(SKIP_1) | instid1(VALU_DEP_2)
	v_mul_f32_e32 v1, 0x4b800000, v0
	v_cmp_gt_f32_e32 vcc_lo, 0x800000, v0
	v_cndmask_b32_e32 v0, v0, v1, vcc_lo
	s_delay_alu instid0(VALU_DEP_1) | instskip(SKIP_1) | instid1(TRANS32_DEP_1)
	v_rsq_f32_e32 v0, v0
	v_nop
	v_mul_f32_e32 v1, 0x45800000, v0
	s_delay_alu instid0(VALU_DEP_1)
	v_cndmask_b32_e32 v12, v0, v1, vcc_lo
	s_and_saveexec_b32 s19, s2
	s_cbranch_execz .LBB15_32
; %bb.18:
	s_wait_xcnt 0x0
	s_load_b128 s[0:3], s[0:1], 0x10
	v_dual_mov_b32 v13, v12 :: v_dual_mov_b32 v11, v10
	v_dual_mov_b32 v9, 0 :: v_dual_mov_b32 v15, v14
	s_wait_kmcnt 0x0
	s_cmp_eq_u64 s[0:1], 0
	s_add_nc_u64 s[0:1], s[0:1], 8
	s_cselect_b32 s20, -1, 0
	s_cmp_eq_u64 s[2:3], 0
	s_cselect_b32 s21, -1, 0
	s_lshl_b64 s[8:9], s[16:17], 2
	v_cndmask_b32_e64 v16, 0, 1, s21
	s_ashr_i32 s15, s14, 31
	s_add_nc_u64 s[10:11], s[10:11], s[8:9]
	s_add_nc_u64 s[6:7], s[6:7], s[8:9]
	s_or_b32 s16, s20, s21
	s_lshl_b64 s[8:9], s[14:15], 4
	s_add_nc_u64 s[10:11], s[10:11], 8
	s_mov_b32 s15, 0
	s_branch .LBB15_20
.LBB15_19:                              ;   in Loop: Header=BB15_20 Depth=1
	v_add_nc_u32_e32 v15, s14, v15
	s_wait_loadcnt 0x0
	s_wait_xcnt 0x0
	v_add_nc_u64_e32 v[0:1], s[6:7], v[8:9]
	v_add_nc_u64_e32 v[8:9], s[8:9], v[8:9]
	v_cmp_le_i32_e32 vcc_lo, s18, v15
	global_store_b128 v[0:1], v[4:7], off
	s_or_b32 s15, vcc_lo, s15
	s_wait_xcnt 0x0
	s_and_not1_b32 exec_lo, exec_lo, s15
	s_cbranch_execz .LBB15_32
.LBB15_20:                              ; =>This Inner Loop Header: Depth=1
	v_add_nc_u64_e32 v[0:1], s[10:11], v[8:9]
	s_and_b32 vcc_lo, exec_lo, s16
	s_mov_b32 s17, -1
                                        ; implicit-def: $vgpr6_vgpr7
	global_load_b128 v[0:3], v[0:1], off offset:-8
	s_cbranch_vccz .LBB15_30
; %bb.21:                               ;   in Loop: Header=BB15_20 Depth=1
	s_and_b32 vcc_lo, exec_lo, s20
                                        ; implicit-def: $vgpr6_vgpr7
	s_cbranch_vccz .LBB15_27
; %bb.22:                               ;   in Loop: Header=BB15_20 Depth=1
	v_cmp_ne_u32_e32 vcc_lo, 1, v16
                                        ; implicit-def: $vgpr6_vgpr7
	s_cbranch_vccnz .LBB15_24
; %bb.23:                               ;   in Loop: Header=BB15_20 Depth=1
	s_wait_loadcnt 0x0
	v_pk_mul_f32 v[4:5], v[12:13], v[0:1]
	v_pk_mul_f32 v[6:7], v[12:13], v[2:3]
	s_mov_b32 s17, 0
.LBB15_24:                              ;   in Loop: Header=BB15_20 Depth=1
	s_delay_alu instid0(SALU_CYCLE_1)
	s_and_not1_b32 vcc_lo, exec_lo, s17
	s_cbranch_vccnz .LBB15_26
; %bb.25:                               ;   in Loop: Header=BB15_20 Depth=1
	v_add_nc_u64_e32 v[4:5], s[2:3], v[8:9]
	s_wait_loadcnt 0x0
	v_pk_add_f32 v[18:19], v[0:1], v[10:11] neg_lo:[0,1] neg_hi:[0,1]
	v_pk_add_f32 v[20:21], v[2:3], v[10:11] neg_lo:[0,1] neg_hi:[0,1]
	global_load_b128 v[4:7], v[4:5], off
	s_wait_loadcnt 0x0
	s_wait_xcnt 0x0
	v_pk_fma_f32 v[4:5], v[12:13], v[18:19], v[4:5]
	v_pk_fma_f32 v[6:7], v[12:13], v[20:21], v[6:7]
.LBB15_26:                              ;   in Loop: Header=BB15_20 Depth=1
	s_mov_b32 s17, 0
.LBB15_27:                              ;   in Loop: Header=BB15_20 Depth=1
	s_delay_alu instid0(SALU_CYCLE_1)
	s_and_not1_b32 vcc_lo, exec_lo, s17
	s_cbranch_vccnz .LBB15_29
; %bb.28:                               ;   in Loop: Header=BB15_20 Depth=1
	v_add_nc_u64_e32 v[4:5], s[0:1], v[8:9]
	s_wait_loadcnt 0x0
	v_pk_mul_f32 v[18:19], v[12:13], v[0:1]
	v_pk_mul_f32 v[20:21], v[12:13], v[2:3]
	global_load_b128 v[4:7], v[4:5], off offset:-8
	s_wait_loadcnt 0x0
	s_wait_xcnt 0x0
	v_pk_mul_f32 v[4:5], v[18:19], v[4:5]
	v_pk_mul_f32 v[6:7], v[20:21], v[6:7]
.LBB15_29:                              ;   in Loop: Header=BB15_20 Depth=1
	s_mov_b32 s17, 0
.LBB15_30:                              ;   in Loop: Header=BB15_20 Depth=1
	s_delay_alu instid0(SALU_CYCLE_1)
	s_and_not1_b32 vcc_lo, exec_lo, s17
	s_cbranch_vccnz .LBB15_19
; %bb.31:                               ;   in Loop: Header=BB15_20 Depth=1
	v_add_nc_u64_e32 v[4:5], s[0:1], v[8:9]
	s_wait_loadcnt 0x0
	s_wait_xcnt 0x0
	v_pk_mul_f32 v[0:1], v[12:13], v[0:1]
	v_pk_mul_f32 v[2:3], v[12:13], v[2:3]
	global_load_b128 v[4:7], v[4:5], off offset:-8
	s_wait_loadcnt 0x0
	s_wait_xcnt 0x0
	v_pk_mul_f32 v[4:5], v[0:1], v[4:5]
	v_pk_mul_f32 v[6:7], v[2:3], v[6:7]
	s_branch .LBB15_19
.LBB15_32:
	s_or_b32 exec_lo, exec_lo, s19
	s_wait_xcnt 0x0
	s_mov_b32 s0, exec_lo
	v_cmpx_eq_u32_e32 0, v14
	s_cbranch_execz .LBB15_34
; %bb.33:
	v_mov_b32_e32 v0, 0
	s_lshl_b64 s[0:1], s[12:13], 2
	s_wait_kmcnt 0x0
	s_add_nc_u64 s[0:1], s[4:5], s[0:1]
	global_store_b32 v0, v12, s[0:1]
.LBB15_34:
	s_endpgm
	.section	.rodata,"a",@progbits
	.p2align	6, 0x0
	.amdhsa_kernel _ZN2at6native12_GLOBAL__N_128vectorized_layer_norm_kernelIffLb1EEEviT0_PKT_S6_S6_PS3_S7_PS4_
		.amdhsa_group_segment_fixed_size 0
		.amdhsa_private_segment_fixed_size 0
		.amdhsa_kernarg_size 312
		.amdhsa_user_sgpr_count 2
		.amdhsa_user_sgpr_dispatch_ptr 0
		.amdhsa_user_sgpr_queue_ptr 0
		.amdhsa_user_sgpr_kernarg_segment_ptr 1
		.amdhsa_user_sgpr_dispatch_id 0
		.amdhsa_user_sgpr_kernarg_preload_length 0
		.amdhsa_user_sgpr_kernarg_preload_offset 0
		.amdhsa_user_sgpr_private_segment_size 0
		.amdhsa_wavefront_size32 1
		.amdhsa_uses_dynamic_stack 0
		.amdhsa_enable_private_segment 0
		.amdhsa_system_sgpr_workgroup_id_x 1
		.amdhsa_system_sgpr_workgroup_id_y 0
		.amdhsa_system_sgpr_workgroup_id_z 0
		.amdhsa_system_sgpr_workgroup_info 0
		.amdhsa_system_vgpr_workitem_id 1
		.amdhsa_next_free_vgpr 22
		.amdhsa_next_free_sgpr 22
		.amdhsa_named_barrier_count 0
		.amdhsa_reserve_vcc 1
		.amdhsa_float_round_mode_32 0
		.amdhsa_float_round_mode_16_64 0
		.amdhsa_float_denorm_mode_32 3
		.amdhsa_float_denorm_mode_16_64 3
		.amdhsa_fp16_overflow 0
		.amdhsa_memory_ordered 1
		.amdhsa_forward_progress 1
		.amdhsa_inst_pref_size 13
		.amdhsa_round_robin_scheduling 0
		.amdhsa_exception_fp_ieee_invalid_op 0
		.amdhsa_exception_fp_denorm_src 0
		.amdhsa_exception_fp_ieee_div_zero 0
		.amdhsa_exception_fp_ieee_overflow 0
		.amdhsa_exception_fp_ieee_underflow 0
		.amdhsa_exception_fp_ieee_inexact 0
		.amdhsa_exception_int_div_zero 0
	.end_amdhsa_kernel
	.section	.text._ZN2at6native12_GLOBAL__N_128vectorized_layer_norm_kernelIffLb1EEEviT0_PKT_S6_S6_PS3_S7_PS4_,"axG",@progbits,_ZN2at6native12_GLOBAL__N_128vectorized_layer_norm_kernelIffLb1EEEviT0_PKT_S6_S6_PS3_S7_PS4_,comdat
.Lfunc_end15:
	.size	_ZN2at6native12_GLOBAL__N_128vectorized_layer_norm_kernelIffLb1EEEviT0_PKT_S6_S6_PS3_S7_PS4_, .Lfunc_end15-_ZN2at6native12_GLOBAL__N_128vectorized_layer_norm_kernelIffLb1EEEviT0_PKT_S6_S6_PS3_S7_PS4_
                                        ; -- End function
	.set _ZN2at6native12_GLOBAL__N_128vectorized_layer_norm_kernelIffLb1EEEviT0_PKT_S6_S6_PS3_S7_PS4_.num_vgpr, 22
	.set _ZN2at6native12_GLOBAL__N_128vectorized_layer_norm_kernelIffLb1EEEviT0_PKT_S6_S6_PS3_S7_PS4_.num_agpr, 0
	.set _ZN2at6native12_GLOBAL__N_128vectorized_layer_norm_kernelIffLb1EEEviT0_PKT_S6_S6_PS3_S7_PS4_.numbered_sgpr, 22
	.set _ZN2at6native12_GLOBAL__N_128vectorized_layer_norm_kernelIffLb1EEEviT0_PKT_S6_S6_PS3_S7_PS4_.num_named_barrier, 0
	.set _ZN2at6native12_GLOBAL__N_128vectorized_layer_norm_kernelIffLb1EEEviT0_PKT_S6_S6_PS3_S7_PS4_.private_seg_size, 0
	.set _ZN2at6native12_GLOBAL__N_128vectorized_layer_norm_kernelIffLb1EEEviT0_PKT_S6_S6_PS3_S7_PS4_.uses_vcc, 1
	.set _ZN2at6native12_GLOBAL__N_128vectorized_layer_norm_kernelIffLb1EEEviT0_PKT_S6_S6_PS3_S7_PS4_.uses_flat_scratch, 0
	.set _ZN2at6native12_GLOBAL__N_128vectorized_layer_norm_kernelIffLb1EEEviT0_PKT_S6_S6_PS3_S7_PS4_.has_dyn_sized_stack, 0
	.set _ZN2at6native12_GLOBAL__N_128vectorized_layer_norm_kernelIffLb1EEEviT0_PKT_S6_S6_PS3_S7_PS4_.has_recursion, 0
	.set _ZN2at6native12_GLOBAL__N_128vectorized_layer_norm_kernelIffLb1EEEviT0_PKT_S6_S6_PS3_S7_PS4_.has_indirect_call, 0
	.section	.AMDGPU.csdata,"",@progbits
; Kernel info:
; codeLenInByte = 1572
; TotalNumSgprs: 24
; NumVgprs: 22
; ScratchSize: 0
; MemoryBound: 0
; FloatMode: 240
; IeeeMode: 1
; LDSByteSize: 0 bytes/workgroup (compile time only)
; SGPRBlocks: 0
; VGPRBlocks: 1
; NumSGPRsForWavesPerEU: 24
; NumVGPRsForWavesPerEU: 22
; NamedBarCnt: 0
; Occupancy: 16
; WaveLimiterHint : 0
; COMPUTE_PGM_RSRC2:SCRATCH_EN: 0
; COMPUTE_PGM_RSRC2:USER_SGPR: 2
; COMPUTE_PGM_RSRC2:TRAP_HANDLER: 0
; COMPUTE_PGM_RSRC2:TGID_X_EN: 1
; COMPUTE_PGM_RSRC2:TGID_Y_EN: 0
; COMPUTE_PGM_RSRC2:TGID_Z_EN: 0
; COMPUTE_PGM_RSRC2:TIDIG_COMP_CNT: 1
	.section	.text._ZN2at6native12_GLOBAL__N_124RowwiseMomentsCUDAKernelIffLb1EEEvlT0_PKT_PS3_S7_,"axG",@progbits,_ZN2at6native12_GLOBAL__N_124RowwiseMomentsCUDAKernelIffLb1EEEvlT0_PKT_PS3_S7_,comdat
	.globl	_ZN2at6native12_GLOBAL__N_124RowwiseMomentsCUDAKernelIffLb1EEEvlT0_PKT_PS3_S7_ ; -- Begin function _ZN2at6native12_GLOBAL__N_124RowwiseMomentsCUDAKernelIffLb1EEEvlT0_PKT_PS3_S7_
	.p2align	8
	.type	_ZN2at6native12_GLOBAL__N_124RowwiseMomentsCUDAKernelIffLb1EEEvlT0_PKT_PS3_S7_,@function
_ZN2at6native12_GLOBAL__N_124RowwiseMomentsCUDAKernelIffLb1EEEvlT0_PKT_PS3_S7_: ; @_ZN2at6native12_GLOBAL__N_124RowwiseMomentsCUDAKernelIffLb1EEEvlT0_PKT_PS3_S7_
; %bb.0:
	s_load_b64 s[4:5], s[0:1], 0x0
	s_bfe_u32 s2, ttmp6, 0x4000c
	s_and_b32 s3, ttmp6, 15
	s_add_co_i32 s2, s2, 1
	v_mov_b64_e32 v[6:7], 0
	s_mul_i32 s2, ttmp9, s2
	v_mov_b64_e32 v[2:3], 0
	s_getreg_b32 s6, hwreg(HW_REG_IB_STS2, 6, 4)
	v_mov_b32_e32 v1, 0
	s_add_co_i32 s2, s3, s2
	s_cmp_eq_u32 s6, 0
	s_mov_b32 s3, 0
	s_cselect_b32 s2, ttmp9, s2
	s_mov_b32 s12, exec_lo
	s_wait_kmcnt 0x0
	v_cmpx_gt_i64_e64 s[4:5], v[0:1]
	s_cbranch_execz .LBB16_4
; %bb.1:
	s_clause 0x1
	s_load_b64 s[8:9], s[0:1], 0x10
	s_load_b32 s13, s[0:1], 0x34
	s_mul_u64 s[6:7], s[4:5], s[2:3]
	v_dual_mov_b32 v5, 0 :: v_dual_lshlrev_b32 v4, 2, v0
	s_lshl_b64 s[10:11], s[6:7], 2
	v_mov_b64_e32 v[10:11], v[0:1]
	s_mov_b32 s7, s3
	s_delay_alu instid0(VALU_DEP_2)
	v_mov_b32_e32 v3, v5
	s_wait_kmcnt 0x0
	s_add_nc_u64 s[8:9], s[8:9], s[10:11]
	s_and_b32 s6, s13, 0xffff
	v_add_nc_u64_e32 v[8:9], s[8:9], v[4:5]
	s_lshl_b32 s8, s6, 2
	s_mov_b32 s9, s3
	s_mov_b64 s[10:11], 0
	s_mov_b32 s13, s3
.LBB16_2:                               ; =>This Inner Loop Header: Depth=1
	global_load_b32 v2, v[8:9], off
	s_add_nc_u64 s[10:11], s[10:11], 1
	v_add_nc_u64_e32 v[10:11], s[6:7], v[10:11]
	s_clz_i32_u32 s14, s11
	s_wait_xcnt 0x0
	v_add_nc_u64_e32 v[8:9], s[8:9], v[8:9]
	s_min_u32 s16, s14, 32
	s_delay_alu instid0(SALU_CYCLE_1) | instskip(NEXT) | instid1(SALU_CYCLE_1)
	s_lshl_b64 s[14:15], s[10:11], s16
	s_min_u32 s14, s14, 1
	s_delay_alu instid0(SALU_CYCLE_1) | instskip(SKIP_2) | instid1(SALU_CYCLE_3)
	s_or_b32 s14, s15, s14
	s_sub_co_i32 s15, 32, s16
	s_cvt_f32_u32 s14, s14
	v_ldexp_f32 v1, s14, s15
	s_wait_loadcnt 0x0
	v_sub_f32_e32 v4, v2, v3
	s_delay_alu instid0(VALU_DEP_1) | instskip(SKIP_1) | instid1(VALU_DEP_2)
	v_div_scale_f32 v6, null, v1, v1, v4
	v_div_scale_f32 v13, vcc_lo, v4, v1, v4
	v_rcp_f32_e32 v7, v6
	v_nop
	s_delay_alu instid0(TRANS32_DEP_1) | instskip(NEXT) | instid1(VALU_DEP_1)
	v_fma_f32 v12, -v6, v7, 1.0
	v_fmac_f32_e32 v7, v12, v7
	s_delay_alu instid0(VALU_DEP_1) | instskip(NEXT) | instid1(VALU_DEP_1)
	v_mul_f32_e32 v12, v13, v7
	v_fma_f32 v14, -v6, v12, v13
	s_delay_alu instid0(VALU_DEP_1) | instskip(NEXT) | instid1(VALU_DEP_1)
	v_fmac_f32_e32 v12, v14, v7
	v_fma_f32 v6, -v6, v12, v13
	s_delay_alu instid0(VALU_DEP_1) | instskip(SKIP_1) | instid1(VALU_DEP_2)
	v_div_fmas_f32 v6, v6, v7, v12
	v_cmp_le_i64_e32 vcc_lo, s[4:5], v[10:11]
	v_div_fixup_f32 v6, v6, v1, v4
	s_or_b32 s13, vcc_lo, s13
	s_delay_alu instid0(VALU_DEP_1) | instskip(SKIP_1) | instid1(VALU_DEP_2)
	v_add_f32_e32 v3, v3, v6
	v_mov_b64_e32 v[6:7], s[10:11]
	v_sub_f32_e32 v2, v2, v3
	s_delay_alu instid0(VALU_DEP_1)
	v_fmac_f32_e32 v5, v4, v2
	s_and_not1_b32 exec_lo, exec_lo, s13
	s_cbranch_execnz .LBB16_2
; %bb.3:
	s_or_b32 exec_lo, exec_lo, s13
	s_delay_alu instid0(VALU_DEP_1)
	v_mov_b32_e32 v2, v5
.LBB16_4:
	s_or_b32 exec_lo, exec_lo, s12
	v_mbcnt_lo_u32_b32 v13, -1, 0
	s_mov_b32 s4, exec_lo
	s_delay_alu instid0(VALU_DEP_1)
	v_lshl_or_b32 v10, v13, 2, 64
	ds_bpermute_b32 v5, v10, v3
	ds_bpermute_b32 v4, v10, v2
	;; [unrolled: 1-line block ×5, first 2 shown]
	v_cmpx_neq_f32_e32 0, v1
	s_cbranch_execz .LBB16_8
; %bb.5:
	s_mov_b32 s5, exec_lo
	s_wait_dscnt 0x0
	v_cmpx_neq_f32_e32 0, v11
	s_cbranch_execz .LBB16_7
; %bb.6:
	v_add_f32_e32 v12, v1, v11
	s_delay_alu instid0(VALU_DEP_1) | instskip(SKIP_1) | instid1(VALU_DEP_2)
	v_div_scale_f32 v6, null, v12, v12, v11
	v_div_scale_f32 v14, vcc_lo, v11, v12, v11
	v_rcp_f32_e32 v7, v6
	v_nop
	s_delay_alu instid0(TRANS32_DEP_1) | instskip(NEXT) | instid1(VALU_DEP_1)
	v_fma_f32 v8, -v6, v7, 1.0
	v_fmac_f32_e32 v7, v8, v7
	s_delay_alu instid0(VALU_DEP_1) | instskip(NEXT) | instid1(VALU_DEP_1)
	v_mul_f32_e32 v15, v14, v7
	v_fma_f32 v8, -v6, v15, v14
	s_delay_alu instid0(VALU_DEP_1) | instskip(SKIP_2) | instid1(VALU_DEP_3)
	v_fmac_f32_e32 v15, v8, v7
	v_pk_add_f32 v[8:9], v[4:5], v[2:3] neg_lo:[0,1] neg_hi:[0,1]
	v_pk_add_f32 v[4:5], v[2:3], v[4:5]
	v_dual_mov_b32 v5, v3 :: v_dual_fma_f32 v6, -v6, v15, v14
	s_delay_alu instid0(VALU_DEP_3) | instskip(NEXT) | instid1(VALU_DEP_2)
	v_mul_f32_e32 v8, v9, v9
	v_div_fmas_f32 v6, v6, v7, v15
	s_delay_alu instid0(VALU_DEP_2) | instskip(NEXT) | instid1(VALU_DEP_2)
	v_dual_mul_f32 v8, v1, v8 :: v_dual_mov_b32 v1, v12
	v_div_fixup_f32 v2, v6, v12, v11
	v_mov_b64_e32 v[6:7], -1
	s_delay_alu instid0(VALU_DEP_2)
	v_pk_fma_f32 v[2:3], v[8:9], v[2:3], v[4:5] op_sel_hi:[1,0,1]
.LBB16_7:
	s_or_b32 exec_lo, exec_lo, s5
	s_delay_alu instid0(VALU_DEP_2) | instskip(NEXT) | instid1(VALU_DEP_2)
	v_mov_b64_e32 v[8:9], v[6:7]
	v_mov_b64_e32 v[4:5], v[2:3]
	v_mov_b32_e32 v11, v1
.LBB16_8:
	s_or_b32 exec_lo, exec_lo, s4
	v_cmp_gt_u32_e32 vcc_lo, 24, v13
	s_mov_b32 s4, exec_lo
	v_cndmask_b32_e64 v1, 0, 8, vcc_lo
	s_delay_alu instid0(VALU_DEP_1)
	v_add_lshl_u32 v1, v1, v13, 2
	s_wait_dscnt 0x4
	ds_bpermute_b32 v3, v1, v5
	s_wait_dscnt 0x4
	ds_bpermute_b32 v2, v1, v4
	;; [unrolled: 2-line block ×5, first 2 shown]
	v_cmpx_neq_f32_e32 0, v11
	s_cbranch_execz .LBB16_12
; %bb.9:
	s_mov_b32 s5, exec_lo
	s_wait_dscnt 0x0
	v_cmpx_neq_f32_e32 0, v12
	s_cbranch_execz .LBB16_11
; %bb.10:
	v_add_f32_e32 v14, v11, v12
	s_delay_alu instid0(VALU_DEP_1) | instskip(NEXT) | instid1(VALU_DEP_1)
	v_div_scale_f32 v8, null, v14, v14, v12
	v_rcp_f32_e32 v9, v8
	v_nop
	s_delay_alu instid0(TRANS32_DEP_1) | instskip(NEXT) | instid1(VALU_DEP_1)
	v_fma_f32 v6, -v8, v9, 1.0
	v_fmac_f32_e32 v9, v6, v9
	v_div_scale_f32 v15, vcc_lo, v12, v14, v12
	s_delay_alu instid0(VALU_DEP_1) | instskip(NEXT) | instid1(VALU_DEP_1)
	v_mul_f32_e32 v16, v15, v9
	v_fma_f32 v6, -v8, v16, v15
	s_delay_alu instid0(VALU_DEP_1) | instskip(SKIP_2) | instid1(VALU_DEP_3)
	v_fmac_f32_e32 v16, v6, v9
	v_pk_add_f32 v[6:7], v[2:3], v[4:5] neg_lo:[0,1] neg_hi:[0,1]
	v_pk_add_f32 v[2:3], v[4:5], v[2:3]
	v_dual_mov_b32 v3, v5 :: v_dual_fma_f32 v6, -v8, v16, v15
	s_delay_alu instid0(VALU_DEP_3) | instskip(NEXT) | instid1(VALU_DEP_2)
	v_mul_f32_e32 v8, v7, v7
	v_div_fmas_f32 v9, v6, v9, v16
	s_delay_alu instid0(VALU_DEP_2) | instskip(NEXT) | instid1(VALU_DEP_2)
	v_dual_mul_f32 v6, v11, v8 :: v_dual_mov_b32 v11, v14
	v_div_fixup_f32 v4, v9, v14, v12
	v_mov_b64_e32 v[8:9], -1
	s_delay_alu instid0(VALU_DEP_2)
	v_pk_fma_f32 v[4:5], v[6:7], v[4:5], v[2:3] op_sel_hi:[1,0,1]
.LBB16_11:
	s_or_b32 exec_lo, exec_lo, s5
	s_delay_alu instid0(VALU_DEP_2) | instskip(NEXT) | instid1(VALU_DEP_2)
	v_mov_b64_e32 v[6:7], v[8:9]
	v_mov_b64_e32 v[2:3], v[4:5]
	v_mov_b32_e32 v12, v11
.LBB16_12:
	s_or_b32 exec_lo, exec_lo, s4
	v_cmp_gt_u32_e32 vcc_lo, 28, v13
	s_mov_b32 s4, exec_lo
	v_cndmask_b32_e64 v4, 0, 4, vcc_lo
	s_delay_alu instid0(VALU_DEP_1)
	v_add_lshl_u32 v11, v4, v13, 2
	s_wait_dscnt 0x4
	ds_bpermute_b32 v5, v11, v3
	s_wait_dscnt 0x4
	ds_bpermute_b32 v4, v11, v2
	;; [unrolled: 2-line block ×5, first 2 shown]
	v_cmpx_neq_f32_e32 0, v12
	s_cbranch_execz .LBB16_16
; %bb.13:
	s_mov_b32 s5, exec_lo
	s_wait_dscnt 0x0
	v_cmpx_neq_f32_e32 0, v14
	s_cbranch_execz .LBB16_15
; %bb.14:
	v_add_f32_e32 v15, v12, v14
	s_delay_alu instid0(VALU_DEP_1) | instskip(SKIP_1) | instid1(VALU_DEP_2)
	v_div_scale_f32 v6, null, v15, v15, v14
	v_div_scale_f32 v16, vcc_lo, v14, v15, v14
	v_rcp_f32_e32 v7, v6
	v_nop
	s_delay_alu instid0(TRANS32_DEP_1) | instskip(NEXT) | instid1(VALU_DEP_1)
	v_fma_f32 v8, -v6, v7, 1.0
	v_fmac_f32_e32 v7, v8, v7
	s_delay_alu instid0(VALU_DEP_1) | instskip(NEXT) | instid1(VALU_DEP_1)
	v_mul_f32_e32 v17, v16, v7
	v_fma_f32 v8, -v6, v17, v16
	s_delay_alu instid0(VALU_DEP_1) | instskip(SKIP_2) | instid1(VALU_DEP_3)
	v_fmac_f32_e32 v17, v8, v7
	v_pk_add_f32 v[8:9], v[4:5], v[2:3] neg_lo:[0,1] neg_hi:[0,1]
	v_pk_add_f32 v[4:5], v[2:3], v[4:5]
	v_dual_mov_b32 v5, v3 :: v_dual_fma_f32 v6, -v6, v17, v16
	s_delay_alu instid0(VALU_DEP_3) | instskip(NEXT) | instid1(VALU_DEP_2)
	v_mul_f32_e32 v8, v9, v9
	v_div_fmas_f32 v6, v6, v7, v17
	s_delay_alu instid0(VALU_DEP_2) | instskip(NEXT) | instid1(VALU_DEP_2)
	v_dual_mul_f32 v8, v12, v8 :: v_dual_mov_b32 v12, v15
	v_div_fixup_f32 v2, v6, v15, v14
	v_mov_b64_e32 v[6:7], -1
	s_delay_alu instid0(VALU_DEP_2)
	v_pk_fma_f32 v[2:3], v[8:9], v[2:3], v[4:5] op_sel_hi:[1,0,1]
.LBB16_15:
	s_or_b32 exec_lo, exec_lo, s5
	s_delay_alu instid0(VALU_DEP_2) | instskip(NEXT) | instid1(VALU_DEP_2)
	v_mov_b64_e32 v[8:9], v[6:7]
	v_mov_b64_e32 v[4:5], v[2:3]
	v_mov_b32_e32 v14, v12
.LBB16_16:
	s_or_b32 exec_lo, exec_lo, s4
	v_cmp_gt_u32_e32 vcc_lo, 30, v13
	s_mov_b32 s4, exec_lo
	v_cndmask_b32_e64 v2, 0, 2, vcc_lo
	s_delay_alu instid0(VALU_DEP_1)
	v_add_lshl_u32 v12, v2, v13, 2
	s_wait_dscnt 0x4
	ds_bpermute_b32 v3, v12, v5
	s_wait_dscnt 0x4
	ds_bpermute_b32 v2, v12, v4
	;; [unrolled: 2-line block ×5, first 2 shown]
	v_cmpx_neq_f32_e32 0, v14
	s_cbranch_execz .LBB16_20
; %bb.17:
	s_mov_b32 s5, exec_lo
	s_wait_dscnt 0x0
	v_cmpx_neq_f32_e32 0, v15
	s_cbranch_execz .LBB16_19
; %bb.18:
	v_add_f32_e32 v16, v14, v15
	s_delay_alu instid0(VALU_DEP_1) | instskip(SKIP_1) | instid1(VALU_DEP_2)
	v_div_scale_f32 v8, null, v16, v16, v15
	v_div_scale_f32 v17, vcc_lo, v15, v16, v15
	v_rcp_f32_e32 v9, v8
	v_nop
	s_delay_alu instid0(TRANS32_DEP_1) | instskip(NEXT) | instid1(VALU_DEP_1)
	v_fma_f32 v6, -v8, v9, 1.0
	v_fmac_f32_e32 v9, v6, v9
	s_delay_alu instid0(VALU_DEP_1) | instskip(NEXT) | instid1(VALU_DEP_1)
	v_mul_f32_e32 v18, v17, v9
	v_fma_f32 v6, -v8, v18, v17
	s_delay_alu instid0(VALU_DEP_1) | instskip(SKIP_2) | instid1(VALU_DEP_3)
	v_fmac_f32_e32 v18, v6, v9
	v_pk_add_f32 v[6:7], v[2:3], v[4:5] neg_lo:[0,1] neg_hi:[0,1]
	v_pk_add_f32 v[2:3], v[4:5], v[2:3]
	v_dual_mov_b32 v3, v5 :: v_dual_fma_f32 v6, -v8, v18, v17
	s_delay_alu instid0(VALU_DEP_3) | instskip(NEXT) | instid1(VALU_DEP_2)
	v_mul_f32_e32 v8, v7, v7
	v_div_fmas_f32 v9, v6, v9, v18
	s_delay_alu instid0(VALU_DEP_2) | instskip(NEXT) | instid1(VALU_DEP_2)
	v_dual_mul_f32 v6, v14, v8 :: v_dual_mov_b32 v14, v16
	v_div_fixup_f32 v4, v9, v16, v15
	v_mov_b64_e32 v[8:9], -1
	s_delay_alu instid0(VALU_DEP_2)
	v_pk_fma_f32 v[4:5], v[6:7], v[4:5], v[2:3] op_sel_hi:[1,0,1]
.LBB16_19:
	s_or_b32 exec_lo, exec_lo, s5
	s_delay_alu instid0(VALU_DEP_2) | instskip(NEXT) | instid1(VALU_DEP_2)
	v_mov_b64_e32 v[6:7], v[8:9]
	v_mov_b64_e32 v[2:3], v[4:5]
	v_mov_b32_e32 v15, v14
.LBB16_20:
	s_or_b32 exec_lo, exec_lo, s4
	v_cmp_ne_u32_e32 vcc_lo, 31, v13
	s_mov_b32 s4, exec_lo
	v_add_co_ci_u32_e64 v4, null, 0, v13, vcc_lo
	s_delay_alu instid0(VALU_DEP_1)
	v_lshlrev_b32_e32 v13, 2, v4
	s_wait_dscnt 0x4
	ds_bpermute_b32 v5, v13, v3
	s_wait_dscnt 0x4
	ds_bpermute_b32 v4, v13, v2
	s_wait_dscnt 0x4
	ds_bpermute_b32 v8, v13, v6
	s_wait_dscnt 0x4
	ds_bpermute_b32 v9, v13, v7
	s_wait_dscnt 0x4
	ds_bpermute_b32 v14, v13, v15
	v_cmpx_neq_f32_e32 0, v15
	s_cbranch_execz .LBB16_24
; %bb.21:
	s_mov_b32 s5, exec_lo
	s_wait_dscnt 0x0
	v_cmpx_neq_f32_e32 0, v14
	s_cbranch_execz .LBB16_23
; %bb.22:
	v_add_f32_e32 v16, v15, v14
	s_delay_alu instid0(VALU_DEP_1) | instskip(NEXT) | instid1(VALU_DEP_1)
	v_div_scale_f32 v6, null, v16, v16, v14
	v_rcp_f32_e32 v7, v6
	v_nop
	s_delay_alu instid0(TRANS32_DEP_1) | instskip(NEXT) | instid1(VALU_DEP_1)
	v_fma_f32 v8, -v6, v7, 1.0
	v_fmac_f32_e32 v7, v8, v7
	v_div_scale_f32 v17, vcc_lo, v14, v16, v14
	s_delay_alu instid0(VALU_DEP_1) | instskip(NEXT) | instid1(VALU_DEP_1)
	v_mul_f32_e32 v18, v17, v7
	v_fma_f32 v8, -v6, v18, v17
	s_delay_alu instid0(VALU_DEP_1) | instskip(SKIP_2) | instid1(VALU_DEP_2)
	v_fmac_f32_e32 v18, v8, v7
	v_pk_add_f32 v[8:9], v[4:5], v[2:3] neg_lo:[0,1] neg_hi:[0,1]
	v_pk_add_f32 v[4:5], v[2:3], v[4:5]
	v_dual_mov_b32 v5, v3 :: v_dual_mul_f32 v8, v9, v9
	s_delay_alu instid0(VALU_DEP_1) | instskip(SKIP_1) | instid1(VALU_DEP_2)
	v_dual_fma_f32 v6, -v6, v18, v17 :: v_dual_mul_f32 v8, v15, v8
	v_mov_b32_e32 v15, v16
	v_div_fmas_f32 v6, v6, v7, v18
	s_delay_alu instid0(VALU_DEP_1) | instskip(SKIP_1) | instid1(VALU_DEP_2)
	v_div_fixup_f32 v2, v6, v16, v14
	v_mov_b64_e32 v[6:7], -1
	v_pk_fma_f32 v[2:3], v[8:9], v[2:3], v[4:5] op_sel_hi:[1,0,1]
.LBB16_23:
	s_or_b32 exec_lo, exec_lo, s5
	s_delay_alu instid0(VALU_DEP_2) | instskip(NEXT) | instid1(VALU_DEP_2)
	v_mov_b64_e32 v[8:9], v[6:7]
	v_mov_b64_e32 v[4:5], v[2:3]
	v_mov_b32_e32 v14, v15
.LBB16_24:
	s_or_b32 exec_lo, exec_lo, s4
	v_and_b32_e32 v2, 31, v0
	s_mov_b32 s4, exec_lo
	s_wait_dscnt 0x0
	s_barrier_signal -1
	s_barrier_wait -1
	v_cmpx_eq_u32_e32 0, v2
	s_cbranch_execz .LBB16_26
; %bb.25:
	v_dual_mov_b32 v6, v5 :: v_dual_lshrrev_b32 v3, 5, v0
	v_mov_b32_e32 v7, v4
	s_delay_alu instid0(VALU_DEP_2)
	v_mul_u32_u24_e32 v3, 24, v3
	ds_store_2addr_b64 v3, v[6:7], v[8:9] offset1:1
	ds_store_b32 v3, v14 offset:16
.LBB16_26:
	s_or_b32 exec_lo, exec_lo, s4
	s_wait_dscnt 0x0
	s_barrier_signal -1
	s_barrier_wait -1
	s_load_b32 s4, s[0:1], 0x34
	v_mul_u32_u24_e32 v4, 24, v2
	v_dual_mov_b32 v2, 0 :: v_dual_mov_b32 v3, 0
	s_wait_kmcnt 0x0
	s_bfe_u32 s4, s4, 0xb0005
	s_delay_alu instid0(SALU_CYCLE_1)
	v_cmp_gt_u32_e32 vcc_lo, s4, v0
	s_and_saveexec_b32 s4, vcc_lo
	s_cbranch_execnz .LBB16_55
; %bb.27:
	s_or_b32 exec_lo, exec_lo, s4
	s_and_saveexec_b32 s4, vcc_lo
	s_cbranch_execnz .LBB16_56
.LBB16_28:
	s_or_b32 exec_lo, exec_lo, s4
	v_mov_b32_e32 v8, 0
	s_and_saveexec_b32 s4, vcc_lo
.LBB16_29:
	ds_load_b32 v8, v4 offset:16
.LBB16_30:
	s_or_b32 exec_lo, exec_lo, s4
	s_delay_alu instid0(SALU_CYCLE_1)
	s_mov_b32 s4, exec_lo
	v_cmpx_gt_u32_e32 32, v0
	s_cbranch_execz .LBB16_52
; %bb.31:
	s_wait_dscnt 0x0
	ds_bpermute_b32 v5, v10, v3
	ds_bpermute_b32 v4, v10, v2
	;; [unrolled: 1-line block ×3, first 2 shown]
	s_mov_b32 s5, exec_lo
	v_cmpx_neq_f32_e32 0, v8
	s_cbranch_execz .LBB16_35
; %bb.32:
	s_mov_b32 s6, exec_lo
	s_wait_dscnt 0x0
	v_cmpx_neq_f32_e32 0, v6
	s_cbranch_execz .LBB16_34
; %bb.33:
	v_add_f32_e32 v7, v8, v6
	s_delay_alu instid0(VALU_DEP_1) | instskip(SKIP_1) | instid1(VALU_DEP_2)
	v_div_scale_f32 v9, null, v7, v7, v6
	v_div_scale_f32 v15, vcc_lo, v6, v7, v6
	v_rcp_f32_e32 v10, v9
	v_nop
	s_delay_alu instid0(TRANS32_DEP_1) | instskip(NEXT) | instid1(VALU_DEP_1)
	v_fma_f32 v14, -v9, v10, 1.0
	v_fmac_f32_e32 v10, v14, v10
	s_delay_alu instid0(VALU_DEP_1) | instskip(NEXT) | instid1(VALU_DEP_1)
	v_mul_f32_e32 v16, v15, v10
	v_fma_f32 v14, -v9, v16, v15
	s_delay_alu instid0(VALU_DEP_1) | instskip(NEXT) | instid1(VALU_DEP_1)
	v_fmac_f32_e32 v16, v14, v10
	v_fma_f32 v9, -v9, v16, v15
	v_pk_add_f32 v[14:15], v[4:5], v[2:3] neg_lo:[0,1] neg_hi:[0,1]
	v_add_f32_e32 v2, v2, v4
	s_delay_alu instid0(VALU_DEP_3) | instskip(NEXT) | instid1(VALU_DEP_3)
	v_div_fmas_f32 v5, v9, v10, v16
	v_mul_f32_e32 v9, v15, v15
	s_delay_alu instid0(VALU_DEP_2) | instskip(NEXT) | instid1(VALU_DEP_2)
	v_div_fixup_f32 v14, v5, v7, v6
	v_dual_mul_f32 v4, v8, v9 :: v_dual_mov_b32 v8, v7
	s_delay_alu instid0(VALU_DEP_2) | instskip(NEXT) | instid1(VALU_DEP_1)
	v_mov_b32_e32 v5, v14
	v_pk_fma_f32 v[2:3], v[14:15], v[4:5], v[2:3]
.LBB16_34:
	s_or_b32 exec_lo, exec_lo, s6
	s_delay_alu instid0(VALU_DEP_1)
	v_mov_b64_e32 v[4:5], v[2:3]
	v_mov_b32_e32 v6, v8
.LBB16_35:
	s_or_b32 exec_lo, exec_lo, s5
	s_wait_dscnt 0x2
	ds_bpermute_b32 v3, v1, v5
	s_wait_dscnt 0x2
	ds_bpermute_b32 v2, v1, v4
	s_wait_dscnt 0x2
	ds_bpermute_b32 v1, v1, v6
	s_mov_b32 s5, exec_lo
	v_cmpx_neq_f32_e32 0, v6
	s_cbranch_execz .LBB16_39
; %bb.36:
	s_mov_b32 s6, exec_lo
	s_wait_dscnt 0x0
	v_cmpx_neq_f32_e32 0, v1
	s_cbranch_execz .LBB16_38
; %bb.37:
	v_add_f32_e32 v7, v6, v1
	s_delay_alu instid0(VALU_DEP_1) | instskip(NEXT) | instid1(VALU_DEP_1)
	v_div_scale_f32 v10, null, v7, v7, v1
	v_rcp_f32_e32 v14, v10
	v_nop
	s_delay_alu instid0(TRANS32_DEP_1) | instskip(NEXT) | instid1(VALU_DEP_1)
	v_fma_f32 v8, -v10, v14, 1.0
	v_fmac_f32_e32 v14, v8, v14
	v_div_scale_f32 v15, vcc_lo, v1, v7, v1
	s_delay_alu instid0(VALU_DEP_1) | instskip(NEXT) | instid1(VALU_DEP_1)
	v_mul_f32_e32 v16, v15, v14
	v_fma_f32 v8, -v10, v16, v15
	s_delay_alu instid0(VALU_DEP_1) | instskip(SKIP_2) | instid1(VALU_DEP_3)
	v_fmac_f32_e32 v16, v8, v14
	v_pk_add_f32 v[8:9], v[2:3], v[4:5] neg_lo:[0,1] neg_hi:[0,1]
	v_pk_add_f32 v[2:3], v[4:5], v[2:3]
	v_dual_mov_b32 v3, v5 :: v_dual_fma_f32 v8, -v10, v16, v15
	s_delay_alu instid0(VALU_DEP_3) | instskip(NEXT) | instid1(VALU_DEP_2)
	v_mul_f32_e32 v10, v9, v9
	v_div_fmas_f32 v14, v8, v14, v16
	s_delay_alu instid0(VALU_DEP_2) | instskip(NEXT) | instid1(VALU_DEP_2)
	v_dual_mul_f32 v8, v6, v10 :: v_dual_mov_b32 v6, v7
	v_div_fixup_f32 v4, v14, v7, v1
	s_delay_alu instid0(VALU_DEP_1)
	v_pk_fma_f32 v[4:5], v[8:9], v[4:5], v[2:3] op_sel_hi:[1,0,1]
.LBB16_38:
	s_or_b32 exec_lo, exec_lo, s6
	s_delay_alu instid0(VALU_DEP_1)
	v_mov_b64_e32 v[2:3], v[4:5]
	v_mov_b32_e32 v1, v6
.LBB16_39:
	s_or_b32 exec_lo, exec_lo, s5
	s_wait_dscnt 0x2
	ds_bpermute_b32 v5, v11, v3
	s_wait_dscnt 0x2
	ds_bpermute_b32 v4, v11, v2
	;; [unrolled: 2-line block ×3, first 2 shown]
	s_mov_b32 s5, exec_lo
	v_cmpx_neq_f32_e32 0, v1
	s_cbranch_execz .LBB16_43
; %bb.40:
	s_mov_b32 s6, exec_lo
	s_wait_dscnt 0x0
	v_cmpx_neq_f32_e32 0, v8
	s_cbranch_execz .LBB16_42
; %bb.41:
	v_add_f32_e32 v9, v1, v8
	s_delay_alu instid0(VALU_DEP_1) | instskip(NEXT) | instid1(VALU_DEP_1)
	v_div_scale_f32 v10, null, v9, v9, v8
	v_rcp_f32_e32 v11, v10
	v_nop
	s_delay_alu instid0(TRANS32_DEP_1) | instskip(NEXT) | instid1(VALU_DEP_1)
	v_fma_f32 v6, -v10, v11, 1.0
	v_fmac_f32_e32 v11, v6, v11
	v_div_scale_f32 v14, vcc_lo, v8, v9, v8
	s_delay_alu instid0(VALU_DEP_1) | instskip(NEXT) | instid1(VALU_DEP_1)
	v_mul_f32_e32 v15, v14, v11
	v_fma_f32 v6, -v10, v15, v14
	s_delay_alu instid0(VALU_DEP_1) | instskip(SKIP_2) | instid1(VALU_DEP_3)
	v_fmac_f32_e32 v15, v6, v11
	v_pk_add_f32 v[6:7], v[4:5], v[2:3] neg_lo:[0,1] neg_hi:[0,1]
	v_pk_add_f32 v[4:5], v[2:3], v[4:5]
	v_dual_mov_b32 v5, v3 :: v_dual_fma_f32 v6, -v10, v15, v14
	s_delay_alu instid0(VALU_DEP_3) | instskip(NEXT) | instid1(VALU_DEP_2)
	v_mul_f32_e32 v10, v7, v7
	v_div_fmas_f32 v11, v6, v11, v15
	s_delay_alu instid0(VALU_DEP_2) | instskip(SKIP_1) | instid1(VALU_DEP_3)
	v_mul_f32_e32 v6, v1, v10
	v_mov_b32_e32 v1, v9
	v_div_fixup_f32 v2, v11, v9, v8
	s_delay_alu instid0(VALU_DEP_1)
	v_pk_fma_f32 v[2:3], v[6:7], v[2:3], v[4:5] op_sel_hi:[1,0,1]
.LBB16_42:
	s_or_b32 exec_lo, exec_lo, s6
	s_delay_alu instid0(VALU_DEP_1)
	v_mov_b64_e32 v[4:5], v[2:3]
	v_mov_b32_e32 v8, v1
.LBB16_43:
	s_or_b32 exec_lo, exec_lo, s5
	s_wait_dscnt 0x2
	ds_bpermute_b32 v7, v12, v5
	s_wait_dscnt 0x2
	ds_bpermute_b32 v6, v12, v4
	;; [unrolled: 2-line block ×3, first 2 shown]
	s_mov_b32 s5, exec_lo
	v_cmpx_neq_f32_e32 0, v8
	s_cbranch_execz .LBB16_47
; %bb.44:
	s_mov_b32 s6, exec_lo
	s_wait_dscnt 0x0
	v_cmpx_neq_f32_e32 0, v1
	s_cbranch_execz .LBB16_46
; %bb.45:
	v_add_f32_e32 v9, v8, v1
	s_delay_alu instid0(VALU_DEP_1) | instskip(NEXT) | instid1(VALU_DEP_1)
	v_div_scale_f32 v10, null, v9, v9, v1
	v_rcp_f32_e32 v11, v10
	v_nop
	s_delay_alu instid0(TRANS32_DEP_1) | instskip(NEXT) | instid1(VALU_DEP_1)
	v_fma_f32 v2, -v10, v11, 1.0
	v_fmac_f32_e32 v11, v2, v11
	v_div_scale_f32 v12, vcc_lo, v1, v9, v1
	s_delay_alu instid0(VALU_DEP_1) | instskip(NEXT) | instid1(VALU_DEP_1)
	v_mul_f32_e32 v14, v12, v11
	v_fma_f32 v2, -v10, v14, v12
	s_delay_alu instid0(VALU_DEP_1) | instskip(SKIP_2) | instid1(VALU_DEP_3)
	v_fmac_f32_e32 v14, v2, v11
	v_pk_add_f32 v[2:3], v[6:7], v[4:5] neg_lo:[0,1] neg_hi:[0,1]
	v_pk_add_f32 v[6:7], v[4:5], v[6:7]
	v_dual_mov_b32 v7, v5 :: v_dual_fma_f32 v2, -v10, v14, v12
	s_delay_alu instid0(VALU_DEP_3) | instskip(NEXT) | instid1(VALU_DEP_2)
	v_mul_f32_e32 v10, v3, v3
	v_div_fmas_f32 v11, v2, v11, v14
	s_delay_alu instid0(VALU_DEP_2) | instskip(NEXT) | instid1(VALU_DEP_2)
	v_dual_mul_f32 v2, v8, v10 :: v_dual_mov_b32 v8, v9
	v_div_fixup_f32 v4, v11, v9, v1
	s_delay_alu instid0(VALU_DEP_1)
	v_pk_fma_f32 v[4:5], v[2:3], v[4:5], v[6:7] op_sel_hi:[1,0,1]
.LBB16_46:
	s_or_b32 exec_lo, exec_lo, s6
	s_delay_alu instid0(VALU_DEP_1)
	v_mov_b64_e32 v[6:7], v[4:5]
	v_mov_b32_e32 v1, v8
.LBB16_47:
	s_or_b32 exec_lo, exec_lo, s5
	s_wait_dscnt 0x2
	ds_bpermute_b32 v3, v13, v7
	s_wait_dscnt 0x2
	ds_bpermute_b32 v2, v13, v6
	;; [unrolled: 2-line block ×3, first 2 shown]
	s_mov_b32 s5, exec_lo
	v_cmpx_neq_f32_e32 0, v1
	s_cbranch_execz .LBB16_51
; %bb.48:
	s_mov_b32 s6, exec_lo
	s_wait_dscnt 0x0
	v_cmpx_neq_f32_e32 0, v8
	s_cbranch_execz .LBB16_50
; %bb.49:
	v_add_f32_e32 v9, v1, v8
	s_delay_alu instid0(VALU_DEP_1) | instskip(NEXT) | instid1(VALU_DEP_1)
	v_div_scale_f32 v10, null, v9, v9, v8
	v_rcp_f32_e32 v11, v10
	v_nop
	s_delay_alu instid0(TRANS32_DEP_1) | instskip(NEXT) | instid1(VALU_DEP_1)
	v_fma_f32 v4, -v10, v11, 1.0
	v_fmac_f32_e32 v11, v4, v11
	v_div_scale_f32 v12, vcc_lo, v8, v9, v8
	s_delay_alu instid0(VALU_DEP_1) | instskip(NEXT) | instid1(VALU_DEP_1)
	v_mul_f32_e32 v13, v12, v11
	v_fma_f32 v4, -v10, v13, v12
	s_delay_alu instid0(VALU_DEP_1) | instskip(SKIP_2) | instid1(VALU_DEP_3)
	v_fmac_f32_e32 v13, v4, v11
	v_pk_add_f32 v[4:5], v[2:3], v[6:7] neg_lo:[0,1] neg_hi:[0,1]
	v_pk_add_f32 v[2:3], v[6:7], v[2:3]
	v_dual_mov_b32 v3, v7 :: v_dual_fma_f32 v4, -v10, v13, v12
	s_delay_alu instid0(VALU_DEP_3) | instskip(NEXT) | instid1(VALU_DEP_2)
	v_mul_f32_e32 v10, v5, v5
	v_div_fmas_f32 v11, v4, v11, v13
	s_delay_alu instid0(VALU_DEP_2) | instskip(SKIP_1) | instid1(VALU_DEP_3)
	v_mul_f32_e32 v4, v1, v10
	v_mov_b32_e32 v1, v9
	v_div_fixup_f32 v6, v11, v9, v8
	s_delay_alu instid0(VALU_DEP_1)
	v_pk_fma_f32 v[6:7], v[4:5], v[6:7], v[2:3] op_sel_hi:[1,0,1]
.LBB16_50:
	s_or_b32 exec_lo, exec_lo, s6
	s_delay_alu instid0(VALU_DEP_1)
	v_mov_b64_e32 v[2:3], v[6:7]
	v_mov_b32_e32 v8, v1
.LBB16_51:
	s_or_b32 exec_lo, exec_lo, s5
.LBB16_52:
	s_delay_alu instid0(SALU_CYCLE_1) | instskip(NEXT) | instid1(SALU_CYCLE_1)
	s_or_b32 exec_lo, exec_lo, s4
	s_mov_b32 s4, exec_lo
	v_cmpx_eq_u32_e32 0, v0
	s_cbranch_execz .LBB16_54
; %bb.53:
	s_wait_dscnt 0x0
	v_max_num_f32_e32 v0, v8, v8
	s_load_b32 s4, s[0:1], 0x8
	s_lshl_b64 s[2:3], s[2:3], 2
	s_wait_xcnt 0x0
	s_load_b64 s[0:1], s[0:1], 0x20
	v_max_num_f32_e32 v0, 0, v0
	s_delay_alu instid0(VALU_DEP_1) | instskip(SKIP_1) | instid1(VALU_DEP_2)
	v_div_scale_f32 v1, null, v0, v0, v2
	v_div_scale_f32 v6, vcc_lo, v2, v0, v2
	v_rcp_f32_e32 v4, v1
	v_nop
	s_delay_alu instid0(TRANS32_DEP_1) | instskip(SKIP_2) | instid1(VALU_DEP_1)
	v_fma_f32 v5, -v1, v4, 1.0
	s_wait_kmcnt 0x0
	s_add_nc_u64 s[0:1], s[0:1], s[2:3]
	v_fmac_f32_e32 v4, v5, v4
	s_delay_alu instid0(VALU_DEP_1) | instskip(NEXT) | instid1(VALU_DEP_1)
	v_mul_f32_e32 v5, v6, v4
	v_fma_f32 v7, -v1, v5, v6
	s_delay_alu instid0(VALU_DEP_1) | instskip(NEXT) | instid1(VALU_DEP_1)
	v_fmac_f32_e32 v5, v7, v4
	v_fma_f32 v1, -v1, v5, v6
	s_delay_alu instid0(VALU_DEP_1) | instskip(NEXT) | instid1(VALU_DEP_1)
	v_div_fmas_f32 v1, v1, v4, v5
	v_div_fixup_f32 v0, v1, v0, v2
	s_delay_alu instid0(VALU_DEP_1) | instskip(NEXT) | instid1(VALU_DEP_1)
	v_fmac_f32_e32 v0, v3, v3
	v_add_f32_e32 v0, s4, v0
	s_delay_alu instid0(VALU_DEP_1) | instskip(SKIP_1) | instid1(VALU_DEP_2)
	v_mul_f32_e32 v1, 0x4b800000, v0
	v_cmp_gt_f32_e32 vcc_lo, 0x800000, v0
	v_cndmask_b32_e32 v0, v0, v1, vcc_lo
	s_delay_alu instid0(VALU_DEP_1) | instskip(SKIP_1) | instid1(TRANS32_DEP_1)
	v_rsq_f32_e32 v0, v0
	v_nop
	v_mul_f32_e32 v1, 0x45800000, v0
	s_delay_alu instid0(VALU_DEP_1)
	v_dual_cndmask_b32 v0, v0, v1 :: v_dual_mov_b32 v1, 0
	global_store_b32 v1, v0, s[0:1]
.LBB16_54:
	s_endpgm
.LBB16_55:
	ds_load_b32 v3, v4
	s_or_b32 exec_lo, exec_lo, s4
	s_and_saveexec_b32 s4, vcc_lo
	s_cbranch_execz .LBB16_28
.LBB16_56:
	ds_load_b32 v2, v4 offset:4
	s_or_b32 exec_lo, exec_lo, s4
	v_mov_b32_e32 v8, 0
	s_and_saveexec_b32 s4, vcc_lo
	s_cbranch_execnz .LBB16_29
	s_branch .LBB16_30
	.section	.rodata,"a",@progbits
	.p2align	6, 0x0
	.amdhsa_kernel _ZN2at6native12_GLOBAL__N_124RowwiseMomentsCUDAKernelIffLb1EEEvlT0_PKT_PS3_S7_
		.amdhsa_group_segment_fixed_size 768
		.amdhsa_private_segment_fixed_size 0
		.amdhsa_kernarg_size 296
		.amdhsa_user_sgpr_count 2
		.amdhsa_user_sgpr_dispatch_ptr 0
		.amdhsa_user_sgpr_queue_ptr 0
		.amdhsa_user_sgpr_kernarg_segment_ptr 1
		.amdhsa_user_sgpr_dispatch_id 0
		.amdhsa_user_sgpr_kernarg_preload_length 0
		.amdhsa_user_sgpr_kernarg_preload_offset 0
		.amdhsa_user_sgpr_private_segment_size 0
		.amdhsa_wavefront_size32 1
		.amdhsa_uses_dynamic_stack 0
		.amdhsa_enable_private_segment 0
		.amdhsa_system_sgpr_workgroup_id_x 1
		.amdhsa_system_sgpr_workgroup_id_y 0
		.amdhsa_system_sgpr_workgroup_id_z 0
		.amdhsa_system_sgpr_workgroup_info 0
		.amdhsa_system_vgpr_workitem_id 0
		.amdhsa_next_free_vgpr 19
		.amdhsa_next_free_sgpr 17
		.amdhsa_named_barrier_count 0
		.amdhsa_reserve_vcc 1
		.amdhsa_float_round_mode_32 0
		.amdhsa_float_round_mode_16_64 0
		.amdhsa_float_denorm_mode_32 3
		.amdhsa_float_denorm_mode_16_64 3
		.amdhsa_fp16_overflow 0
		.amdhsa_memory_ordered 1
		.amdhsa_forward_progress 1
		.amdhsa_inst_pref_size 27
		.amdhsa_round_robin_scheduling 0
		.amdhsa_exception_fp_ieee_invalid_op 0
		.amdhsa_exception_fp_denorm_src 0
		.amdhsa_exception_fp_ieee_div_zero 0
		.amdhsa_exception_fp_ieee_overflow 0
		.amdhsa_exception_fp_ieee_underflow 0
		.amdhsa_exception_fp_ieee_inexact 0
		.amdhsa_exception_int_div_zero 0
	.end_amdhsa_kernel
	.section	.text._ZN2at6native12_GLOBAL__N_124RowwiseMomentsCUDAKernelIffLb1EEEvlT0_PKT_PS3_S7_,"axG",@progbits,_ZN2at6native12_GLOBAL__N_124RowwiseMomentsCUDAKernelIffLb1EEEvlT0_PKT_PS3_S7_,comdat
.Lfunc_end16:
	.size	_ZN2at6native12_GLOBAL__N_124RowwiseMomentsCUDAKernelIffLb1EEEvlT0_PKT_PS3_S7_, .Lfunc_end16-_ZN2at6native12_GLOBAL__N_124RowwiseMomentsCUDAKernelIffLb1EEEvlT0_PKT_PS3_S7_
                                        ; -- End function
	.set _ZN2at6native12_GLOBAL__N_124RowwiseMomentsCUDAKernelIffLb1EEEvlT0_PKT_PS3_S7_.num_vgpr, 19
	.set _ZN2at6native12_GLOBAL__N_124RowwiseMomentsCUDAKernelIffLb1EEEvlT0_PKT_PS3_S7_.num_agpr, 0
	.set _ZN2at6native12_GLOBAL__N_124RowwiseMomentsCUDAKernelIffLb1EEEvlT0_PKT_PS3_S7_.numbered_sgpr, 17
	.set _ZN2at6native12_GLOBAL__N_124RowwiseMomentsCUDAKernelIffLb1EEEvlT0_PKT_PS3_S7_.num_named_barrier, 0
	.set _ZN2at6native12_GLOBAL__N_124RowwiseMomentsCUDAKernelIffLb1EEEvlT0_PKT_PS3_S7_.private_seg_size, 0
	.set _ZN2at6native12_GLOBAL__N_124RowwiseMomentsCUDAKernelIffLb1EEEvlT0_PKT_PS3_S7_.uses_vcc, 1
	.set _ZN2at6native12_GLOBAL__N_124RowwiseMomentsCUDAKernelIffLb1EEEvlT0_PKT_PS3_S7_.uses_flat_scratch, 0
	.set _ZN2at6native12_GLOBAL__N_124RowwiseMomentsCUDAKernelIffLb1EEEvlT0_PKT_PS3_S7_.has_dyn_sized_stack, 0
	.set _ZN2at6native12_GLOBAL__N_124RowwiseMomentsCUDAKernelIffLb1EEEvlT0_PKT_PS3_S7_.has_recursion, 0
	.set _ZN2at6native12_GLOBAL__N_124RowwiseMomentsCUDAKernelIffLb1EEEvlT0_PKT_PS3_S7_.has_indirect_call, 0
	.section	.AMDGPU.csdata,"",@progbits
; Kernel info:
; codeLenInByte = 3448
; TotalNumSgprs: 19
; NumVgprs: 19
; ScratchSize: 0
; MemoryBound: 0
; FloatMode: 240
; IeeeMode: 1
; LDSByteSize: 768 bytes/workgroup (compile time only)
; SGPRBlocks: 0
; VGPRBlocks: 1
; NumSGPRsForWavesPerEU: 19
; NumVGPRsForWavesPerEU: 19
; NamedBarCnt: 0
; Occupancy: 16
; WaveLimiterHint : 0
; COMPUTE_PGM_RSRC2:SCRATCH_EN: 0
; COMPUTE_PGM_RSRC2:USER_SGPR: 2
; COMPUTE_PGM_RSRC2:TRAP_HANDLER: 0
; COMPUTE_PGM_RSRC2:TGID_X_EN: 1
; COMPUTE_PGM_RSRC2:TGID_Y_EN: 0
; COMPUTE_PGM_RSRC2:TGID_Z_EN: 0
; COMPUTE_PGM_RSRC2:TIDIG_COMP_CNT: 0
	.section	.text._ZN2at6native12_GLOBAL__N_126LayerNormForwardCUDAKernelIffLb1EEEvlPKT_PKT0_S8_S5_S5_PS3_,"axG",@progbits,_ZN2at6native12_GLOBAL__N_126LayerNormForwardCUDAKernelIffLb1EEEvlPKT_PKT0_S8_S5_S5_PS3_,comdat
	.globl	_ZN2at6native12_GLOBAL__N_126LayerNormForwardCUDAKernelIffLb1EEEvlPKT_PKT0_S8_S5_S5_PS3_ ; -- Begin function _ZN2at6native12_GLOBAL__N_126LayerNormForwardCUDAKernelIffLb1EEEvlPKT_PKT0_S8_S5_S5_PS3_
	.p2align	8
	.type	_ZN2at6native12_GLOBAL__N_126LayerNormForwardCUDAKernelIffLb1EEEvlPKT_PKT0_S8_S5_S5_PS3_,@function
_ZN2at6native12_GLOBAL__N_126LayerNormForwardCUDAKernelIffLb1EEEvlPKT_PKT0_S8_S5_S5_PS3_: ; @_ZN2at6native12_GLOBAL__N_126LayerNormForwardCUDAKernelIffLb1EEEvlPKT_PKT0_S8_S5_S5_PS3_
; %bb.0:
	s_load_b128 s[4:7], s[0:1], 0x0
	v_mov_b32_e32 v1, 0
	s_mov_b32 s2, exec_lo
	s_wait_kmcnt 0x0
	s_delay_alu instid0(VALU_DEP_1)
	v_cmpx_gt_i64_e64 s[4:5], v[0:1]
	s_cbranch_execz .LBB17_6
; %bb.1:
	s_clause 0x2
	s_load_b128 s[8:11], s[0:1], 0x18
	s_load_b32 s2, s[0:1], 0x44
	s_load_b64 s[12:13], s[0:1], 0x30
	s_bfe_u32 s3, ttmp6, 0x4000c
	s_wait_xcnt 0x0
	s_and_b32 s0, ttmp6, 15
	s_add_co_i32 s3, s3, 1
	s_getreg_b32 s14, hwreg(HW_REG_IB_STS2, 6, 4)
	s_mul_i32 s3, ttmp9, s3
	s_mov_b32 s1, 0
	s_add_co_i32 s0, s0, s3
	s_cmp_eq_u32 s14, 0
	v_mov_b64_e32 v[4:5], v[0:1]
	s_cselect_b32 s0, ttmp9, s0
	v_dual_mov_b32 v3, v1 :: v_dual_lshlrev_b32 v2, 2, v0
	s_mul_u64 s[16:17], s[4:5], s[0:1]
	s_mov_b32 s3, s1
	s_mov_b32 s15, s1
	s_wait_kmcnt 0x0
	s_cmp_lg_u64 s[10:11], 0
	s_cselect_b32 s14, -1, 0
	s_lshl_b64 s[18:19], s[0:1], 2
	s_and_b32 s2, s2, 0xffff
	s_lshl_b64 s[16:17], s[16:17], 2
	s_add_nc_u64 s[8:9], s[8:9], s[18:19]
	s_add_nc_u64 s[6:7], s[6:7], s[16:17]
	s_lshl_b32 s0, s2, 2
	s_add_nc_u64 s[12:13], s[12:13], s[16:17]
	s_branch .LBB17_4
.LBB17_2:                               ;   in Loop: Header=BB17_4 Depth=1
	v_add_nc_u64_e32 v[6:7], s[10:11], v[2:3]
	global_load_b32 v0, v[6:7], off
.LBB17_3:                               ;   in Loop: Header=BB17_4 Depth=1
	s_wait_xcnt 0x0
	v_add_nc_u64_e32 v[6:7], s[6:7], v[2:3]
	v_add_nc_u64_e32 v[4:5], s[2:3], v[4:5]
	global_load_b32 v8, v[6:7], off
	global_load_b32 v9, v1, s[8:9]
	v_cmp_le_i64_e32 vcc_lo, s[4:5], v[4:5]
	s_wait_xcnt 0x1
	v_add_nc_u64_e32 v[6:7], s[12:13], v[2:3]
	v_add_nc_u64_e32 v[2:3], s[0:1], v[2:3]
	s_or_b32 s15, vcc_lo, s15
	s_wait_loadcnt 0x0
	v_mul_f32_e32 v8, v8, v9
	s_delay_alu instid0(VALU_DEP_1)
	v_mul_f32_e32 v0, v0, v8
	global_store_b32 v[6:7], v0, off
	s_wait_xcnt 0x0
	s_and_not1_b32 exec_lo, exec_lo, s15
	s_cbranch_execz .LBB17_6
.LBB17_4:                               ; =>This Inner Loop Header: Depth=1
	s_and_not1_b32 vcc_lo, exec_lo, s14
	s_cbranch_vccz .LBB17_2
; %bb.5:                                ;   in Loop: Header=BB17_4 Depth=1
	v_mov_b32_e32 v0, 1.0
	s_branch .LBB17_3
.LBB17_6:
	s_endpgm
	.section	.rodata,"a",@progbits
	.p2align	6, 0x0
	.amdhsa_kernel _ZN2at6native12_GLOBAL__N_126LayerNormForwardCUDAKernelIffLb1EEEvlPKT_PKT0_S8_S5_S5_PS3_
		.amdhsa_group_segment_fixed_size 0
		.amdhsa_private_segment_fixed_size 0
		.amdhsa_kernarg_size 312
		.amdhsa_user_sgpr_count 2
		.amdhsa_user_sgpr_dispatch_ptr 0
		.amdhsa_user_sgpr_queue_ptr 0
		.amdhsa_user_sgpr_kernarg_segment_ptr 1
		.amdhsa_user_sgpr_dispatch_id 0
		.amdhsa_user_sgpr_kernarg_preload_length 0
		.amdhsa_user_sgpr_kernarg_preload_offset 0
		.amdhsa_user_sgpr_private_segment_size 0
		.amdhsa_wavefront_size32 1
		.amdhsa_uses_dynamic_stack 0
		.amdhsa_enable_private_segment 0
		.amdhsa_system_sgpr_workgroup_id_x 1
		.amdhsa_system_sgpr_workgroup_id_y 0
		.amdhsa_system_sgpr_workgroup_id_z 0
		.amdhsa_system_sgpr_workgroup_info 0
		.amdhsa_system_vgpr_workitem_id 0
		.amdhsa_next_free_vgpr 10
		.amdhsa_next_free_sgpr 20
		.amdhsa_named_barrier_count 0
		.amdhsa_reserve_vcc 1
		.amdhsa_float_round_mode_32 0
		.amdhsa_float_round_mode_16_64 0
		.amdhsa_float_denorm_mode_32 3
		.amdhsa_float_denorm_mode_16_64 3
		.amdhsa_fp16_overflow 0
		.amdhsa_memory_ordered 1
		.amdhsa_forward_progress 1
		.amdhsa_inst_pref_size 3
		.amdhsa_round_robin_scheduling 0
		.amdhsa_exception_fp_ieee_invalid_op 0
		.amdhsa_exception_fp_denorm_src 0
		.amdhsa_exception_fp_ieee_div_zero 0
		.amdhsa_exception_fp_ieee_overflow 0
		.amdhsa_exception_fp_ieee_underflow 0
		.amdhsa_exception_fp_ieee_inexact 0
		.amdhsa_exception_int_div_zero 0
	.end_amdhsa_kernel
	.section	.text._ZN2at6native12_GLOBAL__N_126LayerNormForwardCUDAKernelIffLb1EEEvlPKT_PKT0_S8_S5_S5_PS3_,"axG",@progbits,_ZN2at6native12_GLOBAL__N_126LayerNormForwardCUDAKernelIffLb1EEEvlPKT_PKT0_S8_S5_S5_PS3_,comdat
.Lfunc_end17:
	.size	_ZN2at6native12_GLOBAL__N_126LayerNormForwardCUDAKernelIffLb1EEEvlPKT_PKT0_S8_S5_S5_PS3_, .Lfunc_end17-_ZN2at6native12_GLOBAL__N_126LayerNormForwardCUDAKernelIffLb1EEEvlPKT_PKT0_S8_S5_S5_PS3_
                                        ; -- End function
	.set _ZN2at6native12_GLOBAL__N_126LayerNormForwardCUDAKernelIffLb1EEEvlPKT_PKT0_S8_S5_S5_PS3_.num_vgpr, 10
	.set _ZN2at6native12_GLOBAL__N_126LayerNormForwardCUDAKernelIffLb1EEEvlPKT_PKT0_S8_S5_S5_PS3_.num_agpr, 0
	.set _ZN2at6native12_GLOBAL__N_126LayerNormForwardCUDAKernelIffLb1EEEvlPKT_PKT0_S8_S5_S5_PS3_.numbered_sgpr, 20
	.set _ZN2at6native12_GLOBAL__N_126LayerNormForwardCUDAKernelIffLb1EEEvlPKT_PKT0_S8_S5_S5_PS3_.num_named_barrier, 0
	.set _ZN2at6native12_GLOBAL__N_126LayerNormForwardCUDAKernelIffLb1EEEvlPKT_PKT0_S8_S5_S5_PS3_.private_seg_size, 0
	.set _ZN2at6native12_GLOBAL__N_126LayerNormForwardCUDAKernelIffLb1EEEvlPKT_PKT0_S8_S5_S5_PS3_.uses_vcc, 1
	.set _ZN2at6native12_GLOBAL__N_126LayerNormForwardCUDAKernelIffLb1EEEvlPKT_PKT0_S8_S5_S5_PS3_.uses_flat_scratch, 0
	.set _ZN2at6native12_GLOBAL__N_126LayerNormForwardCUDAKernelIffLb1EEEvlPKT_PKT0_S8_S5_S5_PS3_.has_dyn_sized_stack, 0
	.set _ZN2at6native12_GLOBAL__N_126LayerNormForwardCUDAKernelIffLb1EEEvlPKT_PKT0_S8_S5_S5_PS3_.has_recursion, 0
	.set _ZN2at6native12_GLOBAL__N_126LayerNormForwardCUDAKernelIffLb1EEEvlPKT_PKT0_S8_S5_S5_PS3_.has_indirect_call, 0
	.section	.AMDGPU.csdata,"",@progbits
; Kernel info:
; codeLenInByte = 312
; TotalNumSgprs: 22
; NumVgprs: 10
; ScratchSize: 0
; MemoryBound: 0
; FloatMode: 240
; IeeeMode: 1
; LDSByteSize: 0 bytes/workgroup (compile time only)
; SGPRBlocks: 0
; VGPRBlocks: 0
; NumSGPRsForWavesPerEU: 22
; NumVGPRsForWavesPerEU: 10
; NamedBarCnt: 0
; Occupancy: 16
; WaveLimiterHint : 0
; COMPUTE_PGM_RSRC2:SCRATCH_EN: 0
; COMPUTE_PGM_RSRC2:USER_SGPR: 2
; COMPUTE_PGM_RSRC2:TRAP_HANDLER: 0
; COMPUTE_PGM_RSRC2:TGID_X_EN: 1
; COMPUTE_PGM_RSRC2:TGID_Y_EN: 0
; COMPUTE_PGM_RSRC2:TGID_Z_EN: 0
; COMPUTE_PGM_RSRC2:TIDIG_COMP_CNT: 0
	.section	.text._ZN2at6native12_GLOBAL__N_128vectorized_layer_norm_kernelIN3c104HalfEfLb1EEEviT0_PKT_S8_S8_PS5_S9_PS6_,"axG",@progbits,_ZN2at6native12_GLOBAL__N_128vectorized_layer_norm_kernelIN3c104HalfEfLb1EEEviT0_PKT_S8_S8_PS5_S9_PS6_,comdat
	.globl	_ZN2at6native12_GLOBAL__N_128vectorized_layer_norm_kernelIN3c104HalfEfLb1EEEviT0_PKT_S8_S8_PS5_S9_PS6_ ; -- Begin function _ZN2at6native12_GLOBAL__N_128vectorized_layer_norm_kernelIN3c104HalfEfLb1EEEviT0_PKT_S8_S8_PS5_S9_PS6_
	.p2align	8
	.type	_ZN2at6native12_GLOBAL__N_128vectorized_layer_norm_kernelIN3c104HalfEfLb1EEEviT0_PKT_S8_S8_PS5_S9_PS6_,@function
_ZN2at6native12_GLOBAL__N_128vectorized_layer_norm_kernelIN3c104HalfEfLb1EEEviT0_PKT_S8_S8_PS5_S9_PS6_: ; @_ZN2at6native12_GLOBAL__N_128vectorized_layer_norm_kernelIN3c104HalfEfLb1EEEviT0_PKT_S8_S8_PS5_S9_PS6_
; %bb.0:
	s_clause 0x1
	s_load_b32 s3, s[0:1], 0x44
	s_load_b128 s[8:11], s[0:1], 0x0
	s_bfe_u32 s2, ttmp6, 0x4000c
	s_and_b32 s4, ttmp6, 15
	s_add_co_i32 s2, s2, 1
	s_getreg_b32 s5, hwreg(HW_REG_IB_STS2, 6, 4)
	s_mul_i32 s2, ttmp9, s2
	v_bfe_u32 v2, v0, 10, 10
	s_add_co_i32 s4, s4, s2
	s_cmp_eq_u32 s5, 0
	v_and_b32_e32 v3, 0x3ff, v0
	s_cselect_b32 s12, ttmp9, s4
	v_mov_b32_e32 v9, 0
	s_mov_b32 s13, 0
	s_wait_kmcnt 0x0
	s_and_b32 s7, s3, 0xffff
	s_ashr_i32 s5, s8, 31
	v_mul_u32_u24_e32 v0, s7, v2
	s_lshr_b32 s2, s5, 30
	v_mad_u32_u24 v16, v2, s7, v3
	s_add_co_i32 s2, s8, s2
	s_mov_b32 s4, s8
	s_ashr_i32 s18, s2, 2
	v_add_lshl_u32 v8, v0, v3, 3
	v_cmp_gt_i32_e64 s2, s18, v16
	s_lshr_b32 s6, s3, 16
	s_mul_u64 s[16:17], s[4:5], s[12:13]
	s_mul_i32 s14, s6, s7
	s_and_saveexec_b32 s3, s2
	s_cbranch_execz .LBB18_4
; %bb.1:
	v_dual_mov_b32 v9, 0 :: v_dual_mov_b32 v4, v16
	s_lshl_b64 s[4:5], s[16:17], 1
	s_ashr_i32 s15, s14, 31
	s_add_nc_u64 s[4:5], s[10:11], s[4:5]
	s_mov_b32 s7, s13
	v_add_nc_u64_e32 v[0:1], s[4:5], v[8:9]
	s_lshl_b64 s[4:5], s[14:15], 3
	s_delay_alu instid0(VALU_DEP_1)
	v_add_nc_u64_e32 v[0:1], 4, v[0:1]
.LBB18_2:                               ; =>This Inner Loop Header: Depth=1
	global_load_b64 v[6:7], v[0:1], off offset:-4
	s_wait_xcnt 0x0
	v_add_nc_u64_e32 v[0:1], s[4:5], v[0:1]
	v_add_nc_u32_e32 v4, s14, v4
	s_delay_alu instid0(VALU_DEP_1)
	v_cmp_le_i32_e32 vcc_lo, s18, v4
	s_or_b32 s7, vcc_lo, s7
	s_wait_loadcnt 0x0
	v_lshrrev_b32_e32 v5, 16, v6
	v_cvt_f32_f16_e32 v10, v6
	v_cvt_f32_f16_e32 v6, v7
	s_delay_alu instid0(VALU_DEP_3) | instskip(SKIP_1) | instid1(VALU_DEP_2)
	v_cvt_f32_f16_e32 v11, v5
	v_lshrrev_b32_e32 v5, 16, v7
	v_pk_mul_f32 v[10:11], v[10:11], v[10:11]
	s_delay_alu instid0(VALU_DEP_2) | instskip(NEXT) | instid1(VALU_DEP_2)
	v_cvt_f32_f16_e32 v7, v5
	v_add_f32_e32 v5, v9, v10
	s_delay_alu instid0(VALU_DEP_2) | instskip(NEXT) | instid1(VALU_DEP_2)
	v_pk_mul_f32 v[6:7], v[6:7], v[6:7]
	v_add_f32_e32 v5, v5, v11
	s_delay_alu instid0(VALU_DEP_1) | instskip(NEXT) | instid1(VALU_DEP_1)
	v_add_f32_e32 v5, v5, v6
	v_add_f32_e32 v9, v5, v7
	s_and_not1_b32 exec_lo, exec_lo, s7
	s_cbranch_execnz .LBB18_2
; %bb.3:
	s_or_b32 exec_lo, exec_lo, s7
.LBB18_4:
	s_delay_alu instid0(SALU_CYCLE_1) | instskip(SKIP_3) | instid1(VALU_DEP_1)
	s_or_b32 exec_lo, exec_lo, s3
	v_mbcnt_lo_u32_b32 v0, -1, 0
	s_cmp_lt_u32 s6, 2
	s_mov_b32 s3, -1
	v_lshlrev_b32_e32 v1, 2, v0
	v_cmp_gt_u32_e32 vcc_lo, 24, v0
	s_delay_alu instid0(VALU_DEP_2)
	v_or_b32_e32 v1, 64, v1
	v_cndmask_b32_e64 v4, 0, 8, vcc_lo
	v_cmp_gt_u32_e32 vcc_lo, 28, v0
	ds_bpermute_b32 v1, v1, v9
	v_add_lshl_u32 v4, v4, v0, 2
	v_cndmask_b32_e64 v5, 0, 4, vcc_lo
	v_cmp_gt_u32_e32 vcc_lo, 30, v0
	s_delay_alu instid0(VALU_DEP_2)
	v_add_lshl_u32 v5, v5, v0, 2
	s_wait_dscnt 0x0
	v_add_f32_e32 v1, v9, v1
	ds_bpermute_b32 v4, v4, v1
	s_wait_dscnt 0x0
	v_add_f32_e32 v1, v1, v4
	ds_bpermute_b32 v4, v5, v1
	v_cndmask_b32_e64 v5, 0, 2, vcc_lo
	v_cmp_ne_u32_e32 vcc_lo, 31, v0
	s_delay_alu instid0(VALU_DEP_2) | instskip(SKIP_1) | instid1(VALU_DEP_1)
	v_add_lshl_u32 v5, v5, v0, 2
	v_add_co_ci_u32_e64 v0, null, 0, v0, vcc_lo
	v_lshlrev_b32_e32 v0, 2, v0
	s_wait_dscnt 0x0
	v_add_f32_e32 v1, v1, v4
	ds_bpermute_b32 v4, v5, v1
	s_wait_dscnt 0x0
	v_add_f32_e32 v1, v1, v4
	ds_bpermute_b32 v0, v0, v1
	s_wait_dscnt 0x0
	v_add_f32_e32 v4, v1, v0
                                        ; implicit-def: $vgpr1
	s_cbranch_scc0 .LBB18_6
; %bb.5:
	v_mov_b32_e32 v0, 0
	s_cvt_f32_i32 s3, s8
	ds_bpermute_b32 v0, v0, v4
	s_wait_dscnt 0x0
	v_div_scale_f32 v1, null, s3, s3, v0
	s_delay_alu instid0(VALU_DEP_1) | instskip(SKIP_1) | instid1(TRANS32_DEP_1)
	v_rcp_f32_e32 v5, v1
	v_nop
	v_fma_f32 v6, -v1, v5, 1.0
	s_delay_alu instid0(VALU_DEP_1) | instskip(SKIP_1) | instid1(VALU_DEP_1)
	v_fmac_f32_e32 v5, v6, v5
	v_div_scale_f32 v6, vcc_lo, v0, s3, v0
	v_mul_f32_e32 v7, v6, v5
	s_delay_alu instid0(VALU_DEP_1) | instskip(NEXT) | instid1(VALU_DEP_1)
	v_fma_f32 v9, -v1, v7, v6
	v_fmac_f32_e32 v7, v9, v5
	s_delay_alu instid0(VALU_DEP_1) | instskip(NEXT) | instid1(VALU_DEP_1)
	v_fma_f32 v1, -v1, v7, v6
	v_div_fmas_f32 v1, v1, v5, v7
	s_delay_alu instid0(VALU_DEP_1)
	v_div_fixup_f32 v1, v1, s3, v0
	s_mov_b32 s3, 0
.LBB18_6:
	v_mov_b32_e32 v0, 0
	s_and_not1_b32 vcc_lo, exec_lo, s3
	s_cbranch_vccnz .LBB18_17
; %bb.7:
	v_dual_mov_b32 v1, 0 :: v_dual_lshlrev_b32 v0, 3, v2
	s_lshl_b32 s3, s6, 2
	v_cmp_eq_u32_e32 vcc_lo, 0, v3
	s_add_co_i32 s5, s3, 0
	s_delay_alu instid0(VALU_DEP_2)
	v_add_nc_u32_e32 v0, 0, v0
.LBB18_8:                               ; =>This Inner Loop Header: Depth=1
	s_lshr_b32 s7, s6, 1
	s_and_b32 s4, s6, 0xfffe
	v_cmp_le_u32_e64 s3, s7, v2
	v_cmp_gt_u32_e64 s4, s4, v2
	s_and_b32 s3, vcc_lo, s3
	s_delay_alu instid0(SALU_CYCLE_1) | instskip(NEXT) | instid1(SALU_CYCLE_1)
	s_and_b32 s4, s3, s4
	s_and_saveexec_b32 s3, s4
	s_cbranch_execz .LBB18_10
; %bb.9:                                ;   in Loop: Header=BB18_8 Depth=1
	v_subrev_nc_u32_e32 v5, s7, v2
	s_delay_alu instid0(VALU_DEP_1)
	v_lshl_add_u32 v6, v5, 3, 0
	v_lshl_add_u32 v5, v5, 2, s5
	ds_store_2addr_b32 v6, v1, v4 offset1:1
	ds_store_b32 v5, v1
.LBB18_10:                              ;   in Loop: Header=BB18_8 Depth=1
	s_or_b32 exec_lo, exec_lo, s3
	v_cmp_gt_u32_e64 s3, s7, v2
	s_wait_dscnt 0x0
	s_barrier_signal -1
	s_barrier_wait -1
	s_and_b32 s4, vcc_lo, s3
	s_delay_alu instid0(SALU_CYCLE_1)
	s_and_saveexec_b32 s3, s4
	s_cbranch_execz .LBB18_12
; %bb.11:                               ;   in Loop: Header=BB18_8 Depth=1
	ds_load_b32 v5, v0 offset:4
	s_wait_dscnt 0x0
	v_add_f32_e32 v4, v4, v5
.LBB18_12:                              ;   in Loop: Header=BB18_8 Depth=1
	s_or_b32 exec_lo, exec_lo, s3
	s_cmp_lt_u32 s6, 4
	s_barrier_signal -1
	s_barrier_wait -1
	s_cbranch_scc1 .LBB18_14
; %bb.13:                               ;   in Loop: Header=BB18_8 Depth=1
	s_mov_b32 s6, s7
	s_branch .LBB18_8
.LBB18_14:
	v_or_b32_e32 v0, v3, v2
	s_mov_b32 s3, exec_lo
	s_delay_alu instid0(VALU_DEP_1)
	v_cmpx_eq_u32_e32 0, v0
	s_cbranch_execz .LBB18_16
; %bb.15:
	s_cvt_f32_i32 s4, s8
	s_delay_alu instid0(SALU_CYCLE_3) | instskip(SKIP_1) | instid1(VALU_DEP_2)
	v_div_scale_f32 v0, null, s4, s4, v4
	v_div_scale_f32 v3, vcc_lo, v4, s4, v4
	v_rcp_f32_e32 v1, v0
	v_nop
	s_delay_alu instid0(TRANS32_DEP_1) | instskip(NEXT) | instid1(VALU_DEP_1)
	v_fma_f32 v2, -v0, v1, 1.0
	v_fmac_f32_e32 v1, v2, v1
	s_delay_alu instid0(VALU_DEP_1) | instskip(NEXT) | instid1(VALU_DEP_1)
	v_mul_f32_e32 v2, v3, v1
	v_fma_f32 v5, -v0, v2, v3
	s_delay_alu instid0(VALU_DEP_1) | instskip(NEXT) | instid1(VALU_DEP_1)
	v_fmac_f32_e32 v2, v5, v1
	v_fma_f32 v0, -v0, v2, v3
	s_delay_alu instid0(VALU_DEP_1) | instskip(SKIP_1) | instid1(VALU_DEP_2)
	v_div_fmas_f32 v0, v0, v1, v2
	v_mov_b32_e32 v1, 0
	v_div_fixup_f32 v0, v0, s4, v4
	ds_store_2addr_b32 v1, v1, v0 offset1:1
.LBB18_16:
	s_or_b32 exec_lo, exec_lo, s3
	v_mov_b32_e32 v0, 0
	s_wait_dscnt 0x0
	s_barrier_signal -1
	s_barrier_wait -1
	ds_load_2addr_b32 v[0:1], v0 offset1:1
.LBB18_17:
	s_wait_dscnt 0x0
	v_add_f32_e32 v1, s9, v1
	s_load_b128 s[4:7], s[0:1], 0x28
	s_delay_alu instid0(VALU_DEP_1) | instskip(SKIP_1) | instid1(VALU_DEP_2)
	v_mul_f32_e32 v2, 0x4b800000, v1
	v_cmp_gt_f32_e32 vcc_lo, 0x800000, v1
	v_cndmask_b32_e32 v1, v1, v2, vcc_lo
	s_delay_alu instid0(VALU_DEP_1) | instskip(SKIP_1) | instid1(TRANS32_DEP_1)
	v_rsq_f32_e32 v1, v1
	v_nop
	v_mul_f32_e32 v2, 0x45800000, v1
	s_delay_alu instid0(VALU_DEP_1)
	v_cndmask_b32_e32 v10, v1, v2, vcc_lo
	s_and_saveexec_b32 s19, s2
	s_cbranch_execz .LBB18_32
; %bb.18:
	s_wait_xcnt 0x0
	s_load_b128 s[0:3], s[0:1], 0x10
	v_dual_mov_b32 v11, v10 :: v_dual_mov_b32 v12, v10
	v_dual_mov_b32 v13, v10 :: v_dual_mov_b32 v1, v0
	;; [unrolled: 1-line block ×4, first 2 shown]
	s_wait_kmcnt 0x0
	s_cmp_eq_u64 s[0:1], 0
	s_cselect_b32 s20, -1, 0
	s_cmp_eq_u64 s[2:3], 0
	s_cselect_b32 s21, -1, 0
	s_lshl_b64 s[8:9], s[16:17], 1
	v_cndmask_b32_e64 v18, 0, 1, s21
	s_ashr_i32 s15, s14, 31
	s_add_nc_u64 s[6:7], s[6:7], s[8:9]
	s_add_nc_u64 s[8:9], s[10:11], s[8:9]
	s_or_b32 s16, s20, s21
	s_lshl_b64 s[10:11], s[14:15], 3
	s_mov_b32 s15, 0
	s_branch .LBB18_20
.LBB18_19:                              ;   in Loop: Header=BB18_20 Depth=1
	v_add_nc_u32_e32 v17, s14, v17
	s_wait_loadcnt 0x0
	v_add_nc_u64_e32 v[14:15], s[6:7], v[8:9]
	v_add_nc_u64_e32 v[8:9], s[10:11], v[8:9]
	v_cvt_pk_f16_f32 v7, v6, v7
	v_cvt_pk_f16_f32 v6, v4, v5
	v_cmp_le_i32_e32 vcc_lo, s18, v17
	global_store_b64 v[14:15], v[6:7], off
	s_or_b32 s15, vcc_lo, s15
	s_wait_xcnt 0x0
	s_and_not1_b32 exec_lo, exec_lo, s15
	s_cbranch_execz .LBB18_32
.LBB18_20:                              ; =>This Inner Loop Header: Depth=1
	v_add_nc_u64_e32 v[4:5], s[8:9], v[8:9]
	s_and_b32 vcc_lo, exec_lo, s16
	s_mov_b32 s17, -1
	global_load_b64 v[14:15], v[4:5], off
                                        ; implicit-def: $vgpr4_vgpr5_vgpr6_vgpr7
	s_cbranch_vccz .LBB18_30
; %bb.21:                               ;   in Loop: Header=BB18_20 Depth=1
	s_and_b32 vcc_lo, exec_lo, s20
                                        ; implicit-def: $vgpr4_vgpr5_vgpr6_vgpr7
	s_cbranch_vccz .LBB18_27
; %bb.22:                               ;   in Loop: Header=BB18_20 Depth=1
	v_cmp_ne_u32_e32 vcc_lo, 1, v18
                                        ; implicit-def: $vgpr4_vgpr5_vgpr6_vgpr7
	s_cbranch_vccnz .LBB18_24
; %bb.23:                               ;   in Loop: Header=BB18_20 Depth=1
	s_wait_loadcnt 0x0
	s_wait_xcnt 0x0
	v_dual_lshrrev_b32 v5, 16, v15 :: v_dual_lshrrev_b32 v19, 16, v14
	v_cvt_f32_f16_e32 v4, v14
	v_cvt_f32_f16_e32 v6, v15
	s_mov_b32 s17, 0
	s_delay_alu instid0(VALU_DEP_3) | instskip(SKIP_1) | instid1(VALU_DEP_2)
	v_cvt_f32_f16_e32 v7, v5
	v_cvt_f32_f16_e32 v5, v19
	v_pk_mul_f32 v[6:7], v[12:13], v[6:7]
	s_delay_alu instid0(VALU_DEP_2)
	v_pk_mul_f32 v[4:5], v[10:11], v[4:5]
.LBB18_24:                              ;   in Loop: Header=BB18_20 Depth=1
	s_and_not1_b32 vcc_lo, exec_lo, s17
	s_cbranch_vccnz .LBB18_26
; %bb.25:                               ;   in Loop: Header=BB18_20 Depth=1
	s_wait_xcnt 0x0
	v_add_nc_u64_e32 v[4:5], s[2:3], v[8:9]
	s_wait_loadcnt 0x0
	v_dual_lshrrev_b32 v6, 16, v14 :: v_dual_lshrrev_b32 v7, 16, v15
	v_cvt_f32_f16_e32 v19, v14
	v_cvt_f32_f16_e32 v21, v15
	s_delay_alu instid0(VALU_DEP_3) | instskip(SKIP_3) | instid1(VALU_DEP_2)
	v_cvt_f32_f16_e32 v22, v6
	global_load_b64 v[4:5], v[4:5], off
	v_cvt_f32_f16_e32 v7, v7
	v_dual_sub_f32 v20, v19, v0 :: v_dual_sub_f32 v6, v21, v2
	v_dual_sub_f32 v21, v22, v1 :: v_dual_sub_f32 v7, v7, v3
	s_wait_loadcnt 0x0
	v_dual_lshrrev_b32 v19, 16, v5 :: v_dual_lshrrev_b32 v24, 16, v4
	s_wait_xcnt 0x0
	v_cvt_f32_f16_e32 v4, v4
	v_cvt_f32_f16_e32 v22, v5
	s_delay_alu instid0(VALU_DEP_3) | instskip(SKIP_1) | instid1(VALU_DEP_2)
	v_cvt_f32_f16_e32 v23, v19
	v_cvt_f32_f16_e32 v5, v24
	v_pk_fma_f32 v[6:7], v[12:13], v[6:7], v[22:23]
	s_delay_alu instid0(VALU_DEP_2)
	v_pk_fma_f32 v[4:5], v[10:11], v[20:21], v[4:5]
.LBB18_26:                              ;   in Loop: Header=BB18_20 Depth=1
	s_mov_b32 s17, 0
.LBB18_27:                              ;   in Loop: Header=BB18_20 Depth=1
	s_delay_alu instid0(SALU_CYCLE_1)
	s_and_not1_b32 vcc_lo, exec_lo, s17
	s_cbranch_vccnz .LBB18_29
; %bb.28:                               ;   in Loop: Header=BB18_20 Depth=1
	s_wait_xcnt 0x0
	v_add_nc_u64_e32 v[4:5], s[0:1], v[8:9]
	s_wait_loadcnt 0x0
	v_dual_lshrrev_b32 v7, 16, v15 :: v_dual_lshrrev_b32 v19, 16, v14
	v_cvt_f32_f16_e32 v6, v15
	v_cvt_f32_f16_e32 v20, v14
	s_delay_alu instid0(VALU_DEP_3) | instskip(SKIP_3) | instid1(VALU_DEP_2)
	v_cvt_f32_f16_e32 v7, v7
	global_load_b64 v[4:5], v[4:5], off
	v_cvt_f32_f16_e32 v21, v19
	v_pk_mul_f32 v[6:7], v[12:13], v[6:7]
	v_pk_mul_f32 v[20:21], v[10:11], v[20:21]
	s_wait_loadcnt 0x0
	v_dual_lshrrev_b32 v19, 16, v5 :: v_dual_lshrrev_b32 v24, 16, v4
	s_wait_xcnt 0x0
	v_cvt_f32_f16_e32 v4, v4
	v_cvt_f32_f16_e32 v22, v5
	s_delay_alu instid0(VALU_DEP_3) | instskip(SKIP_1) | instid1(VALU_DEP_2)
	v_cvt_f32_f16_e32 v23, v19
	v_cvt_f32_f16_e32 v5, v24
	v_pk_mul_f32 v[6:7], v[6:7], v[22:23]
	s_delay_alu instid0(VALU_DEP_2)
	v_pk_mul_f32 v[4:5], v[20:21], v[4:5]
.LBB18_29:                              ;   in Loop: Header=BB18_20 Depth=1
	s_mov_b32 s17, 0
.LBB18_30:                              ;   in Loop: Header=BB18_20 Depth=1
	s_delay_alu instid0(SALU_CYCLE_1)
	s_and_not1_b32 vcc_lo, exec_lo, s17
	s_cbranch_vccnz .LBB18_19
; %bb.31:                               ;   in Loop: Header=BB18_20 Depth=1
	s_wait_xcnt 0x0
	v_add_nc_u64_e32 v[4:5], s[0:1], v[8:9]
	s_wait_loadcnt 0x0
	v_dual_lshrrev_b32 v7, 16, v15 :: v_dual_lshrrev_b32 v19, 16, v14
	v_cvt_f32_f16_e32 v6, v15
	v_cvt_f32_f16_e32 v14, v14
	s_delay_alu instid0(VALU_DEP_3) | instskip(SKIP_3) | instid1(VALU_DEP_2)
	v_cvt_f32_f16_e32 v7, v7
	global_load_b64 v[4:5], v[4:5], off
	v_cvt_f32_f16_e32 v15, v19
	v_pk_mul_f32 v[6:7], v[12:13], v[6:7]
	v_pk_mul_f32 v[14:15], v[10:11], v[14:15]
	s_wait_loadcnt 0x0
	v_dual_lshrrev_b32 v19, 16, v5 :: v_dual_lshrrev_b32 v22, 16, v4
	s_wait_xcnt 0x0
	v_cvt_f32_f16_e32 v4, v4
	v_cvt_f32_f16_e32 v20, v5
	s_delay_alu instid0(VALU_DEP_3) | instskip(SKIP_1) | instid1(VALU_DEP_2)
	v_cvt_f32_f16_e32 v21, v19
	v_cvt_f32_f16_e32 v5, v22
	v_pk_mul_f32 v[6:7], v[6:7], v[20:21]
	s_delay_alu instid0(VALU_DEP_2)
	v_pk_mul_f32 v[4:5], v[14:15], v[4:5]
	s_branch .LBB18_19
.LBB18_32:
	s_or_b32 exec_lo, exec_lo, s19
	s_wait_xcnt 0x0
	s_mov_b32 s0, exec_lo
	v_cmpx_eq_u32_e32 0, v16
	s_cbranch_execz .LBB18_34
; %bb.33:
	v_mov_b32_e32 v0, 0
	s_lshl_b64 s[0:1], s[12:13], 2
	s_wait_kmcnt 0x0
	s_add_nc_u64 s[0:1], s[4:5], s[0:1]
	global_store_b32 v0, v10, s[0:1]
.LBB18_34:
	s_endpgm
	.section	.rodata,"a",@progbits
	.p2align	6, 0x0
	.amdhsa_kernel _ZN2at6native12_GLOBAL__N_128vectorized_layer_norm_kernelIN3c104HalfEfLb1EEEviT0_PKT_S8_S8_PS5_S9_PS6_
		.amdhsa_group_segment_fixed_size 0
		.amdhsa_private_segment_fixed_size 0
		.amdhsa_kernarg_size 312
		.amdhsa_user_sgpr_count 2
		.amdhsa_user_sgpr_dispatch_ptr 0
		.amdhsa_user_sgpr_queue_ptr 0
		.amdhsa_user_sgpr_kernarg_segment_ptr 1
		.amdhsa_user_sgpr_dispatch_id 0
		.amdhsa_user_sgpr_kernarg_preload_length 0
		.amdhsa_user_sgpr_kernarg_preload_offset 0
		.amdhsa_user_sgpr_private_segment_size 0
		.amdhsa_wavefront_size32 1
		.amdhsa_uses_dynamic_stack 0
		.amdhsa_enable_private_segment 0
		.amdhsa_system_sgpr_workgroup_id_x 1
		.amdhsa_system_sgpr_workgroup_id_y 0
		.amdhsa_system_sgpr_workgroup_id_z 0
		.amdhsa_system_sgpr_workgroup_info 0
		.amdhsa_system_vgpr_workitem_id 1
		.amdhsa_next_free_vgpr 25
		.amdhsa_next_free_sgpr 22
		.amdhsa_named_barrier_count 0
		.amdhsa_reserve_vcc 1
		.amdhsa_float_round_mode_32 0
		.amdhsa_float_round_mode_16_64 0
		.amdhsa_float_denorm_mode_32 3
		.amdhsa_float_denorm_mode_16_64 3
		.amdhsa_fp16_overflow 0
		.amdhsa_memory_ordered 1
		.amdhsa_forward_progress 1
		.amdhsa_inst_pref_size 15
		.amdhsa_round_robin_scheduling 0
		.amdhsa_exception_fp_ieee_invalid_op 0
		.amdhsa_exception_fp_denorm_src 0
		.amdhsa_exception_fp_ieee_div_zero 0
		.amdhsa_exception_fp_ieee_overflow 0
		.amdhsa_exception_fp_ieee_underflow 0
		.amdhsa_exception_fp_ieee_inexact 0
		.amdhsa_exception_int_div_zero 0
	.end_amdhsa_kernel
	.section	.text._ZN2at6native12_GLOBAL__N_128vectorized_layer_norm_kernelIN3c104HalfEfLb1EEEviT0_PKT_S8_S8_PS5_S9_PS6_,"axG",@progbits,_ZN2at6native12_GLOBAL__N_128vectorized_layer_norm_kernelIN3c104HalfEfLb1EEEviT0_PKT_S8_S8_PS5_S9_PS6_,comdat
.Lfunc_end18:
	.size	_ZN2at6native12_GLOBAL__N_128vectorized_layer_norm_kernelIN3c104HalfEfLb1EEEviT0_PKT_S8_S8_PS5_S9_PS6_, .Lfunc_end18-_ZN2at6native12_GLOBAL__N_128vectorized_layer_norm_kernelIN3c104HalfEfLb1EEEviT0_PKT_S8_S8_PS5_S9_PS6_
                                        ; -- End function
	.set _ZN2at6native12_GLOBAL__N_128vectorized_layer_norm_kernelIN3c104HalfEfLb1EEEviT0_PKT_S8_S8_PS5_S9_PS6_.num_vgpr, 25
	.set _ZN2at6native12_GLOBAL__N_128vectorized_layer_norm_kernelIN3c104HalfEfLb1EEEviT0_PKT_S8_S8_PS5_S9_PS6_.num_agpr, 0
	.set _ZN2at6native12_GLOBAL__N_128vectorized_layer_norm_kernelIN3c104HalfEfLb1EEEviT0_PKT_S8_S8_PS5_S9_PS6_.numbered_sgpr, 22
	.set _ZN2at6native12_GLOBAL__N_128vectorized_layer_norm_kernelIN3c104HalfEfLb1EEEviT0_PKT_S8_S8_PS5_S9_PS6_.num_named_barrier, 0
	.set _ZN2at6native12_GLOBAL__N_128vectorized_layer_norm_kernelIN3c104HalfEfLb1EEEviT0_PKT_S8_S8_PS5_S9_PS6_.private_seg_size, 0
	.set _ZN2at6native12_GLOBAL__N_128vectorized_layer_norm_kernelIN3c104HalfEfLb1EEEviT0_PKT_S8_S8_PS5_S9_PS6_.uses_vcc, 1
	.set _ZN2at6native12_GLOBAL__N_128vectorized_layer_norm_kernelIN3c104HalfEfLb1EEEviT0_PKT_S8_S8_PS5_S9_PS6_.uses_flat_scratch, 0
	.set _ZN2at6native12_GLOBAL__N_128vectorized_layer_norm_kernelIN3c104HalfEfLb1EEEviT0_PKT_S8_S8_PS5_S9_PS6_.has_dyn_sized_stack, 0
	.set _ZN2at6native12_GLOBAL__N_128vectorized_layer_norm_kernelIN3c104HalfEfLb1EEEviT0_PKT_S8_S8_PS5_S9_PS6_.has_recursion, 0
	.set _ZN2at6native12_GLOBAL__N_128vectorized_layer_norm_kernelIN3c104HalfEfLb1EEEviT0_PKT_S8_S8_PS5_S9_PS6_.has_indirect_call, 0
	.section	.AMDGPU.csdata,"",@progbits
; Kernel info:
; codeLenInByte = 1880
; TotalNumSgprs: 24
; NumVgprs: 25
; ScratchSize: 0
; MemoryBound: 0
; FloatMode: 240
; IeeeMode: 1
; LDSByteSize: 0 bytes/workgroup (compile time only)
; SGPRBlocks: 0
; VGPRBlocks: 1
; NumSGPRsForWavesPerEU: 24
; NumVGPRsForWavesPerEU: 25
; NamedBarCnt: 0
; Occupancy: 16
; WaveLimiterHint : 0
; COMPUTE_PGM_RSRC2:SCRATCH_EN: 0
; COMPUTE_PGM_RSRC2:USER_SGPR: 2
; COMPUTE_PGM_RSRC2:TRAP_HANDLER: 0
; COMPUTE_PGM_RSRC2:TGID_X_EN: 1
; COMPUTE_PGM_RSRC2:TGID_Y_EN: 0
; COMPUTE_PGM_RSRC2:TGID_Z_EN: 0
; COMPUTE_PGM_RSRC2:TIDIG_COMP_CNT: 1
	.section	.text._ZN2at6native12_GLOBAL__N_124RowwiseMomentsCUDAKernelIN3c104HalfEfLb1EEEvlT0_PKT_PS5_S9_,"axG",@progbits,_ZN2at6native12_GLOBAL__N_124RowwiseMomentsCUDAKernelIN3c104HalfEfLb1EEEvlT0_PKT_PS5_S9_,comdat
	.globl	_ZN2at6native12_GLOBAL__N_124RowwiseMomentsCUDAKernelIN3c104HalfEfLb1EEEvlT0_PKT_PS5_S9_ ; -- Begin function _ZN2at6native12_GLOBAL__N_124RowwiseMomentsCUDAKernelIN3c104HalfEfLb1EEEvlT0_PKT_PS5_S9_
	.p2align	8
	.type	_ZN2at6native12_GLOBAL__N_124RowwiseMomentsCUDAKernelIN3c104HalfEfLb1EEEvlT0_PKT_PS5_S9_,@function
_ZN2at6native12_GLOBAL__N_124RowwiseMomentsCUDAKernelIN3c104HalfEfLb1EEEvlT0_PKT_PS5_S9_: ; @_ZN2at6native12_GLOBAL__N_124RowwiseMomentsCUDAKernelIN3c104HalfEfLb1EEEvlT0_PKT_PS5_S9_
; %bb.0:
	s_load_b64 s[4:5], s[0:1], 0x0
	s_bfe_u32 s2, ttmp6, 0x4000c
	s_and_b32 s3, ttmp6, 15
	s_add_co_i32 s2, s2, 1
	v_mov_b64_e32 v[6:7], 0
	s_mul_i32 s2, ttmp9, s2
	v_mov_b64_e32 v[2:3], 0
	s_getreg_b32 s6, hwreg(HW_REG_IB_STS2, 6, 4)
	v_mov_b32_e32 v1, 0
	s_add_co_i32 s2, s3, s2
	s_cmp_eq_u32 s6, 0
	s_mov_b32 s3, 0
	s_cselect_b32 s2, ttmp9, s2
	s_mov_b32 s12, exec_lo
	s_wait_kmcnt 0x0
	v_cmpx_gt_i64_e64 s[4:5], v[0:1]
	s_cbranch_execz .LBB19_4
; %bb.1:
	s_clause 0x1
	s_load_b64 s[8:9], s[0:1], 0x10
	s_load_b32 s13, s[0:1], 0x34
	s_mul_u64 s[6:7], s[4:5], s[2:3]
	v_dual_mov_b32 v5, 0 :: v_dual_lshlrev_b32 v4, 1, v0
	s_lshl_b64 s[10:11], s[6:7], 1
	v_mov_b64_e32 v[10:11], v[0:1]
	s_mov_b32 s7, s3
	s_delay_alu instid0(VALU_DEP_2)
	v_mov_b32_e32 v3, v5
	s_wait_kmcnt 0x0
	s_add_nc_u64 s[8:9], s[8:9], s[10:11]
	s_and_b32 s6, s13, 0xffff
	v_add_nc_u64_e32 v[8:9], s[8:9], v[4:5]
	s_lshl_b32 s8, s6, 1
	s_mov_b32 s9, s3
	s_mov_b64 s[10:11], 0
	s_mov_b32 s13, s3
.LBB19_2:                               ; =>This Inner Loop Header: Depth=1
	global_load_u16 v1, v[8:9], off
	s_add_nc_u64 s[10:11], s[10:11], 1
	v_add_nc_u64_e32 v[10:11], s[6:7], v[10:11]
	s_clz_i32_u32 s14, s11
	s_wait_xcnt 0x0
	v_add_nc_u64_e32 v[8:9], s[8:9], v[8:9]
	s_min_u32 s16, s14, 32
	s_delay_alu instid0(SALU_CYCLE_1) | instskip(NEXT) | instid1(SALU_CYCLE_1)
	s_lshl_b64 s[14:15], s[10:11], s16
	s_min_u32 s14, s14, 1
	s_delay_alu instid0(SALU_CYCLE_1) | instskip(SKIP_4) | instid1(SALU_CYCLE_1)
	s_or_b32 s14, s15, s14
	s_sub_co_i32 s15, 32, s16
	s_cvt_f32_u32 s14, s14
	s_wait_loadcnt 0x0
	v_cvt_f32_f16_e32 v2, v1
	v_ldexp_f32 v1, s14, s15
	s_delay_alu instid0(VALU_DEP_2) | instskip(NEXT) | instid1(VALU_DEP_1)
	v_sub_f32_e32 v4, v2, v3
	v_div_scale_f32 v6, null, v1, v1, v4
	v_div_scale_f32 v13, vcc_lo, v4, v1, v4
	s_delay_alu instid0(VALU_DEP_2) | instskip(SKIP_1) | instid1(TRANS32_DEP_1)
	v_rcp_f32_e32 v7, v6
	v_nop
	v_fma_f32 v12, -v6, v7, 1.0
	s_delay_alu instid0(VALU_DEP_1) | instskip(NEXT) | instid1(VALU_DEP_1)
	v_fmac_f32_e32 v7, v12, v7
	v_mul_f32_e32 v12, v13, v7
	s_delay_alu instid0(VALU_DEP_1) | instskip(NEXT) | instid1(VALU_DEP_1)
	v_fma_f32 v14, -v6, v12, v13
	v_fmac_f32_e32 v12, v14, v7
	s_delay_alu instid0(VALU_DEP_1) | instskip(NEXT) | instid1(VALU_DEP_1)
	v_fma_f32 v6, -v6, v12, v13
	v_div_fmas_f32 v6, v6, v7, v12
	v_cmp_le_i64_e32 vcc_lo, s[4:5], v[10:11]
	s_delay_alu instid0(VALU_DEP_2) | instskip(SKIP_1) | instid1(VALU_DEP_1)
	v_div_fixup_f32 v6, v6, v1, v4
	s_or_b32 s13, vcc_lo, s13
	v_add_f32_e32 v3, v3, v6
	v_mov_b64_e32 v[6:7], s[10:11]
	s_delay_alu instid0(VALU_DEP_2) | instskip(NEXT) | instid1(VALU_DEP_1)
	v_sub_f32_e32 v2, v2, v3
	v_fmac_f32_e32 v5, v4, v2
	s_and_not1_b32 exec_lo, exec_lo, s13
	s_cbranch_execnz .LBB19_2
; %bb.3:
	s_or_b32 exec_lo, exec_lo, s13
	s_delay_alu instid0(VALU_DEP_1)
	v_mov_b32_e32 v2, v5
.LBB19_4:
	s_or_b32 exec_lo, exec_lo, s12
	v_mbcnt_lo_u32_b32 v13, -1, 0
	s_mov_b32 s4, exec_lo
	s_delay_alu instid0(VALU_DEP_1)
	v_lshl_or_b32 v10, v13, 2, 64
	ds_bpermute_b32 v5, v10, v3
	ds_bpermute_b32 v4, v10, v2
	;; [unrolled: 1-line block ×5, first 2 shown]
	v_cmpx_neq_f32_e32 0, v1
	s_cbranch_execz .LBB19_8
; %bb.5:
	s_mov_b32 s5, exec_lo
	s_wait_dscnt 0x0
	v_cmpx_neq_f32_e32 0, v11
	s_cbranch_execz .LBB19_7
; %bb.6:
	v_add_f32_e32 v12, v1, v11
	s_delay_alu instid0(VALU_DEP_1) | instskip(SKIP_1) | instid1(VALU_DEP_2)
	v_div_scale_f32 v6, null, v12, v12, v11
	v_div_scale_f32 v14, vcc_lo, v11, v12, v11
	v_rcp_f32_e32 v7, v6
	v_nop
	s_delay_alu instid0(TRANS32_DEP_1) | instskip(NEXT) | instid1(VALU_DEP_1)
	v_fma_f32 v8, -v6, v7, 1.0
	v_fmac_f32_e32 v7, v8, v7
	s_delay_alu instid0(VALU_DEP_1) | instskip(NEXT) | instid1(VALU_DEP_1)
	v_mul_f32_e32 v15, v14, v7
	v_fma_f32 v8, -v6, v15, v14
	s_delay_alu instid0(VALU_DEP_1) | instskip(SKIP_2) | instid1(VALU_DEP_3)
	v_fmac_f32_e32 v15, v8, v7
	v_pk_add_f32 v[8:9], v[4:5], v[2:3] neg_lo:[0,1] neg_hi:[0,1]
	v_pk_add_f32 v[4:5], v[2:3], v[4:5]
	v_dual_mov_b32 v5, v3 :: v_dual_fma_f32 v6, -v6, v15, v14
	s_delay_alu instid0(VALU_DEP_3) | instskip(NEXT) | instid1(VALU_DEP_2)
	v_mul_f32_e32 v8, v9, v9
	v_div_fmas_f32 v6, v6, v7, v15
	s_delay_alu instid0(VALU_DEP_2) | instskip(NEXT) | instid1(VALU_DEP_2)
	v_dual_mul_f32 v8, v1, v8 :: v_dual_mov_b32 v1, v12
	v_div_fixup_f32 v2, v6, v12, v11
	v_mov_b64_e32 v[6:7], -1
	s_delay_alu instid0(VALU_DEP_2)
	v_pk_fma_f32 v[2:3], v[8:9], v[2:3], v[4:5] op_sel_hi:[1,0,1]
.LBB19_7:
	s_or_b32 exec_lo, exec_lo, s5
	s_delay_alu instid0(VALU_DEP_2) | instskip(NEXT) | instid1(VALU_DEP_2)
	v_mov_b64_e32 v[8:9], v[6:7]
	v_mov_b64_e32 v[4:5], v[2:3]
	v_mov_b32_e32 v11, v1
.LBB19_8:
	s_or_b32 exec_lo, exec_lo, s4
	v_cmp_gt_u32_e32 vcc_lo, 24, v13
	s_mov_b32 s4, exec_lo
	v_cndmask_b32_e64 v1, 0, 8, vcc_lo
	s_delay_alu instid0(VALU_DEP_1)
	v_add_lshl_u32 v1, v1, v13, 2
	s_wait_dscnt 0x4
	ds_bpermute_b32 v3, v1, v5
	s_wait_dscnt 0x4
	ds_bpermute_b32 v2, v1, v4
	;; [unrolled: 2-line block ×5, first 2 shown]
	v_cmpx_neq_f32_e32 0, v11
	s_cbranch_execz .LBB19_12
; %bb.9:
	s_mov_b32 s5, exec_lo
	s_wait_dscnt 0x0
	v_cmpx_neq_f32_e32 0, v12
	s_cbranch_execz .LBB19_11
; %bb.10:
	v_add_f32_e32 v14, v11, v12
	s_delay_alu instid0(VALU_DEP_1) | instskip(NEXT) | instid1(VALU_DEP_1)
	v_div_scale_f32 v8, null, v14, v14, v12
	v_rcp_f32_e32 v9, v8
	v_nop
	s_delay_alu instid0(TRANS32_DEP_1) | instskip(NEXT) | instid1(VALU_DEP_1)
	v_fma_f32 v6, -v8, v9, 1.0
	v_fmac_f32_e32 v9, v6, v9
	v_div_scale_f32 v15, vcc_lo, v12, v14, v12
	s_delay_alu instid0(VALU_DEP_1) | instskip(NEXT) | instid1(VALU_DEP_1)
	v_mul_f32_e32 v16, v15, v9
	v_fma_f32 v6, -v8, v16, v15
	s_delay_alu instid0(VALU_DEP_1) | instskip(SKIP_2) | instid1(VALU_DEP_3)
	v_fmac_f32_e32 v16, v6, v9
	v_pk_add_f32 v[6:7], v[2:3], v[4:5] neg_lo:[0,1] neg_hi:[0,1]
	v_pk_add_f32 v[2:3], v[4:5], v[2:3]
	v_dual_mov_b32 v3, v5 :: v_dual_fma_f32 v6, -v8, v16, v15
	s_delay_alu instid0(VALU_DEP_3) | instskip(NEXT) | instid1(VALU_DEP_2)
	v_mul_f32_e32 v8, v7, v7
	v_div_fmas_f32 v9, v6, v9, v16
	s_delay_alu instid0(VALU_DEP_2) | instskip(NEXT) | instid1(VALU_DEP_2)
	v_dual_mul_f32 v6, v11, v8 :: v_dual_mov_b32 v11, v14
	v_div_fixup_f32 v4, v9, v14, v12
	v_mov_b64_e32 v[8:9], -1
	s_delay_alu instid0(VALU_DEP_2)
	v_pk_fma_f32 v[4:5], v[6:7], v[4:5], v[2:3] op_sel_hi:[1,0,1]
.LBB19_11:
	s_or_b32 exec_lo, exec_lo, s5
	s_delay_alu instid0(VALU_DEP_2) | instskip(NEXT) | instid1(VALU_DEP_2)
	v_mov_b64_e32 v[6:7], v[8:9]
	v_mov_b64_e32 v[2:3], v[4:5]
	v_mov_b32_e32 v12, v11
.LBB19_12:
	s_or_b32 exec_lo, exec_lo, s4
	v_cmp_gt_u32_e32 vcc_lo, 28, v13
	s_mov_b32 s4, exec_lo
	v_cndmask_b32_e64 v4, 0, 4, vcc_lo
	s_delay_alu instid0(VALU_DEP_1)
	v_add_lshl_u32 v11, v4, v13, 2
	s_wait_dscnt 0x4
	ds_bpermute_b32 v5, v11, v3
	s_wait_dscnt 0x4
	ds_bpermute_b32 v4, v11, v2
	;; [unrolled: 2-line block ×5, first 2 shown]
	v_cmpx_neq_f32_e32 0, v12
	s_cbranch_execz .LBB19_16
; %bb.13:
	s_mov_b32 s5, exec_lo
	s_wait_dscnt 0x0
	v_cmpx_neq_f32_e32 0, v14
	s_cbranch_execz .LBB19_15
; %bb.14:
	v_add_f32_e32 v15, v12, v14
	s_delay_alu instid0(VALU_DEP_1) | instskip(SKIP_1) | instid1(VALU_DEP_2)
	v_div_scale_f32 v6, null, v15, v15, v14
	v_div_scale_f32 v16, vcc_lo, v14, v15, v14
	v_rcp_f32_e32 v7, v6
	v_nop
	s_delay_alu instid0(TRANS32_DEP_1) | instskip(NEXT) | instid1(VALU_DEP_1)
	v_fma_f32 v8, -v6, v7, 1.0
	v_fmac_f32_e32 v7, v8, v7
	s_delay_alu instid0(VALU_DEP_1) | instskip(NEXT) | instid1(VALU_DEP_1)
	v_mul_f32_e32 v17, v16, v7
	v_fma_f32 v8, -v6, v17, v16
	s_delay_alu instid0(VALU_DEP_1) | instskip(SKIP_2) | instid1(VALU_DEP_3)
	v_fmac_f32_e32 v17, v8, v7
	v_pk_add_f32 v[8:9], v[4:5], v[2:3] neg_lo:[0,1] neg_hi:[0,1]
	v_pk_add_f32 v[4:5], v[2:3], v[4:5]
	v_dual_mov_b32 v5, v3 :: v_dual_fma_f32 v6, -v6, v17, v16
	s_delay_alu instid0(VALU_DEP_3) | instskip(NEXT) | instid1(VALU_DEP_2)
	v_mul_f32_e32 v8, v9, v9
	v_div_fmas_f32 v6, v6, v7, v17
	s_delay_alu instid0(VALU_DEP_2) | instskip(NEXT) | instid1(VALU_DEP_2)
	v_dual_mul_f32 v8, v12, v8 :: v_dual_mov_b32 v12, v15
	v_div_fixup_f32 v2, v6, v15, v14
	v_mov_b64_e32 v[6:7], -1
	s_delay_alu instid0(VALU_DEP_2)
	v_pk_fma_f32 v[2:3], v[8:9], v[2:3], v[4:5] op_sel_hi:[1,0,1]
.LBB19_15:
	s_or_b32 exec_lo, exec_lo, s5
	s_delay_alu instid0(VALU_DEP_2) | instskip(NEXT) | instid1(VALU_DEP_2)
	v_mov_b64_e32 v[8:9], v[6:7]
	v_mov_b64_e32 v[4:5], v[2:3]
	v_mov_b32_e32 v14, v12
.LBB19_16:
	s_or_b32 exec_lo, exec_lo, s4
	v_cmp_gt_u32_e32 vcc_lo, 30, v13
	s_mov_b32 s4, exec_lo
	v_cndmask_b32_e64 v2, 0, 2, vcc_lo
	s_delay_alu instid0(VALU_DEP_1)
	v_add_lshl_u32 v12, v2, v13, 2
	s_wait_dscnt 0x4
	ds_bpermute_b32 v3, v12, v5
	s_wait_dscnt 0x4
	ds_bpermute_b32 v2, v12, v4
	;; [unrolled: 2-line block ×5, first 2 shown]
	v_cmpx_neq_f32_e32 0, v14
	s_cbranch_execz .LBB19_20
; %bb.17:
	s_mov_b32 s5, exec_lo
	s_wait_dscnt 0x0
	v_cmpx_neq_f32_e32 0, v15
	s_cbranch_execz .LBB19_19
; %bb.18:
	v_add_f32_e32 v16, v14, v15
	s_delay_alu instid0(VALU_DEP_1) | instskip(SKIP_1) | instid1(VALU_DEP_2)
	v_div_scale_f32 v8, null, v16, v16, v15
	v_div_scale_f32 v17, vcc_lo, v15, v16, v15
	v_rcp_f32_e32 v9, v8
	v_nop
	s_delay_alu instid0(TRANS32_DEP_1) | instskip(NEXT) | instid1(VALU_DEP_1)
	v_fma_f32 v6, -v8, v9, 1.0
	v_fmac_f32_e32 v9, v6, v9
	s_delay_alu instid0(VALU_DEP_1) | instskip(NEXT) | instid1(VALU_DEP_1)
	v_mul_f32_e32 v18, v17, v9
	v_fma_f32 v6, -v8, v18, v17
	s_delay_alu instid0(VALU_DEP_1) | instskip(SKIP_2) | instid1(VALU_DEP_3)
	v_fmac_f32_e32 v18, v6, v9
	v_pk_add_f32 v[6:7], v[2:3], v[4:5] neg_lo:[0,1] neg_hi:[0,1]
	v_pk_add_f32 v[2:3], v[4:5], v[2:3]
	v_dual_mov_b32 v3, v5 :: v_dual_fma_f32 v6, -v8, v18, v17
	s_delay_alu instid0(VALU_DEP_3) | instskip(NEXT) | instid1(VALU_DEP_2)
	v_mul_f32_e32 v8, v7, v7
	v_div_fmas_f32 v9, v6, v9, v18
	s_delay_alu instid0(VALU_DEP_2) | instskip(NEXT) | instid1(VALU_DEP_2)
	v_dual_mul_f32 v6, v14, v8 :: v_dual_mov_b32 v14, v16
	v_div_fixup_f32 v4, v9, v16, v15
	v_mov_b64_e32 v[8:9], -1
	s_delay_alu instid0(VALU_DEP_2)
	v_pk_fma_f32 v[4:5], v[6:7], v[4:5], v[2:3] op_sel_hi:[1,0,1]
.LBB19_19:
	s_or_b32 exec_lo, exec_lo, s5
	s_delay_alu instid0(VALU_DEP_2) | instskip(NEXT) | instid1(VALU_DEP_2)
	v_mov_b64_e32 v[6:7], v[8:9]
	v_mov_b64_e32 v[2:3], v[4:5]
	v_mov_b32_e32 v15, v14
.LBB19_20:
	s_or_b32 exec_lo, exec_lo, s4
	v_cmp_ne_u32_e32 vcc_lo, 31, v13
	s_mov_b32 s4, exec_lo
	v_add_co_ci_u32_e64 v4, null, 0, v13, vcc_lo
	s_delay_alu instid0(VALU_DEP_1)
	v_lshlrev_b32_e32 v13, 2, v4
	s_wait_dscnt 0x4
	ds_bpermute_b32 v5, v13, v3
	s_wait_dscnt 0x4
	ds_bpermute_b32 v4, v13, v2
	;; [unrolled: 2-line block ×5, first 2 shown]
	v_cmpx_neq_f32_e32 0, v15
	s_cbranch_execz .LBB19_24
; %bb.21:
	s_mov_b32 s5, exec_lo
	s_wait_dscnt 0x0
	v_cmpx_neq_f32_e32 0, v14
	s_cbranch_execz .LBB19_23
; %bb.22:
	v_add_f32_e32 v16, v15, v14
	s_delay_alu instid0(VALU_DEP_1) | instskip(NEXT) | instid1(VALU_DEP_1)
	v_div_scale_f32 v6, null, v16, v16, v14
	v_rcp_f32_e32 v7, v6
	v_nop
	s_delay_alu instid0(TRANS32_DEP_1) | instskip(NEXT) | instid1(VALU_DEP_1)
	v_fma_f32 v8, -v6, v7, 1.0
	v_fmac_f32_e32 v7, v8, v7
	v_div_scale_f32 v17, vcc_lo, v14, v16, v14
	s_delay_alu instid0(VALU_DEP_1) | instskip(NEXT) | instid1(VALU_DEP_1)
	v_mul_f32_e32 v18, v17, v7
	v_fma_f32 v8, -v6, v18, v17
	s_delay_alu instid0(VALU_DEP_1) | instskip(SKIP_2) | instid1(VALU_DEP_2)
	v_fmac_f32_e32 v18, v8, v7
	v_pk_add_f32 v[8:9], v[4:5], v[2:3] neg_lo:[0,1] neg_hi:[0,1]
	v_pk_add_f32 v[4:5], v[2:3], v[4:5]
	v_dual_mov_b32 v5, v3 :: v_dual_mul_f32 v8, v9, v9
	s_delay_alu instid0(VALU_DEP_1) | instskip(SKIP_1) | instid1(VALU_DEP_2)
	v_dual_fma_f32 v6, -v6, v18, v17 :: v_dual_mul_f32 v8, v15, v8
	v_mov_b32_e32 v15, v16
	v_div_fmas_f32 v6, v6, v7, v18
	s_delay_alu instid0(VALU_DEP_1) | instskip(SKIP_1) | instid1(VALU_DEP_2)
	v_div_fixup_f32 v2, v6, v16, v14
	v_mov_b64_e32 v[6:7], -1
	v_pk_fma_f32 v[2:3], v[8:9], v[2:3], v[4:5] op_sel_hi:[1,0,1]
.LBB19_23:
	s_or_b32 exec_lo, exec_lo, s5
	s_delay_alu instid0(VALU_DEP_2) | instskip(NEXT) | instid1(VALU_DEP_2)
	v_mov_b64_e32 v[8:9], v[6:7]
	v_mov_b64_e32 v[4:5], v[2:3]
	v_mov_b32_e32 v14, v15
.LBB19_24:
	s_or_b32 exec_lo, exec_lo, s4
	v_and_b32_e32 v2, 31, v0
	s_mov_b32 s4, exec_lo
	s_wait_dscnt 0x0
	s_barrier_signal -1
	s_barrier_wait -1
	v_cmpx_eq_u32_e32 0, v2
	s_cbranch_execz .LBB19_26
; %bb.25:
	v_dual_mov_b32 v6, v5 :: v_dual_lshrrev_b32 v3, 5, v0
	v_mov_b32_e32 v7, v4
	s_delay_alu instid0(VALU_DEP_2)
	v_mul_u32_u24_e32 v3, 24, v3
	ds_store_2addr_b64 v3, v[6:7], v[8:9] offset1:1
	ds_store_b32 v3, v14 offset:16
.LBB19_26:
	s_or_b32 exec_lo, exec_lo, s4
	s_wait_dscnt 0x0
	s_barrier_signal -1
	s_barrier_wait -1
	s_load_b32 s4, s[0:1], 0x34
	v_mul_u32_u24_e32 v4, 24, v2
	v_dual_mov_b32 v2, 0 :: v_dual_mov_b32 v3, 0
	s_wait_kmcnt 0x0
	s_bfe_u32 s4, s4, 0xb0005
	s_delay_alu instid0(SALU_CYCLE_1)
	v_cmp_gt_u32_e32 vcc_lo, s4, v0
	s_and_saveexec_b32 s4, vcc_lo
	s_cbranch_execnz .LBB19_55
; %bb.27:
	s_or_b32 exec_lo, exec_lo, s4
	s_and_saveexec_b32 s4, vcc_lo
	s_cbranch_execnz .LBB19_56
.LBB19_28:
	s_or_b32 exec_lo, exec_lo, s4
	v_mov_b32_e32 v8, 0
	s_and_saveexec_b32 s4, vcc_lo
.LBB19_29:
	ds_load_b32 v8, v4 offset:16
.LBB19_30:
	s_or_b32 exec_lo, exec_lo, s4
	s_delay_alu instid0(SALU_CYCLE_1)
	s_mov_b32 s4, exec_lo
	v_cmpx_gt_u32_e32 32, v0
	s_cbranch_execz .LBB19_52
; %bb.31:
	s_wait_dscnt 0x0
	ds_bpermute_b32 v5, v10, v3
	ds_bpermute_b32 v4, v10, v2
	;; [unrolled: 1-line block ×3, first 2 shown]
	s_mov_b32 s5, exec_lo
	v_cmpx_neq_f32_e32 0, v8
	s_cbranch_execz .LBB19_35
; %bb.32:
	s_mov_b32 s6, exec_lo
	s_wait_dscnt 0x0
	v_cmpx_neq_f32_e32 0, v6
	s_cbranch_execz .LBB19_34
; %bb.33:
	v_add_f32_e32 v7, v8, v6
	s_delay_alu instid0(VALU_DEP_1) | instskip(SKIP_1) | instid1(VALU_DEP_2)
	v_div_scale_f32 v9, null, v7, v7, v6
	v_div_scale_f32 v15, vcc_lo, v6, v7, v6
	v_rcp_f32_e32 v10, v9
	v_nop
	s_delay_alu instid0(TRANS32_DEP_1) | instskip(NEXT) | instid1(VALU_DEP_1)
	v_fma_f32 v14, -v9, v10, 1.0
	v_fmac_f32_e32 v10, v14, v10
	s_delay_alu instid0(VALU_DEP_1) | instskip(NEXT) | instid1(VALU_DEP_1)
	v_mul_f32_e32 v16, v15, v10
	v_fma_f32 v14, -v9, v16, v15
	s_delay_alu instid0(VALU_DEP_1) | instskip(NEXT) | instid1(VALU_DEP_1)
	v_fmac_f32_e32 v16, v14, v10
	v_fma_f32 v9, -v9, v16, v15
	v_pk_add_f32 v[14:15], v[4:5], v[2:3] neg_lo:[0,1] neg_hi:[0,1]
	v_add_f32_e32 v2, v2, v4
	s_delay_alu instid0(VALU_DEP_3) | instskip(NEXT) | instid1(VALU_DEP_3)
	v_div_fmas_f32 v5, v9, v10, v16
	v_mul_f32_e32 v9, v15, v15
	s_delay_alu instid0(VALU_DEP_2) | instskip(NEXT) | instid1(VALU_DEP_2)
	v_div_fixup_f32 v14, v5, v7, v6
	v_dual_mul_f32 v4, v8, v9 :: v_dual_mov_b32 v8, v7
	s_delay_alu instid0(VALU_DEP_2) | instskip(NEXT) | instid1(VALU_DEP_1)
	v_mov_b32_e32 v5, v14
	v_pk_fma_f32 v[2:3], v[14:15], v[4:5], v[2:3]
.LBB19_34:
	s_or_b32 exec_lo, exec_lo, s6
	s_delay_alu instid0(VALU_DEP_1)
	v_mov_b64_e32 v[4:5], v[2:3]
	v_mov_b32_e32 v6, v8
.LBB19_35:
	s_or_b32 exec_lo, exec_lo, s5
	s_wait_dscnt 0x2
	ds_bpermute_b32 v3, v1, v5
	s_wait_dscnt 0x2
	ds_bpermute_b32 v2, v1, v4
	;; [unrolled: 2-line block ×3, first 2 shown]
	s_mov_b32 s5, exec_lo
	v_cmpx_neq_f32_e32 0, v6
	s_cbranch_execz .LBB19_39
; %bb.36:
	s_mov_b32 s6, exec_lo
	s_wait_dscnt 0x0
	v_cmpx_neq_f32_e32 0, v1
	s_cbranch_execz .LBB19_38
; %bb.37:
	v_add_f32_e32 v7, v6, v1
	s_delay_alu instid0(VALU_DEP_1) | instskip(NEXT) | instid1(VALU_DEP_1)
	v_div_scale_f32 v10, null, v7, v7, v1
	v_rcp_f32_e32 v14, v10
	v_nop
	s_delay_alu instid0(TRANS32_DEP_1) | instskip(NEXT) | instid1(VALU_DEP_1)
	v_fma_f32 v8, -v10, v14, 1.0
	v_fmac_f32_e32 v14, v8, v14
	v_div_scale_f32 v15, vcc_lo, v1, v7, v1
	s_delay_alu instid0(VALU_DEP_1) | instskip(NEXT) | instid1(VALU_DEP_1)
	v_mul_f32_e32 v16, v15, v14
	v_fma_f32 v8, -v10, v16, v15
	s_delay_alu instid0(VALU_DEP_1) | instskip(SKIP_2) | instid1(VALU_DEP_3)
	v_fmac_f32_e32 v16, v8, v14
	v_pk_add_f32 v[8:9], v[2:3], v[4:5] neg_lo:[0,1] neg_hi:[0,1]
	v_pk_add_f32 v[2:3], v[4:5], v[2:3]
	v_dual_mov_b32 v3, v5 :: v_dual_fma_f32 v8, -v10, v16, v15
	s_delay_alu instid0(VALU_DEP_3) | instskip(NEXT) | instid1(VALU_DEP_2)
	v_mul_f32_e32 v10, v9, v9
	v_div_fmas_f32 v14, v8, v14, v16
	s_delay_alu instid0(VALU_DEP_2) | instskip(NEXT) | instid1(VALU_DEP_2)
	v_dual_mul_f32 v8, v6, v10 :: v_dual_mov_b32 v6, v7
	v_div_fixup_f32 v4, v14, v7, v1
	s_delay_alu instid0(VALU_DEP_1)
	v_pk_fma_f32 v[4:5], v[8:9], v[4:5], v[2:3] op_sel_hi:[1,0,1]
.LBB19_38:
	s_or_b32 exec_lo, exec_lo, s6
	s_delay_alu instid0(VALU_DEP_1)
	v_mov_b64_e32 v[2:3], v[4:5]
	v_mov_b32_e32 v1, v6
.LBB19_39:
	s_or_b32 exec_lo, exec_lo, s5
	s_wait_dscnt 0x2
	ds_bpermute_b32 v5, v11, v3
	s_wait_dscnt 0x2
	ds_bpermute_b32 v4, v11, v2
	;; [unrolled: 2-line block ×3, first 2 shown]
	s_mov_b32 s5, exec_lo
	v_cmpx_neq_f32_e32 0, v1
	s_cbranch_execz .LBB19_43
; %bb.40:
	s_mov_b32 s6, exec_lo
	s_wait_dscnt 0x0
	v_cmpx_neq_f32_e32 0, v8
	s_cbranch_execz .LBB19_42
; %bb.41:
	v_add_f32_e32 v9, v1, v8
	s_delay_alu instid0(VALU_DEP_1) | instskip(NEXT) | instid1(VALU_DEP_1)
	v_div_scale_f32 v10, null, v9, v9, v8
	v_rcp_f32_e32 v11, v10
	v_nop
	s_delay_alu instid0(TRANS32_DEP_1) | instskip(NEXT) | instid1(VALU_DEP_1)
	v_fma_f32 v6, -v10, v11, 1.0
	v_fmac_f32_e32 v11, v6, v11
	v_div_scale_f32 v14, vcc_lo, v8, v9, v8
	s_delay_alu instid0(VALU_DEP_1) | instskip(NEXT) | instid1(VALU_DEP_1)
	v_mul_f32_e32 v15, v14, v11
	v_fma_f32 v6, -v10, v15, v14
	s_delay_alu instid0(VALU_DEP_1) | instskip(SKIP_2) | instid1(VALU_DEP_3)
	v_fmac_f32_e32 v15, v6, v11
	v_pk_add_f32 v[6:7], v[4:5], v[2:3] neg_lo:[0,1] neg_hi:[0,1]
	v_pk_add_f32 v[4:5], v[2:3], v[4:5]
	v_dual_mov_b32 v5, v3 :: v_dual_fma_f32 v6, -v10, v15, v14
	s_delay_alu instid0(VALU_DEP_3) | instskip(NEXT) | instid1(VALU_DEP_2)
	v_mul_f32_e32 v10, v7, v7
	v_div_fmas_f32 v11, v6, v11, v15
	s_delay_alu instid0(VALU_DEP_2) | instskip(SKIP_1) | instid1(VALU_DEP_3)
	v_mul_f32_e32 v6, v1, v10
	v_mov_b32_e32 v1, v9
	v_div_fixup_f32 v2, v11, v9, v8
	s_delay_alu instid0(VALU_DEP_1)
	v_pk_fma_f32 v[2:3], v[6:7], v[2:3], v[4:5] op_sel_hi:[1,0,1]
.LBB19_42:
	s_or_b32 exec_lo, exec_lo, s6
	s_delay_alu instid0(VALU_DEP_1)
	v_mov_b64_e32 v[4:5], v[2:3]
	v_mov_b32_e32 v8, v1
.LBB19_43:
	s_or_b32 exec_lo, exec_lo, s5
	s_wait_dscnt 0x2
	ds_bpermute_b32 v7, v12, v5
	s_wait_dscnt 0x2
	ds_bpermute_b32 v6, v12, v4
	;; [unrolled: 2-line block ×3, first 2 shown]
	s_mov_b32 s5, exec_lo
	v_cmpx_neq_f32_e32 0, v8
	s_cbranch_execz .LBB19_47
; %bb.44:
	s_mov_b32 s6, exec_lo
	s_wait_dscnt 0x0
	v_cmpx_neq_f32_e32 0, v1
	s_cbranch_execz .LBB19_46
; %bb.45:
	v_add_f32_e32 v9, v8, v1
	s_delay_alu instid0(VALU_DEP_1) | instskip(NEXT) | instid1(VALU_DEP_1)
	v_div_scale_f32 v10, null, v9, v9, v1
	v_rcp_f32_e32 v11, v10
	v_nop
	s_delay_alu instid0(TRANS32_DEP_1) | instskip(NEXT) | instid1(VALU_DEP_1)
	v_fma_f32 v2, -v10, v11, 1.0
	v_fmac_f32_e32 v11, v2, v11
	v_div_scale_f32 v12, vcc_lo, v1, v9, v1
	s_delay_alu instid0(VALU_DEP_1) | instskip(NEXT) | instid1(VALU_DEP_1)
	v_mul_f32_e32 v14, v12, v11
	v_fma_f32 v2, -v10, v14, v12
	s_delay_alu instid0(VALU_DEP_1) | instskip(SKIP_2) | instid1(VALU_DEP_3)
	v_fmac_f32_e32 v14, v2, v11
	v_pk_add_f32 v[2:3], v[6:7], v[4:5] neg_lo:[0,1] neg_hi:[0,1]
	v_pk_add_f32 v[6:7], v[4:5], v[6:7]
	v_dual_mov_b32 v7, v5 :: v_dual_fma_f32 v2, -v10, v14, v12
	s_delay_alu instid0(VALU_DEP_3) | instskip(NEXT) | instid1(VALU_DEP_2)
	v_mul_f32_e32 v10, v3, v3
	v_div_fmas_f32 v11, v2, v11, v14
	s_delay_alu instid0(VALU_DEP_2) | instskip(NEXT) | instid1(VALU_DEP_2)
	v_dual_mul_f32 v2, v8, v10 :: v_dual_mov_b32 v8, v9
	v_div_fixup_f32 v4, v11, v9, v1
	s_delay_alu instid0(VALU_DEP_1)
	v_pk_fma_f32 v[4:5], v[2:3], v[4:5], v[6:7] op_sel_hi:[1,0,1]
.LBB19_46:
	s_or_b32 exec_lo, exec_lo, s6
	s_delay_alu instid0(VALU_DEP_1)
	v_mov_b64_e32 v[6:7], v[4:5]
	v_mov_b32_e32 v1, v8
.LBB19_47:
	s_or_b32 exec_lo, exec_lo, s5
	s_wait_dscnt 0x2
	ds_bpermute_b32 v3, v13, v7
	s_wait_dscnt 0x2
	ds_bpermute_b32 v2, v13, v6
	;; [unrolled: 2-line block ×3, first 2 shown]
	s_mov_b32 s5, exec_lo
	v_cmpx_neq_f32_e32 0, v1
	s_cbranch_execz .LBB19_51
; %bb.48:
	s_mov_b32 s6, exec_lo
	s_wait_dscnt 0x0
	v_cmpx_neq_f32_e32 0, v8
	s_cbranch_execz .LBB19_50
; %bb.49:
	v_add_f32_e32 v9, v1, v8
	s_delay_alu instid0(VALU_DEP_1) | instskip(NEXT) | instid1(VALU_DEP_1)
	v_div_scale_f32 v10, null, v9, v9, v8
	v_rcp_f32_e32 v11, v10
	v_nop
	s_delay_alu instid0(TRANS32_DEP_1) | instskip(NEXT) | instid1(VALU_DEP_1)
	v_fma_f32 v4, -v10, v11, 1.0
	v_fmac_f32_e32 v11, v4, v11
	v_div_scale_f32 v12, vcc_lo, v8, v9, v8
	s_delay_alu instid0(VALU_DEP_1) | instskip(NEXT) | instid1(VALU_DEP_1)
	v_mul_f32_e32 v13, v12, v11
	v_fma_f32 v4, -v10, v13, v12
	s_delay_alu instid0(VALU_DEP_1) | instskip(SKIP_2) | instid1(VALU_DEP_3)
	v_fmac_f32_e32 v13, v4, v11
	v_pk_add_f32 v[4:5], v[2:3], v[6:7] neg_lo:[0,1] neg_hi:[0,1]
	v_pk_add_f32 v[2:3], v[6:7], v[2:3]
	v_dual_mov_b32 v3, v7 :: v_dual_fma_f32 v4, -v10, v13, v12
	s_delay_alu instid0(VALU_DEP_3) | instskip(NEXT) | instid1(VALU_DEP_2)
	v_mul_f32_e32 v10, v5, v5
	v_div_fmas_f32 v11, v4, v11, v13
	s_delay_alu instid0(VALU_DEP_2) | instskip(SKIP_1) | instid1(VALU_DEP_3)
	v_mul_f32_e32 v4, v1, v10
	v_mov_b32_e32 v1, v9
	v_div_fixup_f32 v6, v11, v9, v8
	s_delay_alu instid0(VALU_DEP_1)
	v_pk_fma_f32 v[6:7], v[4:5], v[6:7], v[2:3] op_sel_hi:[1,0,1]
.LBB19_50:
	s_or_b32 exec_lo, exec_lo, s6
	s_delay_alu instid0(VALU_DEP_1)
	v_mov_b64_e32 v[2:3], v[6:7]
	v_mov_b32_e32 v8, v1
.LBB19_51:
	s_or_b32 exec_lo, exec_lo, s5
.LBB19_52:
	s_delay_alu instid0(SALU_CYCLE_1) | instskip(NEXT) | instid1(SALU_CYCLE_1)
	s_or_b32 exec_lo, exec_lo, s4
	s_mov_b32 s4, exec_lo
	v_cmpx_eq_u32_e32 0, v0
	s_cbranch_execz .LBB19_54
; %bb.53:
	s_wait_dscnt 0x0
	v_max_num_f32_e32 v0, v8, v8
	s_load_b32 s4, s[0:1], 0x8
	s_lshl_b64 s[2:3], s[2:3], 2
	s_wait_xcnt 0x0
	s_load_b64 s[0:1], s[0:1], 0x20
	v_max_num_f32_e32 v0, 0, v0
	s_delay_alu instid0(VALU_DEP_1) | instskip(SKIP_1) | instid1(VALU_DEP_2)
	v_div_scale_f32 v1, null, v0, v0, v2
	v_div_scale_f32 v6, vcc_lo, v2, v0, v2
	v_rcp_f32_e32 v4, v1
	v_nop
	s_delay_alu instid0(TRANS32_DEP_1) | instskip(SKIP_2) | instid1(VALU_DEP_1)
	v_fma_f32 v5, -v1, v4, 1.0
	s_wait_kmcnt 0x0
	s_add_nc_u64 s[0:1], s[0:1], s[2:3]
	v_fmac_f32_e32 v4, v5, v4
	s_delay_alu instid0(VALU_DEP_1) | instskip(NEXT) | instid1(VALU_DEP_1)
	v_mul_f32_e32 v5, v6, v4
	v_fma_f32 v7, -v1, v5, v6
	s_delay_alu instid0(VALU_DEP_1) | instskip(NEXT) | instid1(VALU_DEP_1)
	v_fmac_f32_e32 v5, v7, v4
	v_fma_f32 v1, -v1, v5, v6
	s_delay_alu instid0(VALU_DEP_1) | instskip(NEXT) | instid1(VALU_DEP_1)
	v_div_fmas_f32 v1, v1, v4, v5
	v_div_fixup_f32 v0, v1, v0, v2
	s_delay_alu instid0(VALU_DEP_1) | instskip(NEXT) | instid1(VALU_DEP_1)
	v_fmac_f32_e32 v0, v3, v3
	v_add_f32_e32 v0, s4, v0
	s_delay_alu instid0(VALU_DEP_1) | instskip(SKIP_1) | instid1(VALU_DEP_2)
	v_mul_f32_e32 v1, 0x4b800000, v0
	v_cmp_gt_f32_e32 vcc_lo, 0x800000, v0
	v_cndmask_b32_e32 v0, v0, v1, vcc_lo
	s_delay_alu instid0(VALU_DEP_1) | instskip(SKIP_1) | instid1(TRANS32_DEP_1)
	v_rsq_f32_e32 v0, v0
	v_nop
	v_mul_f32_e32 v1, 0x45800000, v0
	s_delay_alu instid0(VALU_DEP_1)
	v_dual_cndmask_b32 v0, v0, v1 :: v_dual_mov_b32 v1, 0
	global_store_b32 v1, v0, s[0:1]
.LBB19_54:
	s_endpgm
.LBB19_55:
	ds_load_b32 v3, v4
	s_or_b32 exec_lo, exec_lo, s4
	s_and_saveexec_b32 s4, vcc_lo
	s_cbranch_execz .LBB19_28
.LBB19_56:
	ds_load_b32 v2, v4 offset:4
	s_or_b32 exec_lo, exec_lo, s4
	v_mov_b32_e32 v8, 0
	s_and_saveexec_b32 s4, vcc_lo
	s_cbranch_execnz .LBB19_29
	s_branch .LBB19_30
	.section	.rodata,"a",@progbits
	.p2align	6, 0x0
	.amdhsa_kernel _ZN2at6native12_GLOBAL__N_124RowwiseMomentsCUDAKernelIN3c104HalfEfLb1EEEvlT0_PKT_PS5_S9_
		.amdhsa_group_segment_fixed_size 768
		.amdhsa_private_segment_fixed_size 0
		.amdhsa_kernarg_size 296
		.amdhsa_user_sgpr_count 2
		.amdhsa_user_sgpr_dispatch_ptr 0
		.amdhsa_user_sgpr_queue_ptr 0
		.amdhsa_user_sgpr_kernarg_segment_ptr 1
		.amdhsa_user_sgpr_dispatch_id 0
		.amdhsa_user_sgpr_kernarg_preload_length 0
		.amdhsa_user_sgpr_kernarg_preload_offset 0
		.amdhsa_user_sgpr_private_segment_size 0
		.amdhsa_wavefront_size32 1
		.amdhsa_uses_dynamic_stack 0
		.amdhsa_enable_private_segment 0
		.amdhsa_system_sgpr_workgroup_id_x 1
		.amdhsa_system_sgpr_workgroup_id_y 0
		.amdhsa_system_sgpr_workgroup_id_z 0
		.amdhsa_system_sgpr_workgroup_info 0
		.amdhsa_system_vgpr_workitem_id 0
		.amdhsa_next_free_vgpr 19
		.amdhsa_next_free_sgpr 17
		.amdhsa_named_barrier_count 0
		.amdhsa_reserve_vcc 1
		.amdhsa_float_round_mode_32 0
		.amdhsa_float_round_mode_16_64 0
		.amdhsa_float_denorm_mode_32 3
		.amdhsa_float_denorm_mode_16_64 3
		.amdhsa_fp16_overflow 0
		.amdhsa_memory_ordered 1
		.amdhsa_forward_progress 1
		.amdhsa_inst_pref_size 27
		.amdhsa_round_robin_scheduling 0
		.amdhsa_exception_fp_ieee_invalid_op 0
		.amdhsa_exception_fp_denorm_src 0
		.amdhsa_exception_fp_ieee_div_zero 0
		.amdhsa_exception_fp_ieee_overflow 0
		.amdhsa_exception_fp_ieee_underflow 0
		.amdhsa_exception_fp_ieee_inexact 0
		.amdhsa_exception_int_div_zero 0
	.end_amdhsa_kernel
	.section	.text._ZN2at6native12_GLOBAL__N_124RowwiseMomentsCUDAKernelIN3c104HalfEfLb1EEEvlT0_PKT_PS5_S9_,"axG",@progbits,_ZN2at6native12_GLOBAL__N_124RowwiseMomentsCUDAKernelIN3c104HalfEfLb1EEEvlT0_PKT_PS5_S9_,comdat
.Lfunc_end19:
	.size	_ZN2at6native12_GLOBAL__N_124RowwiseMomentsCUDAKernelIN3c104HalfEfLb1EEEvlT0_PKT_PS5_S9_, .Lfunc_end19-_ZN2at6native12_GLOBAL__N_124RowwiseMomentsCUDAKernelIN3c104HalfEfLb1EEEvlT0_PKT_PS5_S9_
                                        ; -- End function
	.set _ZN2at6native12_GLOBAL__N_124RowwiseMomentsCUDAKernelIN3c104HalfEfLb1EEEvlT0_PKT_PS5_S9_.num_vgpr, 19
	.set _ZN2at6native12_GLOBAL__N_124RowwiseMomentsCUDAKernelIN3c104HalfEfLb1EEEvlT0_PKT_PS5_S9_.num_agpr, 0
	.set _ZN2at6native12_GLOBAL__N_124RowwiseMomentsCUDAKernelIN3c104HalfEfLb1EEEvlT0_PKT_PS5_S9_.numbered_sgpr, 17
	.set _ZN2at6native12_GLOBAL__N_124RowwiseMomentsCUDAKernelIN3c104HalfEfLb1EEEvlT0_PKT_PS5_S9_.num_named_barrier, 0
	.set _ZN2at6native12_GLOBAL__N_124RowwiseMomentsCUDAKernelIN3c104HalfEfLb1EEEvlT0_PKT_PS5_S9_.private_seg_size, 0
	.set _ZN2at6native12_GLOBAL__N_124RowwiseMomentsCUDAKernelIN3c104HalfEfLb1EEEvlT0_PKT_PS5_S9_.uses_vcc, 1
	.set _ZN2at6native12_GLOBAL__N_124RowwiseMomentsCUDAKernelIN3c104HalfEfLb1EEEvlT0_PKT_PS5_S9_.uses_flat_scratch, 0
	.set _ZN2at6native12_GLOBAL__N_124RowwiseMomentsCUDAKernelIN3c104HalfEfLb1EEEvlT0_PKT_PS5_S9_.has_dyn_sized_stack, 0
	.set _ZN2at6native12_GLOBAL__N_124RowwiseMomentsCUDAKernelIN3c104HalfEfLb1EEEvlT0_PKT_PS5_S9_.has_recursion, 0
	.set _ZN2at6native12_GLOBAL__N_124RowwiseMomentsCUDAKernelIN3c104HalfEfLb1EEEvlT0_PKT_PS5_S9_.has_indirect_call, 0
	.section	.AMDGPU.csdata,"",@progbits
; Kernel info:
; codeLenInByte = 3452
; TotalNumSgprs: 19
; NumVgprs: 19
; ScratchSize: 0
; MemoryBound: 0
; FloatMode: 240
; IeeeMode: 1
; LDSByteSize: 768 bytes/workgroup (compile time only)
; SGPRBlocks: 0
; VGPRBlocks: 1
; NumSGPRsForWavesPerEU: 19
; NumVGPRsForWavesPerEU: 19
; NamedBarCnt: 0
; Occupancy: 16
; WaveLimiterHint : 0
; COMPUTE_PGM_RSRC2:SCRATCH_EN: 0
; COMPUTE_PGM_RSRC2:USER_SGPR: 2
; COMPUTE_PGM_RSRC2:TRAP_HANDLER: 0
; COMPUTE_PGM_RSRC2:TGID_X_EN: 1
; COMPUTE_PGM_RSRC2:TGID_Y_EN: 0
; COMPUTE_PGM_RSRC2:TGID_Z_EN: 0
; COMPUTE_PGM_RSRC2:TIDIG_COMP_CNT: 0
	.section	.text._ZN2at6native12_GLOBAL__N_126LayerNormForwardCUDAKernelIN3c104HalfEfLb1EEEvlPKT_PKT0_SA_S7_S7_PS5_,"axG",@progbits,_ZN2at6native12_GLOBAL__N_126LayerNormForwardCUDAKernelIN3c104HalfEfLb1EEEvlPKT_PKT0_SA_S7_S7_PS5_,comdat
	.globl	_ZN2at6native12_GLOBAL__N_126LayerNormForwardCUDAKernelIN3c104HalfEfLb1EEEvlPKT_PKT0_SA_S7_S7_PS5_ ; -- Begin function _ZN2at6native12_GLOBAL__N_126LayerNormForwardCUDAKernelIN3c104HalfEfLb1EEEvlPKT_PKT0_SA_S7_S7_PS5_
	.p2align	8
	.type	_ZN2at6native12_GLOBAL__N_126LayerNormForwardCUDAKernelIN3c104HalfEfLb1EEEvlPKT_PKT0_SA_S7_S7_PS5_,@function
_ZN2at6native12_GLOBAL__N_126LayerNormForwardCUDAKernelIN3c104HalfEfLb1EEEvlPKT_PKT0_SA_S7_S7_PS5_: ; @_ZN2at6native12_GLOBAL__N_126LayerNormForwardCUDAKernelIN3c104HalfEfLb1EEEvlPKT_PKT0_SA_S7_S7_PS5_
; %bb.0:
	s_load_b128 s[4:7], s[0:1], 0x0
	v_mov_b32_e32 v1, 0
	s_mov_b32 s2, exec_lo
	s_wait_kmcnt 0x0
	s_delay_alu instid0(VALU_DEP_1)
	v_cmpx_gt_i64_e64 s[4:5], v[0:1]
	s_cbranch_execz .LBB20_6
; %bb.1:
	s_clause 0x1
	s_load_b128 s[8:11], s[0:1], 0x18
	s_load_b64 s[14:15], s[0:1], 0x30
	s_bfe_u32 s2, ttmp6, 0x4000c
	s_and_b32 s12, ttmp6, 15
	s_add_co_i32 s2, s2, 1
	s_getreg_b32 s13, hwreg(HW_REG_IB_STS2, 6, 4)
	s_mul_i32 s2, ttmp9, s2
	s_load_b32 s3, s[0:1], 0x44
	s_add_co_i32 s12, s12, s2
	s_cmp_eq_u32 s13, 0
	s_wait_xcnt 0x0
	s_mov_b32 s1, 0
	s_cselect_b32 s0, ttmp9, s12
	v_dual_mov_b32 v3, v1 :: v_dual_lshlrev_b32 v2, 1, v0
	s_wait_kmcnt 0x0
	s_load_b32 s12, s[8:9], s0 offset:0x0 scale_offset
	s_cmp_lg_u64 s[10:11], 0
	s_wait_xcnt 0x0
	s_mul_u64 s[8:9], s[4:5], s[0:1]
	s_cselect_b32 s13, -1, 0
	s_lshl_b64 s[8:9], s[8:9], 1
	s_delay_alu instid0(SALU_CYCLE_1)
	s_add_nc_u64 s[6:7], s[6:7], s[8:9]
	s_and_b32 s2, s3, 0xffff
	s_mov_b32 s3, s1
	s_lshl_b32 s0, s2, 1
	s_add_nc_u64 s[8:9], s[14:15], s[8:9]
	s_mov_b32 s14, s1
	s_branch .LBB20_4
.LBB20_2:                               ;   in Loop: Header=BB20_4 Depth=1
	v_add_nc_u64_e32 v[4:5], s[10:11], v[2:3]
	global_load_u16 v4, v[4:5], off
	s_wait_loadcnt 0x0
	s_wait_xcnt 0x0
	v_cvt_f32_f16_e32 v4, v4
.LBB20_3:                               ;   in Loop: Header=BB20_4 Depth=1
	v_add_nc_u64_e32 v[6:7], s[6:7], v[2:3]
	v_add_nc_u64_e32 v[0:1], s[2:3], v[0:1]
	global_load_u16 v5, v[6:7], off
	v_cmp_le_i64_e32 vcc_lo, s[4:5], v[0:1]
	s_wait_xcnt 0x0
	v_add_nc_u64_e32 v[6:7], s[8:9], v[2:3]
	v_add_nc_u64_e32 v[2:3], s[0:1], v[2:3]
	s_or_b32 s14, vcc_lo, s14
	s_wait_loadcnt 0x0
	v_cvt_f32_f16_e32 v5, v5
	s_wait_kmcnt 0x0
	s_delay_alu instid0(VALU_DEP_1) | instskip(NEXT) | instid1(VALU_DEP_1)
	v_mul_f32_e32 v5, s12, v5
	v_fma_mixlo_f16 v4, v4, v5, 0
	global_store_b16 v[6:7], v4, off
	s_wait_xcnt 0x0
	s_and_not1_b32 exec_lo, exec_lo, s14
	s_cbranch_execz .LBB20_6
.LBB20_4:                               ; =>This Inner Loop Header: Depth=1
	s_and_not1_b32 vcc_lo, exec_lo, s13
	s_cbranch_vccz .LBB20_2
; %bb.5:                                ;   in Loop: Header=BB20_4 Depth=1
	v_mov_b32_e32 v4, 1.0
	s_branch .LBB20_3
.LBB20_6:
	s_endpgm
	.section	.rodata,"a",@progbits
	.p2align	6, 0x0
	.amdhsa_kernel _ZN2at6native12_GLOBAL__N_126LayerNormForwardCUDAKernelIN3c104HalfEfLb1EEEvlPKT_PKT0_SA_S7_S7_PS5_
		.amdhsa_group_segment_fixed_size 0
		.amdhsa_private_segment_fixed_size 0
		.amdhsa_kernarg_size 312
		.amdhsa_user_sgpr_count 2
		.amdhsa_user_sgpr_dispatch_ptr 0
		.amdhsa_user_sgpr_queue_ptr 0
		.amdhsa_user_sgpr_kernarg_segment_ptr 1
		.amdhsa_user_sgpr_dispatch_id 0
		.amdhsa_user_sgpr_kernarg_preload_length 0
		.amdhsa_user_sgpr_kernarg_preload_offset 0
		.amdhsa_user_sgpr_private_segment_size 0
		.amdhsa_wavefront_size32 1
		.amdhsa_uses_dynamic_stack 0
		.amdhsa_enable_private_segment 0
		.amdhsa_system_sgpr_workgroup_id_x 1
		.amdhsa_system_sgpr_workgroup_id_y 0
		.amdhsa_system_sgpr_workgroup_id_z 0
		.amdhsa_system_sgpr_workgroup_info 0
		.amdhsa_system_vgpr_workitem_id 0
		.amdhsa_next_free_vgpr 8
		.amdhsa_next_free_sgpr 16
		.amdhsa_named_barrier_count 0
		.amdhsa_reserve_vcc 1
		.amdhsa_float_round_mode_32 0
		.amdhsa_float_round_mode_16_64 0
		.amdhsa_float_denorm_mode_32 3
		.amdhsa_float_denorm_mode_16_64 3
		.amdhsa_fp16_overflow 0
		.amdhsa_memory_ordered 1
		.amdhsa_forward_progress 1
		.amdhsa_inst_pref_size 3
		.amdhsa_round_robin_scheduling 0
		.amdhsa_exception_fp_ieee_invalid_op 0
		.amdhsa_exception_fp_denorm_src 0
		.amdhsa_exception_fp_ieee_div_zero 0
		.amdhsa_exception_fp_ieee_overflow 0
		.amdhsa_exception_fp_ieee_underflow 0
		.amdhsa_exception_fp_ieee_inexact 0
		.amdhsa_exception_int_div_zero 0
	.end_amdhsa_kernel
	.section	.text._ZN2at6native12_GLOBAL__N_126LayerNormForwardCUDAKernelIN3c104HalfEfLb1EEEvlPKT_PKT0_SA_S7_S7_PS5_,"axG",@progbits,_ZN2at6native12_GLOBAL__N_126LayerNormForwardCUDAKernelIN3c104HalfEfLb1EEEvlPKT_PKT0_SA_S7_S7_PS5_,comdat
.Lfunc_end20:
	.size	_ZN2at6native12_GLOBAL__N_126LayerNormForwardCUDAKernelIN3c104HalfEfLb1EEEvlPKT_PKT0_SA_S7_S7_PS5_, .Lfunc_end20-_ZN2at6native12_GLOBAL__N_126LayerNormForwardCUDAKernelIN3c104HalfEfLb1EEEvlPKT_PKT0_SA_S7_S7_PS5_
                                        ; -- End function
	.set _ZN2at6native12_GLOBAL__N_126LayerNormForwardCUDAKernelIN3c104HalfEfLb1EEEvlPKT_PKT0_SA_S7_S7_PS5_.num_vgpr, 8
	.set _ZN2at6native12_GLOBAL__N_126LayerNormForwardCUDAKernelIN3c104HalfEfLb1EEEvlPKT_PKT0_SA_S7_S7_PS5_.num_agpr, 0
	.set _ZN2at6native12_GLOBAL__N_126LayerNormForwardCUDAKernelIN3c104HalfEfLb1EEEvlPKT_PKT0_SA_S7_S7_PS5_.numbered_sgpr, 16
	.set _ZN2at6native12_GLOBAL__N_126LayerNormForwardCUDAKernelIN3c104HalfEfLb1EEEvlPKT_PKT0_SA_S7_S7_PS5_.num_named_barrier, 0
	.set _ZN2at6native12_GLOBAL__N_126LayerNormForwardCUDAKernelIN3c104HalfEfLb1EEEvlPKT_PKT0_SA_S7_S7_PS5_.private_seg_size, 0
	.set _ZN2at6native12_GLOBAL__N_126LayerNormForwardCUDAKernelIN3c104HalfEfLb1EEEvlPKT_PKT0_SA_S7_S7_PS5_.uses_vcc, 1
	.set _ZN2at6native12_GLOBAL__N_126LayerNormForwardCUDAKernelIN3c104HalfEfLb1EEEvlPKT_PKT0_SA_S7_S7_PS5_.uses_flat_scratch, 0
	.set _ZN2at6native12_GLOBAL__N_126LayerNormForwardCUDAKernelIN3c104HalfEfLb1EEEvlPKT_PKT0_SA_S7_S7_PS5_.has_dyn_sized_stack, 0
	.set _ZN2at6native12_GLOBAL__N_126LayerNormForwardCUDAKernelIN3c104HalfEfLb1EEEvlPKT_PKT0_SA_S7_S7_PS5_.has_recursion, 0
	.set _ZN2at6native12_GLOBAL__N_126LayerNormForwardCUDAKernelIN3c104HalfEfLb1EEEvlPKT_PKT0_SA_S7_S7_PS5_.has_indirect_call, 0
	.section	.AMDGPU.csdata,"",@progbits
; Kernel info:
; codeLenInByte = 324
; TotalNumSgprs: 18
; NumVgprs: 8
; ScratchSize: 0
; MemoryBound: 0
; FloatMode: 240
; IeeeMode: 1
; LDSByteSize: 0 bytes/workgroup (compile time only)
; SGPRBlocks: 0
; VGPRBlocks: 0
; NumSGPRsForWavesPerEU: 18
; NumVGPRsForWavesPerEU: 8
; NamedBarCnt: 0
; Occupancy: 16
; WaveLimiterHint : 0
; COMPUTE_PGM_RSRC2:SCRATCH_EN: 0
; COMPUTE_PGM_RSRC2:USER_SGPR: 2
; COMPUTE_PGM_RSRC2:TRAP_HANDLER: 0
; COMPUTE_PGM_RSRC2:TGID_X_EN: 1
; COMPUTE_PGM_RSRC2:TGID_Y_EN: 0
; COMPUTE_PGM_RSRC2:TGID_Z_EN: 0
; COMPUTE_PGM_RSRC2:TIDIG_COMP_CNT: 0
	.section	.text._ZN2at6native12_GLOBAL__N_128vectorized_layer_norm_kernelIN3c108BFloat16EfLb1EEEviT0_PKT_S8_S8_PS5_S9_PS6_,"axG",@progbits,_ZN2at6native12_GLOBAL__N_128vectorized_layer_norm_kernelIN3c108BFloat16EfLb1EEEviT0_PKT_S8_S8_PS5_S9_PS6_,comdat
	.globl	_ZN2at6native12_GLOBAL__N_128vectorized_layer_norm_kernelIN3c108BFloat16EfLb1EEEviT0_PKT_S8_S8_PS5_S9_PS6_ ; -- Begin function _ZN2at6native12_GLOBAL__N_128vectorized_layer_norm_kernelIN3c108BFloat16EfLb1EEEviT0_PKT_S8_S8_PS5_S9_PS6_
	.p2align	8
	.type	_ZN2at6native12_GLOBAL__N_128vectorized_layer_norm_kernelIN3c108BFloat16EfLb1EEEviT0_PKT_S8_S8_PS5_S9_PS6_,@function
_ZN2at6native12_GLOBAL__N_128vectorized_layer_norm_kernelIN3c108BFloat16EfLb1EEEviT0_PKT_S8_S8_PS5_S9_PS6_: ; @_ZN2at6native12_GLOBAL__N_128vectorized_layer_norm_kernelIN3c108BFloat16EfLb1EEEviT0_PKT_S8_S8_PS5_S9_PS6_
; %bb.0:
	s_clause 0x1
	s_load_b32 s3, s[0:1], 0x44
	s_load_b128 s[8:11], s[0:1], 0x0
	s_bfe_u32 s2, ttmp6, 0x4000c
	s_and_b32 s4, ttmp6, 15
	s_add_co_i32 s2, s2, 1
	s_getreg_b32 s5, hwreg(HW_REG_IB_STS2, 6, 4)
	s_mul_i32 s2, ttmp9, s2
	v_bfe_u32 v4, v0, 10, 10
	s_add_co_i32 s4, s4, s2
	s_cmp_eq_u32 s5, 0
	v_and_b32_e32 v5, 0x3ff, v0
	s_cselect_b32 s12, ttmp9, s4
	v_mov_b32_e32 v1, 0
	s_mov_b32 s13, 0
	s_wait_kmcnt 0x0
	s_and_b32 s7, s3, 0xffff
	s_ashr_i32 s5, s8, 31
	v_mul_u32_u24_e32 v0, s7, v4
	s_lshr_b32 s2, s5, 30
	v_mad_u32_u24 v14, v4, s7, v5
	s_add_co_i32 s2, s8, s2
	s_mov_b32 s4, s8
	s_ashr_i32 s18, s2, 2
	v_add_lshl_u32 v0, v0, v5, 3
	v_cmp_gt_i32_e64 s2, s18, v14
	s_lshr_b32 s6, s3, 16
	s_mul_u64 s[16:17], s[4:5], s[12:13]
	s_mul_i32 s14, s6, s7
	s_and_saveexec_b32 s3, s2
	s_cbranch_execz .LBB21_4
; %bb.1:
	v_dual_mov_b32 v1, 0 :: v_dual_mov_b32 v6, v14
	s_lshl_b64 s[4:5], s[16:17], 1
	s_ashr_i32 s15, s14, 31
	s_add_nc_u64 s[4:5], s[10:11], s[4:5]
	s_mov_b32 s7, s13
	v_add_nc_u64_e32 v[2:3], s[4:5], v[0:1]
	s_lshl_b64 s[4:5], s[14:15], 3
.LBB21_2:                               ; =>This Inner Loop Header: Depth=1
	global_load_b64 v[8:9], v[2:3], off
	v_add_nc_u32_e32 v6, s14, v6
	s_wait_xcnt 0x0
	v_add_nc_u64_e32 v[2:3], s[4:5], v[2:3]
	s_delay_alu instid0(VALU_DEP_2) | instskip(SKIP_4) | instid1(VALU_DEP_2)
	v_cmp_le_i32_e32 vcc_lo, s18, v6
	s_or_b32 s7, vcc_lo, s7
	s_wait_loadcnt 0x0
	v_fma_mix_f32_bf16 v1, v8, v8, v1 op_sel_hi:[1,1,0]
	v_alignbit_b32 v7, v9, v8, 16
	v_fma_mix_f32_bf16 v1, v8, v8, v1 op_sel:[1,1,0] op_sel_hi:[1,1,0]
	s_delay_alu instid0(VALU_DEP_1) | instskip(NEXT) | instid1(VALU_DEP_1)
	v_fma_mix_f32_bf16 v1, v7, v7, v1 op_sel:[1,1,0] op_sel_hi:[1,1,0]
	v_fma_mix_f32_bf16 v1, v9, v9, v1 op_sel:[1,1,0] op_sel_hi:[1,1,0]
	s_and_not1_b32 exec_lo, exec_lo, s7
	s_cbranch_execnz .LBB21_2
; %bb.3:
	s_or_b32 exec_lo, exec_lo, s7
.LBB21_4:
	s_delay_alu instid0(SALU_CYCLE_1) | instskip(SKIP_3) | instid1(VALU_DEP_1)
	s_or_b32 exec_lo, exec_lo, s3
	v_mbcnt_lo_u32_b32 v2, -1, 0
	s_cmp_lt_u32 s6, 2
	s_mov_b32 s3, -1
	v_lshlrev_b32_e32 v3, 2, v2
	v_cmp_gt_u32_e32 vcc_lo, 24, v2
	s_delay_alu instid0(VALU_DEP_2)
	v_or_b32_e32 v3, 64, v3
	v_cndmask_b32_e64 v6, 0, 8, vcc_lo
	v_cmp_gt_u32_e32 vcc_lo, 28, v2
	ds_bpermute_b32 v3, v3, v1
	v_add_lshl_u32 v6, v6, v2, 2
	s_wait_dscnt 0x0
	v_add_f32_e32 v1, v1, v3
	ds_bpermute_b32 v3, v6, v1
	v_cndmask_b32_e64 v6, 0, 4, vcc_lo
	v_cmp_gt_u32_e32 vcc_lo, 30, v2
	s_delay_alu instid0(VALU_DEP_2)
	v_add_lshl_u32 v6, v6, v2, 2
	s_wait_dscnt 0x0
	v_add_f32_e32 v1, v1, v3
	ds_bpermute_b32 v3, v6, v1
	v_cndmask_b32_e64 v6, 0, 2, vcc_lo
	v_cmp_ne_u32_e32 vcc_lo, 31, v2
	s_delay_alu instid0(VALU_DEP_2) | instskip(SKIP_2) | instid1(VALU_DEP_1)
	v_add_lshl_u32 v6, v6, v2, 2
	v_add_co_ci_u32_e64 v2, null, 0, v2, vcc_lo
	s_wait_dscnt 0x0
	v_dual_add_f32 v1, v1, v3 :: v_dual_lshlrev_b32 v2, 2, v2
	ds_bpermute_b32 v3, v6, v1
	s_wait_dscnt 0x0
	v_add_f32_e32 v1, v1, v3
                                        ; implicit-def: $vgpr3
	ds_bpermute_b32 v2, v2, v1
	s_wait_dscnt 0x0
	v_add_f32_e32 v1, v1, v2
	s_cbranch_scc0 .LBB21_6
; %bb.5:
	v_mov_b32_e32 v2, 0
	s_cvt_f32_i32 s3, s8
	ds_bpermute_b32 v2, v2, v1
	s_wait_dscnt 0x0
	v_div_scale_f32 v3, null, s3, s3, v2
	s_delay_alu instid0(VALU_DEP_1) | instskip(SKIP_1) | instid1(TRANS32_DEP_1)
	v_rcp_f32_e32 v6, v3
	v_nop
	v_fma_f32 v7, -v3, v6, 1.0
	s_delay_alu instid0(VALU_DEP_1) | instskip(SKIP_1) | instid1(VALU_DEP_1)
	v_fmac_f32_e32 v6, v7, v6
	v_div_scale_f32 v7, vcc_lo, v2, s3, v2
	v_mul_f32_e32 v8, v7, v6
	s_delay_alu instid0(VALU_DEP_1) | instskip(NEXT) | instid1(VALU_DEP_1)
	v_fma_f32 v9, -v3, v8, v7
	v_fmac_f32_e32 v8, v9, v6
	s_delay_alu instid0(VALU_DEP_1) | instskip(NEXT) | instid1(VALU_DEP_1)
	v_fma_f32 v3, -v3, v8, v7
	v_div_fmas_f32 v3, v3, v6, v8
	s_delay_alu instid0(VALU_DEP_1)
	v_div_fixup_f32 v3, v3, s3, v2
	s_mov_b32 s3, 0
.LBB21_6:
	v_mov_b32_e32 v2, 0
	s_and_not1_b32 vcc_lo, exec_lo, s3
	s_cbranch_vccnz .LBB21_17
; %bb.7:
	v_dual_mov_b32 v3, 0 :: v_dual_lshlrev_b32 v2, 3, v4
	s_lshl_b32 s3, s6, 2
	v_cmp_eq_u32_e32 vcc_lo, 0, v5
	s_add_co_i32 s5, s3, 0
	s_delay_alu instid0(VALU_DEP_2)
	v_add_nc_u32_e32 v2, 0, v2
.LBB21_8:                               ; =>This Inner Loop Header: Depth=1
	s_lshr_b32 s7, s6, 1
	s_and_b32 s4, s6, 0xfffe
	v_cmp_le_u32_e64 s3, s7, v4
	v_cmp_gt_u32_e64 s4, s4, v4
	s_and_b32 s3, vcc_lo, s3
	s_delay_alu instid0(SALU_CYCLE_1) | instskip(NEXT) | instid1(SALU_CYCLE_1)
	s_and_b32 s4, s3, s4
	s_and_saveexec_b32 s3, s4
	s_cbranch_execz .LBB21_10
; %bb.9:                                ;   in Loop: Header=BB21_8 Depth=1
	v_subrev_nc_u32_e32 v6, s7, v4
	s_delay_alu instid0(VALU_DEP_1)
	v_lshl_add_u32 v7, v6, 3, 0
	v_lshl_add_u32 v6, v6, 2, s5
	ds_store_2addr_b32 v7, v3, v1 offset1:1
	ds_store_b32 v6, v3
.LBB21_10:                              ;   in Loop: Header=BB21_8 Depth=1
	s_or_b32 exec_lo, exec_lo, s3
	v_cmp_gt_u32_e64 s3, s7, v4
	s_wait_dscnt 0x0
	s_barrier_signal -1
	s_barrier_wait -1
	s_and_b32 s4, vcc_lo, s3
	s_delay_alu instid0(SALU_CYCLE_1)
	s_and_saveexec_b32 s3, s4
	s_cbranch_execz .LBB21_12
; %bb.11:                               ;   in Loop: Header=BB21_8 Depth=1
	ds_load_b32 v6, v2 offset:4
	s_wait_dscnt 0x0
	v_add_f32_e32 v1, v1, v6
.LBB21_12:                              ;   in Loop: Header=BB21_8 Depth=1
	s_or_b32 exec_lo, exec_lo, s3
	s_cmp_lt_u32 s6, 4
	s_barrier_signal -1
	s_barrier_wait -1
	s_cbranch_scc1 .LBB21_14
; %bb.13:                               ;   in Loop: Header=BB21_8 Depth=1
	s_mov_b32 s6, s7
	s_branch .LBB21_8
.LBB21_14:
	v_or_b32_e32 v2, v5, v4
	s_mov_b32 s3, exec_lo
	s_delay_alu instid0(VALU_DEP_1)
	v_cmpx_eq_u32_e32 0, v2
	s_cbranch_execz .LBB21_16
; %bb.15:
	s_cvt_f32_i32 s4, s8
	s_delay_alu instid0(SALU_CYCLE_3) | instskip(SKIP_1) | instid1(VALU_DEP_2)
	v_div_scale_f32 v2, null, s4, s4, v1
	v_div_scale_f32 v5, vcc_lo, v1, s4, v1
	v_rcp_f32_e32 v3, v2
	v_nop
	s_delay_alu instid0(TRANS32_DEP_1) | instskip(NEXT) | instid1(VALU_DEP_1)
	v_fma_f32 v4, -v2, v3, 1.0
	v_fmac_f32_e32 v3, v4, v3
	s_delay_alu instid0(VALU_DEP_1) | instskip(NEXT) | instid1(VALU_DEP_1)
	v_mul_f32_e32 v4, v5, v3
	v_fma_f32 v6, -v2, v4, v5
	s_delay_alu instid0(VALU_DEP_1) | instskip(NEXT) | instid1(VALU_DEP_1)
	v_fmac_f32_e32 v4, v6, v3
	v_fma_f32 v2, -v2, v4, v5
	s_delay_alu instid0(VALU_DEP_1) | instskip(NEXT) | instid1(VALU_DEP_1)
	v_div_fmas_f32 v2, v2, v3, v4
	v_div_fixup_f32 v1, v2, s4, v1
	v_mov_b32_e32 v2, 0
	ds_store_2addr_b32 v2, v2, v1 offset1:1
.LBB21_16:
	s_or_b32 exec_lo, exec_lo, s3
	v_mov_b32_e32 v1, 0
	s_wait_dscnt 0x0
	s_barrier_signal -1
	s_barrier_wait -1
	ds_load_2addr_b32 v[2:3], v1 offset1:1
.LBB21_17:
	s_wait_dscnt 0x0
	v_add_f32_e32 v1, s9, v3
	s_load_b128 s[4:7], s[0:1], 0x28
	s_delay_alu instid0(VALU_DEP_1) | instskip(SKIP_1) | instid1(VALU_DEP_2)
	v_mul_f32_e32 v3, 0x4b800000, v1
	v_cmp_gt_f32_e32 vcc_lo, 0x800000, v1
	v_cndmask_b32_e32 v1, v1, v3, vcc_lo
	s_delay_alu instid0(VALU_DEP_1) | instskip(SKIP_1) | instid1(TRANS32_DEP_1)
	v_rsq_f32_e32 v1, v1
	v_nop
	v_mul_f32_e32 v3, 0x45800000, v1
	s_delay_alu instid0(VALU_DEP_1)
	v_cndmask_b32_e32 v4, v1, v3, vcc_lo
	s_and_saveexec_b32 s19, s2
	s_cbranch_execz .LBB21_32
; %bb.18:
	s_wait_xcnt 0x0
	s_load_b128 s[0:3], s[0:1], 0x10
	v_dual_mov_b32 v7, 0 :: v_dual_mov_b32 v15, v14
	v_dual_mov_b32 v5, v4 :: v_dual_mov_b32 v3, v2
	s_delay_alu instid0(VALU_DEP_2)
	v_mov_b32_e32 v1, v7
	s_wait_kmcnt 0x0
	s_cmp_eq_u64 s[0:1], 0
	s_cselect_b32 s20, -1, 0
	s_cmp_eq_u64 s[2:3], 0
	s_cselect_b32 s21, -1, 0
	s_lshl_b64 s[8:9], s[16:17], 1
	v_cndmask_b32_e64 v16, 0, 1, s21
	s_ashr_i32 s15, s14, 31
	s_add_nc_u64 s[6:7], s[6:7], s[8:9]
	s_add_nc_u64 s[8:9], s[10:11], s[8:9]
	s_or_b32 s16, s20, s21
	s_lshl_b64 s[10:11], s[14:15], 3
	s_mov_b32 s15, 0
	s_branch .LBB21_20
.LBB21_19:                              ;   in Loop: Header=BB21_20 Depth=1
	s_wait_xcnt 0x0
	s_delay_alu instid0(VALU_DEP_1)
	v_bfe_u32 v8, v11, 16, 1
	v_and_b32_e32 v9, 0xffff, v13
	v_cmp_o_f32_e32 vcc_lo, v11, v11
	v_add_nc_u32_e32 v15, s14, v15
	v_lshl_or_b32 v10, v12, 16, v6
	v_add3_u32 v8, v11, v8, 0x7fff
	v_or_b32_e32 v13, v7, v9
	s_add_nc_u64 s[8:9], s[8:9], s[10:11]
	s_add_nc_u64 s[0:1], s[0:1], s[10:11]
	;; [unrolled: 1-line block ×3, first 2 shown]
	v_and_b32_e32 v8, 0xffff0000, v8
	s_delay_alu instid0(VALU_DEP_1) | instskip(SKIP_3) | instid1(VALU_DEP_3)
	v_cndmask_b32_e32 v11, 0x7fc00000, v8, vcc_lo
	v_add_nc_u64_e32 v[8:9], s[6:7], v[0:1]
	v_cmp_le_i32_e32 vcc_lo, s18, v15
	s_add_nc_u64 s[6:7], s[6:7], s[10:11]
	v_or_b32_e32 v11, v13, v11
	s_or_b32 s15, vcc_lo, s15
	global_store_b64 v[8:9], v[10:11], off
	s_wait_xcnt 0x0
	s_and_not1_b32 exec_lo, exec_lo, s15
	s_cbranch_execz .LBB21_32
.LBB21_20:                              ; =>This Inner Loop Header: Depth=1
	v_add_nc_u64_e32 v[8:9], s[8:9], v[0:1]
	s_and_b32 vcc_lo, exec_lo, s16
	s_mov_b32 s17, -1
                                        ; implicit-def: $vgpr12_vgpr13
                                        ; implicit-def: $vgpr6
	global_load_b64 v[8:9], v[8:9], off
	s_wait_loadcnt 0x0
	v_lshrrev_b64 v[10:11], 16, v[8:9]
                                        ; implicit-def: $vgpr11
	s_cbranch_vccz .LBB21_30
; %bb.21:                               ;   in Loop: Header=BB21_20 Depth=1
	s_and_b32 vcc_lo, exec_lo, s20
                                        ; implicit-def: $vgpr12_vgpr13
                                        ; implicit-def: $vgpr11
                                        ; implicit-def: $vgpr6
	s_cbranch_vccz .LBB21_27
; %bb.22:                               ;   in Loop: Header=BB21_20 Depth=1
	v_cmp_ne_u32_e32 vcc_lo, 1, v16
                                        ; implicit-def: $vgpr12_vgpr13
                                        ; implicit-def: $vgpr11
                                        ; implicit-def: $vgpr6
	s_cbranch_vccnz .LBB21_24
; %bb.23:                               ;   in Loop: Header=BB21_20 Depth=1
	s_delay_alu instid0(VALU_DEP_2) | instskip(SKIP_2) | instid1(VALU_DEP_2)
	v_dual_lshlrev_b32 v13, 16, v9 :: v_dual_lshlrev_b32 v12, 16, v10
	v_and_b32_e32 v19, 0xffff0000, v9
	s_mov_b32 s17, 0
	v_pk_mul_f32 v[12:13], v[4:5], v[12:13]
	s_delay_alu instid0(VALU_DEP_1) | instskip(NEXT) | instid1(VALU_DEP_1)
	v_dual_lshlrev_b32 v6, 16, v8 :: v_dual_lshrrev_b32 v11, 16, v13
	v_dual_mul_f32 v6, v4, v6 :: v_dual_lshrrev_b32 v17, 16, v12
	s_delay_alu instid0(VALU_DEP_1) | instskip(SKIP_1) | instid1(VALU_DEP_2)
	v_bfe_u32 v18, v6, 16, 1
	v_cmp_o_f32_e32 vcc_lo, v6, v6
	v_add3_u32 v18, v6, v18, 0x7fff
	s_delay_alu instid0(VALU_DEP_1) | instskip(NEXT) | instid1(VALU_DEP_1)
	v_dual_lshrrev_b32 v18, 16, v18 :: v_dual_bitop2_b32 v11, 1, v11 bitop3:0x40
	v_add3_u32 v11, v13, v11, 0x7fff
	v_and_b32_e32 v17, 1, v17
	s_delay_alu instid0(VALU_DEP_2) | instskip(NEXT) | instid1(VALU_DEP_2)
	v_dual_cndmask_b32 v6, 0x7fc0, v18 :: v_dual_lshrrev_b32 v11, 16, v11
	v_add3_u32 v17, v12, v17, 0x7fff
	v_cmp_o_f32_e32 vcc_lo, v13, v13
	s_delay_alu instid0(VALU_DEP_2) | instskip(NEXT) | instid1(VALU_DEP_4)
	v_lshrrev_b32_e32 v17, 16, v17
	v_cndmask_b32_e32 v13, 0x7fc0, v11, vcc_lo
	v_cmp_o_f32_e32 vcc_lo, v12, v12
	s_delay_alu instid0(VALU_DEP_3)
	v_dual_mul_f32 v11, v4, v19 :: v_dual_cndmask_b32 v12, 0x7fc0, v17
.LBB21_24:                              ;   in Loop: Header=BB21_20 Depth=1
	s_and_not1_b32 vcc_lo, exec_lo, s17
	s_cbranch_vccnz .LBB21_26
; %bb.25:                               ;   in Loop: Header=BB21_20 Depth=1
	v_add_nc_u64_e32 v[12:13], s[2:3], v[0:1]
	global_load_b64 v[18:19], v[12:13], off
	s_wait_xcnt 0x0
	v_dual_lshlrev_b32 v13, 16, v9 :: v_dual_lshlrev_b32 v12, 16, v10
	v_lshlrev_b32_e32 v6, 16, v8
	s_delay_alu instid0(VALU_DEP_2) | instskip(SKIP_3) | instid1(VALU_DEP_1)
	v_pk_add_f32 v[12:13], v[12:13], v[2:3] neg_lo:[0,1] neg_hi:[0,1]
	s_wait_loadcnt 0x0
	v_lshlrev_b32_e32 v21, 16, v19
	v_and_b32_e32 v20, 0xffff0000, v18
	v_pk_fma_f32 v[12:13], v[4:5], v[12:13], v[20:21]
	v_sub_f32_e32 v6, v6, v2
	v_and_b32_e32 v20, 0xffff0000, v9
	s_delay_alu instid0(VALU_DEP_3) | instskip(NEXT) | instid1(VALU_DEP_3)
	v_lshrrev_b32_e32 v11, 16, v13
	v_fma_mix_f32_bf16 v6, v4, v6, v18 op_sel_hi:[0,0,1]
	s_delay_alu instid0(VALU_DEP_2) | instskip(NEXT) | instid1(VALU_DEP_2)
	v_dual_lshrrev_b32 v17, 16, v12 :: v_dual_bitop2_b32 v11, 1, v11 bitop3:0x40
	v_bfe_u32 v18, v6, 16, 1
	v_cmp_o_f32_e32 vcc_lo, v6, v6
	s_delay_alu instid0(VALU_DEP_3) | instskip(NEXT) | instid1(VALU_DEP_3)
	v_add3_u32 v11, v13, v11, 0x7fff
	v_add3_u32 v18, v6, v18, 0x7fff
	v_dual_sub_f32 v20, v20, v2 :: v_dual_bitop2_b32 v17, 1, v17 bitop3:0x40
	s_delay_alu instid0(VALU_DEP_2) | instskip(NEXT) | instid1(VALU_DEP_2)
	v_dual_lshrrev_b32 v11, 16, v11 :: v_dual_lshrrev_b32 v18, 16, v18
	v_add3_u32 v17, v12, v17, 0x7fff
	s_delay_alu instid0(VALU_DEP_1) | instskip(SKIP_1) | instid1(VALU_DEP_4)
	v_dual_cndmask_b32 v6, 0x7fc0, v18 :: v_dual_lshrrev_b32 v17, 16, v17
	v_cmp_o_f32_e32 vcc_lo, v13, v13
	v_cndmask_b32_e32 v13, 0x7fc0, v11, vcc_lo
	v_cmp_o_f32_e32 vcc_lo, v12, v12
	v_fma_mix_f32_bf16 v11, v4, v20, v19 op_sel:[0,0,1] op_sel_hi:[0,0,1]
	v_cndmask_b32_e32 v12, 0x7fc0, v17, vcc_lo
.LBB21_26:                              ;   in Loop: Header=BB21_20 Depth=1
	s_mov_b32 s17, 0
.LBB21_27:                              ;   in Loop: Header=BB21_20 Depth=1
	s_delay_alu instid0(SALU_CYCLE_1)
	s_and_not1_b32 vcc_lo, exec_lo, s17
	s_cbranch_vccnz .LBB21_29
; %bb.28:                               ;   in Loop: Header=BB21_20 Depth=1
	v_add_nc_u64_e32 v[12:13], s[0:1], v[0:1]
	v_dual_lshlrev_b32 v19, 16, v9 :: v_dual_lshlrev_b32 v18, 16, v10
	s_delay_alu instid0(VALU_DEP_1) | instskip(SKIP_4) | instid1(VALU_DEP_2)
	v_pk_mul_f32 v[18:19], v[4:5], v[18:19]
	global_load_b64 v[12:13], v[12:13], off
	s_wait_loadcnt 0x0
	v_dual_lshlrev_b32 v6, 16, v8 :: v_dual_lshlrev_b32 v21, 16, v13
	v_and_b32_e32 v20, 0xffff0000, v12
	v_dual_mul_f32 v6, v4, v6 :: v_dual_lshlrev_b32 v11, 16, v12
	s_delay_alu instid0(VALU_DEP_2) | instskip(SKIP_1) | instid1(VALU_DEP_3)
	v_pk_mul_f32 v[18:19], v[18:19], v[20:21]
	v_and_b32_e32 v20, 0xffff0000, v9
	v_mul_f32_e32 v6, v6, v11
	v_and_b32_e32 v21, 0xffff0000, v13
	s_wait_xcnt 0x0
	v_dual_lshrrev_b32 v12, 16, v18 :: v_dual_lshrrev_b32 v11, 16, v19
	s_delay_alu instid0(VALU_DEP_3) | instskip(SKIP_2) | instid1(VALU_DEP_4)
	v_bfe_u32 v17, v6, 16, 1
	v_mul_f32_e32 v20, v4, v20
	v_cmp_o_f32_e32 vcc_lo, v6, v6
	v_and_b32_e32 v12, 1, v12
	v_and_b32_e32 v11, 1, v11
	v_add3_u32 v17, v6, v17, 0x7fff
	s_delay_alu instid0(VALU_DEP_3) | instskip(NEXT) | instid1(VALU_DEP_3)
	v_add3_u32 v12, v18, v12, 0x7fff
	v_add3_u32 v11, v19, v11, 0x7fff
	s_delay_alu instid0(VALU_DEP_1) | instskip(NEXT) | instid1(VALU_DEP_1)
	v_dual_lshrrev_b32 v17, 16, v17 :: v_dual_lshrrev_b32 v11, 16, v11
	v_cndmask_b32_e32 v6, 0x7fc0, v17, vcc_lo
	v_cmp_o_f32_e32 vcc_lo, v19, v19
	s_delay_alu instid0(VALU_DEP_3) | instskip(SKIP_1) | instid1(VALU_DEP_2)
	v_dual_cndmask_b32 v13, 0x7fc0, v11 :: v_dual_lshrrev_b32 v12, 16, v12
	v_cmp_o_f32_e32 vcc_lo, v18, v18
	v_dual_mul_f32 v11, v20, v21 :: v_dual_cndmask_b32 v12, 0x7fc0, v12
.LBB21_29:                              ;   in Loop: Header=BB21_20 Depth=1
	s_mov_b32 s17, 0
.LBB21_30:                              ;   in Loop: Header=BB21_20 Depth=1
	s_delay_alu instid0(SALU_CYCLE_1)
	s_and_not1_b32 vcc_lo, exec_lo, s17
	s_cbranch_vccnz .LBB21_19
; %bb.31:                               ;   in Loop: Header=BB21_20 Depth=1
	v_add_nc_u64_e32 v[12:13], s[0:1], v[0:1]
	s_delay_alu instid0(VALU_DEP_2) | instskip(SKIP_2) | instid1(VALU_DEP_2)
	v_dual_lshlrev_b32 v11, 16, v9 :: v_dual_lshlrev_b32 v10, 16, v10
	s_wait_xcnt 0x0
	v_and_b32_e32 v9, 0xffff0000, v9
	v_pk_mul_f32 v[10:11], v[4:5], v[10:11]
	global_load_b64 v[12:13], v[12:13], off
	v_dual_mul_f32 v9, v4, v9 :: v_dual_lshlrev_b32 v6, 16, v8
	s_wait_loadcnt 0x0
	v_lshlrev_b32_e32 v19, 16, v13
	v_and_b32_e32 v18, 0xffff0000, v12
	s_delay_alu instid0(VALU_DEP_3) | instskip(NEXT) | instid1(VALU_DEP_2)
	v_dual_mul_f32 v6, v4, v6 :: v_dual_lshlrev_b32 v8, 16, v12
	v_pk_mul_f32 v[10:11], v[10:11], v[18:19]
	v_and_b32_e32 v18, 0xffff0000, v13
	s_delay_alu instid0(VALU_DEP_2) | instskip(SKIP_1) | instid1(VALU_DEP_3)
	v_dual_mul_f32 v6, v6, v8 :: v_dual_lshrrev_b32 v8, 16, v11
	s_wait_xcnt 0x0
	v_lshrrev_b32_e32 v12, 16, v10
	s_delay_alu instid0(VALU_DEP_2) | instskip(SKIP_2) | instid1(VALU_DEP_4)
	v_bfe_u32 v17, v6, 16, 1
	v_cmp_o_f32_e32 vcc_lo, v6, v6
	v_and_b32_e32 v8, 1, v8
	v_and_b32_e32 v12, 1, v12
	s_delay_alu instid0(VALU_DEP_4) | instskip(NEXT) | instid1(VALU_DEP_3)
	v_add3_u32 v17, v6, v17, 0x7fff
	v_add3_u32 v8, v11, v8, 0x7fff
	s_delay_alu instid0(VALU_DEP_3) | instskip(NEXT) | instid1(VALU_DEP_2)
	v_add3_u32 v12, v10, v12, 0x7fff
	v_dual_lshrrev_b32 v17, 16, v17 :: v_dual_lshrrev_b32 v8, 16, v8
	s_delay_alu instid0(VALU_DEP_2) | instskip(NEXT) | instid1(VALU_DEP_2)
	v_lshrrev_b32_e32 v12, 16, v12
	v_cndmask_b32_e32 v6, 0x7fc0, v17, vcc_lo
	v_cmp_o_f32_e32 vcc_lo, v11, v11
	v_mul_f32_e32 v11, v9, v18
	v_cndmask_b32_e32 v13, 0x7fc0, v8, vcc_lo
	v_cmp_o_f32_e32 vcc_lo, v10, v10
	v_cndmask_b32_e32 v12, 0x7fc0, v12, vcc_lo
	s_branch .LBB21_19
.LBB21_32:
	s_or_b32 exec_lo, exec_lo, s19
	s_wait_xcnt 0x0
	s_mov_b32 s0, exec_lo
	v_cmpx_eq_u32_e32 0, v14
	s_cbranch_execz .LBB21_34
; %bb.33:
	v_mov_b32_e32 v0, 0
	s_lshl_b64 s[0:1], s[12:13], 2
	s_wait_kmcnt 0x0
	s_add_nc_u64 s[0:1], s[4:5], s[0:1]
	global_store_b32 v0, v4, s[0:1]
.LBB21_34:
	s_endpgm
	.section	.rodata,"a",@progbits
	.p2align	6, 0x0
	.amdhsa_kernel _ZN2at6native12_GLOBAL__N_128vectorized_layer_norm_kernelIN3c108BFloat16EfLb1EEEviT0_PKT_S8_S8_PS5_S9_PS6_
		.amdhsa_group_segment_fixed_size 0
		.amdhsa_private_segment_fixed_size 0
		.amdhsa_kernarg_size 312
		.amdhsa_user_sgpr_count 2
		.amdhsa_user_sgpr_dispatch_ptr 0
		.amdhsa_user_sgpr_queue_ptr 0
		.amdhsa_user_sgpr_kernarg_segment_ptr 1
		.amdhsa_user_sgpr_dispatch_id 0
		.amdhsa_user_sgpr_kernarg_preload_length 0
		.amdhsa_user_sgpr_kernarg_preload_offset 0
		.amdhsa_user_sgpr_private_segment_size 0
		.amdhsa_wavefront_size32 1
		.amdhsa_uses_dynamic_stack 0
		.amdhsa_enable_private_segment 0
		.amdhsa_system_sgpr_workgroup_id_x 1
		.amdhsa_system_sgpr_workgroup_id_y 0
		.amdhsa_system_sgpr_workgroup_id_z 0
		.amdhsa_system_sgpr_workgroup_info 0
		.amdhsa_system_vgpr_workitem_id 1
		.amdhsa_next_free_vgpr 22
		.amdhsa_next_free_sgpr 22
		.amdhsa_named_barrier_count 0
		.amdhsa_reserve_vcc 1
		.amdhsa_float_round_mode_32 0
		.amdhsa_float_round_mode_16_64 0
		.amdhsa_float_denorm_mode_32 3
		.amdhsa_float_denorm_mode_16_64 3
		.amdhsa_fp16_overflow 0
		.amdhsa_memory_ordered 1
		.amdhsa_forward_progress 1
		.amdhsa_inst_pref_size 19
		.amdhsa_round_robin_scheduling 0
		.amdhsa_exception_fp_ieee_invalid_op 0
		.amdhsa_exception_fp_denorm_src 0
		.amdhsa_exception_fp_ieee_div_zero 0
		.amdhsa_exception_fp_ieee_overflow 0
		.amdhsa_exception_fp_ieee_underflow 0
		.amdhsa_exception_fp_ieee_inexact 0
		.amdhsa_exception_int_div_zero 0
	.end_amdhsa_kernel
	.section	.text._ZN2at6native12_GLOBAL__N_128vectorized_layer_norm_kernelIN3c108BFloat16EfLb1EEEviT0_PKT_S8_S8_PS5_S9_PS6_,"axG",@progbits,_ZN2at6native12_GLOBAL__N_128vectorized_layer_norm_kernelIN3c108BFloat16EfLb1EEEviT0_PKT_S8_S8_PS5_S9_PS6_,comdat
.Lfunc_end21:
	.size	_ZN2at6native12_GLOBAL__N_128vectorized_layer_norm_kernelIN3c108BFloat16EfLb1EEEviT0_PKT_S8_S8_PS5_S9_PS6_, .Lfunc_end21-_ZN2at6native12_GLOBAL__N_128vectorized_layer_norm_kernelIN3c108BFloat16EfLb1EEEviT0_PKT_S8_S8_PS5_S9_PS6_
                                        ; -- End function
	.set _ZN2at6native12_GLOBAL__N_128vectorized_layer_norm_kernelIN3c108BFloat16EfLb1EEEviT0_PKT_S8_S8_PS5_S9_PS6_.num_vgpr, 22
	.set _ZN2at6native12_GLOBAL__N_128vectorized_layer_norm_kernelIN3c108BFloat16EfLb1EEEviT0_PKT_S8_S8_PS5_S9_PS6_.num_agpr, 0
	.set _ZN2at6native12_GLOBAL__N_128vectorized_layer_norm_kernelIN3c108BFloat16EfLb1EEEviT0_PKT_S8_S8_PS5_S9_PS6_.numbered_sgpr, 22
	.set _ZN2at6native12_GLOBAL__N_128vectorized_layer_norm_kernelIN3c108BFloat16EfLb1EEEviT0_PKT_S8_S8_PS5_S9_PS6_.num_named_barrier, 0
	.set _ZN2at6native12_GLOBAL__N_128vectorized_layer_norm_kernelIN3c108BFloat16EfLb1EEEviT0_PKT_S8_S8_PS5_S9_PS6_.private_seg_size, 0
	.set _ZN2at6native12_GLOBAL__N_128vectorized_layer_norm_kernelIN3c108BFloat16EfLb1EEEviT0_PKT_S8_S8_PS5_S9_PS6_.uses_vcc, 1
	.set _ZN2at6native12_GLOBAL__N_128vectorized_layer_norm_kernelIN3c108BFloat16EfLb1EEEviT0_PKT_S8_S8_PS5_S9_PS6_.uses_flat_scratch, 0
	.set _ZN2at6native12_GLOBAL__N_128vectorized_layer_norm_kernelIN3c108BFloat16EfLb1EEEviT0_PKT_S8_S8_PS5_S9_PS6_.has_dyn_sized_stack, 0
	.set _ZN2at6native12_GLOBAL__N_128vectorized_layer_norm_kernelIN3c108BFloat16EfLb1EEEviT0_PKT_S8_S8_PS5_S9_PS6_.has_recursion, 0
	.set _ZN2at6native12_GLOBAL__N_128vectorized_layer_norm_kernelIN3c108BFloat16EfLb1EEEviT0_PKT_S8_S8_PS5_S9_PS6_.has_indirect_call, 0
	.section	.AMDGPU.csdata,"",@progbits
; Kernel info:
; codeLenInByte = 2384
; TotalNumSgprs: 24
; NumVgprs: 22
; ScratchSize: 0
; MemoryBound: 0
; FloatMode: 240
; IeeeMode: 1
; LDSByteSize: 0 bytes/workgroup (compile time only)
; SGPRBlocks: 0
; VGPRBlocks: 1
; NumSGPRsForWavesPerEU: 24
; NumVGPRsForWavesPerEU: 22
; NamedBarCnt: 0
; Occupancy: 16
; WaveLimiterHint : 0
; COMPUTE_PGM_RSRC2:SCRATCH_EN: 0
; COMPUTE_PGM_RSRC2:USER_SGPR: 2
; COMPUTE_PGM_RSRC2:TRAP_HANDLER: 0
; COMPUTE_PGM_RSRC2:TGID_X_EN: 1
; COMPUTE_PGM_RSRC2:TGID_Y_EN: 0
; COMPUTE_PGM_RSRC2:TGID_Z_EN: 0
; COMPUTE_PGM_RSRC2:TIDIG_COMP_CNT: 1
	.section	.text._ZN2at6native12_GLOBAL__N_124RowwiseMomentsCUDAKernelIN3c108BFloat16EfLb1EEEvlT0_PKT_PS5_S9_,"axG",@progbits,_ZN2at6native12_GLOBAL__N_124RowwiseMomentsCUDAKernelIN3c108BFloat16EfLb1EEEvlT0_PKT_PS5_S9_,comdat
	.globl	_ZN2at6native12_GLOBAL__N_124RowwiseMomentsCUDAKernelIN3c108BFloat16EfLb1EEEvlT0_PKT_PS5_S9_ ; -- Begin function _ZN2at6native12_GLOBAL__N_124RowwiseMomentsCUDAKernelIN3c108BFloat16EfLb1EEEvlT0_PKT_PS5_S9_
	.p2align	8
	.type	_ZN2at6native12_GLOBAL__N_124RowwiseMomentsCUDAKernelIN3c108BFloat16EfLb1EEEvlT0_PKT_PS5_S9_,@function
_ZN2at6native12_GLOBAL__N_124RowwiseMomentsCUDAKernelIN3c108BFloat16EfLb1EEEvlT0_PKT_PS5_S9_: ; @_ZN2at6native12_GLOBAL__N_124RowwiseMomentsCUDAKernelIN3c108BFloat16EfLb1EEEvlT0_PKT_PS5_S9_
; %bb.0:
	s_load_b64 s[4:5], s[0:1], 0x0
	s_bfe_u32 s2, ttmp6, 0x4000c
	s_and_b32 s3, ttmp6, 15
	s_add_co_i32 s2, s2, 1
	v_mov_b64_e32 v[6:7], 0
	s_mul_i32 s2, ttmp9, s2
	v_mov_b64_e32 v[2:3], 0
	s_getreg_b32 s6, hwreg(HW_REG_IB_STS2, 6, 4)
	v_mov_b32_e32 v1, 0
	s_add_co_i32 s2, s3, s2
	s_cmp_eq_u32 s6, 0
	s_mov_b32 s3, 0
	s_cselect_b32 s2, ttmp9, s2
	s_mov_b32 s12, exec_lo
	s_wait_kmcnt 0x0
	v_cmpx_gt_i64_e64 s[4:5], v[0:1]
	s_cbranch_execz .LBB22_4
; %bb.1:
	s_clause 0x1
	s_load_b64 s[8:9], s[0:1], 0x10
	s_load_b32 s13, s[0:1], 0x34
	s_mul_u64 s[6:7], s[4:5], s[2:3]
	v_dual_mov_b32 v5, 0 :: v_dual_lshlrev_b32 v4, 1, v0
	s_lshl_b64 s[10:11], s[6:7], 1
	v_mov_b64_e32 v[10:11], v[0:1]
	s_mov_b32 s7, s3
	s_delay_alu instid0(VALU_DEP_2)
	v_mov_b32_e32 v3, v5
	s_wait_kmcnt 0x0
	s_add_nc_u64 s[8:9], s[8:9], s[10:11]
	s_and_b32 s6, s13, 0xffff
	v_add_nc_u64_e32 v[8:9], s[8:9], v[4:5]
	s_lshl_b32 s8, s6, 1
	s_mov_b32 s9, s3
	s_mov_b64 s[10:11], 0
	s_mov_b32 s13, s3
.LBB22_2:                               ; =>This Inner Loop Header: Depth=1
	global_load_u16 v1, v[8:9], off
	s_add_nc_u64 s[10:11], s[10:11], 1
	v_add_nc_u64_e32 v[10:11], s[6:7], v[10:11]
	s_clz_i32_u32 s14, s11
	s_wait_xcnt 0x0
	v_add_nc_u64_e32 v[8:9], s[8:9], v[8:9]
	s_min_u32 s16, s14, 32
	s_delay_alu instid0(SALU_CYCLE_1) | instskip(NEXT) | instid1(SALU_CYCLE_1)
	s_lshl_b64 s[14:15], s[10:11], s16
	s_min_u32 s14, s14, 1
	s_delay_alu instid0(SALU_CYCLE_1) | instskip(SKIP_4) | instid1(SALU_CYCLE_1)
	s_or_b32 s14, s15, s14
	s_sub_co_i32 s15, 32, s16
	s_cvt_f32_u32 s14, s14
	s_wait_loadcnt 0x0
	v_lshlrev_b32_e32 v2, 16, v1
	v_ldexp_f32 v1, s14, s15
	s_delay_alu instid0(VALU_DEP_2) | instskip(NEXT) | instid1(VALU_DEP_1)
	v_sub_f32_e32 v4, v2, v3
	v_div_scale_f32 v6, null, v1, v1, v4
	v_div_scale_f32 v13, vcc_lo, v4, v1, v4
	s_delay_alu instid0(VALU_DEP_2) | instskip(SKIP_1) | instid1(TRANS32_DEP_1)
	v_rcp_f32_e32 v7, v6
	v_nop
	v_fma_f32 v12, -v6, v7, 1.0
	s_delay_alu instid0(VALU_DEP_1) | instskip(NEXT) | instid1(VALU_DEP_1)
	v_fmac_f32_e32 v7, v12, v7
	v_mul_f32_e32 v12, v13, v7
	s_delay_alu instid0(VALU_DEP_1) | instskip(NEXT) | instid1(VALU_DEP_1)
	v_fma_f32 v14, -v6, v12, v13
	v_fmac_f32_e32 v12, v14, v7
	s_delay_alu instid0(VALU_DEP_1) | instskip(NEXT) | instid1(VALU_DEP_1)
	v_fma_f32 v6, -v6, v12, v13
	v_div_fmas_f32 v6, v6, v7, v12
	v_cmp_le_i64_e32 vcc_lo, s[4:5], v[10:11]
	s_delay_alu instid0(VALU_DEP_2) | instskip(SKIP_1) | instid1(VALU_DEP_1)
	v_div_fixup_f32 v6, v6, v1, v4
	s_or_b32 s13, vcc_lo, s13
	v_add_f32_e32 v3, v3, v6
	v_mov_b64_e32 v[6:7], s[10:11]
	s_delay_alu instid0(VALU_DEP_2) | instskip(NEXT) | instid1(VALU_DEP_1)
	v_sub_f32_e32 v2, v2, v3
	v_fmac_f32_e32 v5, v4, v2
	s_and_not1_b32 exec_lo, exec_lo, s13
	s_cbranch_execnz .LBB22_2
; %bb.3:
	s_or_b32 exec_lo, exec_lo, s13
	s_delay_alu instid0(VALU_DEP_1)
	v_mov_b32_e32 v2, v5
.LBB22_4:
	s_or_b32 exec_lo, exec_lo, s12
	v_mbcnt_lo_u32_b32 v13, -1, 0
	s_mov_b32 s4, exec_lo
	s_delay_alu instid0(VALU_DEP_1)
	v_lshl_or_b32 v10, v13, 2, 64
	ds_bpermute_b32 v5, v10, v3
	ds_bpermute_b32 v4, v10, v2
	;; [unrolled: 1-line block ×5, first 2 shown]
	v_cmpx_neq_f32_e32 0, v1
	s_cbranch_execz .LBB22_8
; %bb.5:
	s_mov_b32 s5, exec_lo
	s_wait_dscnt 0x0
	v_cmpx_neq_f32_e32 0, v11
	s_cbranch_execz .LBB22_7
; %bb.6:
	v_add_f32_e32 v12, v1, v11
	s_delay_alu instid0(VALU_DEP_1) | instskip(SKIP_1) | instid1(VALU_DEP_2)
	v_div_scale_f32 v6, null, v12, v12, v11
	v_div_scale_f32 v14, vcc_lo, v11, v12, v11
	v_rcp_f32_e32 v7, v6
	v_nop
	s_delay_alu instid0(TRANS32_DEP_1) | instskip(NEXT) | instid1(VALU_DEP_1)
	v_fma_f32 v8, -v6, v7, 1.0
	v_fmac_f32_e32 v7, v8, v7
	s_delay_alu instid0(VALU_DEP_1) | instskip(NEXT) | instid1(VALU_DEP_1)
	v_mul_f32_e32 v15, v14, v7
	v_fma_f32 v8, -v6, v15, v14
	s_delay_alu instid0(VALU_DEP_1) | instskip(SKIP_2) | instid1(VALU_DEP_3)
	v_fmac_f32_e32 v15, v8, v7
	v_pk_add_f32 v[8:9], v[4:5], v[2:3] neg_lo:[0,1] neg_hi:[0,1]
	v_pk_add_f32 v[4:5], v[2:3], v[4:5]
	v_dual_mov_b32 v5, v3 :: v_dual_fma_f32 v6, -v6, v15, v14
	s_delay_alu instid0(VALU_DEP_3) | instskip(NEXT) | instid1(VALU_DEP_2)
	v_mul_f32_e32 v8, v9, v9
	v_div_fmas_f32 v6, v6, v7, v15
	s_delay_alu instid0(VALU_DEP_2) | instskip(NEXT) | instid1(VALU_DEP_2)
	v_dual_mul_f32 v8, v1, v8 :: v_dual_mov_b32 v1, v12
	v_div_fixup_f32 v2, v6, v12, v11
	v_mov_b64_e32 v[6:7], -1
	s_delay_alu instid0(VALU_DEP_2)
	v_pk_fma_f32 v[2:3], v[8:9], v[2:3], v[4:5] op_sel_hi:[1,0,1]
.LBB22_7:
	s_or_b32 exec_lo, exec_lo, s5
	s_delay_alu instid0(VALU_DEP_2) | instskip(NEXT) | instid1(VALU_DEP_2)
	v_mov_b64_e32 v[8:9], v[6:7]
	v_mov_b64_e32 v[4:5], v[2:3]
	v_mov_b32_e32 v11, v1
.LBB22_8:
	s_or_b32 exec_lo, exec_lo, s4
	v_cmp_gt_u32_e32 vcc_lo, 24, v13
	s_mov_b32 s4, exec_lo
	v_cndmask_b32_e64 v1, 0, 8, vcc_lo
	s_delay_alu instid0(VALU_DEP_1)
	v_add_lshl_u32 v1, v1, v13, 2
	s_wait_dscnt 0x4
	ds_bpermute_b32 v3, v1, v5
	s_wait_dscnt 0x4
	ds_bpermute_b32 v2, v1, v4
	;; [unrolled: 2-line block ×5, first 2 shown]
	v_cmpx_neq_f32_e32 0, v11
	s_cbranch_execz .LBB22_12
; %bb.9:
	s_mov_b32 s5, exec_lo
	s_wait_dscnt 0x0
	v_cmpx_neq_f32_e32 0, v12
	s_cbranch_execz .LBB22_11
; %bb.10:
	v_add_f32_e32 v14, v11, v12
	s_delay_alu instid0(VALU_DEP_1) | instskip(NEXT) | instid1(VALU_DEP_1)
	v_div_scale_f32 v8, null, v14, v14, v12
	v_rcp_f32_e32 v9, v8
	v_nop
	s_delay_alu instid0(TRANS32_DEP_1) | instskip(NEXT) | instid1(VALU_DEP_1)
	v_fma_f32 v6, -v8, v9, 1.0
	v_fmac_f32_e32 v9, v6, v9
	v_div_scale_f32 v15, vcc_lo, v12, v14, v12
	s_delay_alu instid0(VALU_DEP_1) | instskip(NEXT) | instid1(VALU_DEP_1)
	v_mul_f32_e32 v16, v15, v9
	v_fma_f32 v6, -v8, v16, v15
	s_delay_alu instid0(VALU_DEP_1) | instskip(SKIP_2) | instid1(VALU_DEP_3)
	v_fmac_f32_e32 v16, v6, v9
	v_pk_add_f32 v[6:7], v[2:3], v[4:5] neg_lo:[0,1] neg_hi:[0,1]
	v_pk_add_f32 v[2:3], v[4:5], v[2:3]
	v_dual_mov_b32 v3, v5 :: v_dual_fma_f32 v6, -v8, v16, v15
	s_delay_alu instid0(VALU_DEP_3) | instskip(NEXT) | instid1(VALU_DEP_2)
	v_mul_f32_e32 v8, v7, v7
	v_div_fmas_f32 v9, v6, v9, v16
	s_delay_alu instid0(VALU_DEP_2) | instskip(NEXT) | instid1(VALU_DEP_2)
	v_dual_mul_f32 v6, v11, v8 :: v_dual_mov_b32 v11, v14
	v_div_fixup_f32 v4, v9, v14, v12
	v_mov_b64_e32 v[8:9], -1
	s_delay_alu instid0(VALU_DEP_2)
	v_pk_fma_f32 v[4:5], v[6:7], v[4:5], v[2:3] op_sel_hi:[1,0,1]
.LBB22_11:
	s_or_b32 exec_lo, exec_lo, s5
	s_delay_alu instid0(VALU_DEP_2) | instskip(NEXT) | instid1(VALU_DEP_2)
	v_mov_b64_e32 v[6:7], v[8:9]
	v_mov_b64_e32 v[2:3], v[4:5]
	v_mov_b32_e32 v12, v11
.LBB22_12:
	s_or_b32 exec_lo, exec_lo, s4
	v_cmp_gt_u32_e32 vcc_lo, 28, v13
	s_mov_b32 s4, exec_lo
	v_cndmask_b32_e64 v4, 0, 4, vcc_lo
	s_delay_alu instid0(VALU_DEP_1)
	v_add_lshl_u32 v11, v4, v13, 2
	s_wait_dscnt 0x4
	ds_bpermute_b32 v5, v11, v3
	s_wait_dscnt 0x4
	ds_bpermute_b32 v4, v11, v2
	;; [unrolled: 2-line block ×5, first 2 shown]
	v_cmpx_neq_f32_e32 0, v12
	s_cbranch_execz .LBB22_16
; %bb.13:
	s_mov_b32 s5, exec_lo
	s_wait_dscnt 0x0
	v_cmpx_neq_f32_e32 0, v14
	s_cbranch_execz .LBB22_15
; %bb.14:
	v_add_f32_e32 v15, v12, v14
	s_delay_alu instid0(VALU_DEP_1) | instskip(SKIP_1) | instid1(VALU_DEP_2)
	v_div_scale_f32 v6, null, v15, v15, v14
	v_div_scale_f32 v16, vcc_lo, v14, v15, v14
	v_rcp_f32_e32 v7, v6
	v_nop
	s_delay_alu instid0(TRANS32_DEP_1) | instskip(NEXT) | instid1(VALU_DEP_1)
	v_fma_f32 v8, -v6, v7, 1.0
	v_fmac_f32_e32 v7, v8, v7
	s_delay_alu instid0(VALU_DEP_1) | instskip(NEXT) | instid1(VALU_DEP_1)
	v_mul_f32_e32 v17, v16, v7
	v_fma_f32 v8, -v6, v17, v16
	s_delay_alu instid0(VALU_DEP_1) | instskip(SKIP_2) | instid1(VALU_DEP_3)
	v_fmac_f32_e32 v17, v8, v7
	v_pk_add_f32 v[8:9], v[4:5], v[2:3] neg_lo:[0,1] neg_hi:[0,1]
	v_pk_add_f32 v[4:5], v[2:3], v[4:5]
	v_dual_mov_b32 v5, v3 :: v_dual_fma_f32 v6, -v6, v17, v16
	s_delay_alu instid0(VALU_DEP_3) | instskip(NEXT) | instid1(VALU_DEP_2)
	v_mul_f32_e32 v8, v9, v9
	v_div_fmas_f32 v6, v6, v7, v17
	s_delay_alu instid0(VALU_DEP_2) | instskip(NEXT) | instid1(VALU_DEP_2)
	v_dual_mul_f32 v8, v12, v8 :: v_dual_mov_b32 v12, v15
	v_div_fixup_f32 v2, v6, v15, v14
	v_mov_b64_e32 v[6:7], -1
	s_delay_alu instid0(VALU_DEP_2)
	v_pk_fma_f32 v[2:3], v[8:9], v[2:3], v[4:5] op_sel_hi:[1,0,1]
.LBB22_15:
	s_or_b32 exec_lo, exec_lo, s5
	s_delay_alu instid0(VALU_DEP_2) | instskip(NEXT) | instid1(VALU_DEP_2)
	v_mov_b64_e32 v[8:9], v[6:7]
	v_mov_b64_e32 v[4:5], v[2:3]
	v_mov_b32_e32 v14, v12
.LBB22_16:
	s_or_b32 exec_lo, exec_lo, s4
	v_cmp_gt_u32_e32 vcc_lo, 30, v13
	s_mov_b32 s4, exec_lo
	v_cndmask_b32_e64 v2, 0, 2, vcc_lo
	s_delay_alu instid0(VALU_DEP_1)
	v_add_lshl_u32 v12, v2, v13, 2
	s_wait_dscnt 0x4
	ds_bpermute_b32 v3, v12, v5
	s_wait_dscnt 0x4
	ds_bpermute_b32 v2, v12, v4
	;; [unrolled: 2-line block ×5, first 2 shown]
	v_cmpx_neq_f32_e32 0, v14
	s_cbranch_execz .LBB22_20
; %bb.17:
	s_mov_b32 s5, exec_lo
	s_wait_dscnt 0x0
	v_cmpx_neq_f32_e32 0, v15
	s_cbranch_execz .LBB22_19
; %bb.18:
	v_add_f32_e32 v16, v14, v15
	s_delay_alu instid0(VALU_DEP_1) | instskip(SKIP_1) | instid1(VALU_DEP_2)
	v_div_scale_f32 v8, null, v16, v16, v15
	v_div_scale_f32 v17, vcc_lo, v15, v16, v15
	v_rcp_f32_e32 v9, v8
	v_nop
	s_delay_alu instid0(TRANS32_DEP_1) | instskip(NEXT) | instid1(VALU_DEP_1)
	v_fma_f32 v6, -v8, v9, 1.0
	v_fmac_f32_e32 v9, v6, v9
	s_delay_alu instid0(VALU_DEP_1) | instskip(NEXT) | instid1(VALU_DEP_1)
	v_mul_f32_e32 v18, v17, v9
	v_fma_f32 v6, -v8, v18, v17
	s_delay_alu instid0(VALU_DEP_1) | instskip(SKIP_2) | instid1(VALU_DEP_3)
	v_fmac_f32_e32 v18, v6, v9
	v_pk_add_f32 v[6:7], v[2:3], v[4:5] neg_lo:[0,1] neg_hi:[0,1]
	v_pk_add_f32 v[2:3], v[4:5], v[2:3]
	v_dual_mov_b32 v3, v5 :: v_dual_fma_f32 v6, -v8, v18, v17
	s_delay_alu instid0(VALU_DEP_3) | instskip(NEXT) | instid1(VALU_DEP_2)
	v_mul_f32_e32 v8, v7, v7
	v_div_fmas_f32 v9, v6, v9, v18
	s_delay_alu instid0(VALU_DEP_2) | instskip(NEXT) | instid1(VALU_DEP_2)
	v_dual_mul_f32 v6, v14, v8 :: v_dual_mov_b32 v14, v16
	v_div_fixup_f32 v4, v9, v16, v15
	v_mov_b64_e32 v[8:9], -1
	s_delay_alu instid0(VALU_DEP_2)
	v_pk_fma_f32 v[4:5], v[6:7], v[4:5], v[2:3] op_sel_hi:[1,0,1]
.LBB22_19:
	s_or_b32 exec_lo, exec_lo, s5
	s_delay_alu instid0(VALU_DEP_2) | instskip(NEXT) | instid1(VALU_DEP_2)
	v_mov_b64_e32 v[6:7], v[8:9]
	v_mov_b64_e32 v[2:3], v[4:5]
	v_mov_b32_e32 v15, v14
.LBB22_20:
	s_or_b32 exec_lo, exec_lo, s4
	v_cmp_ne_u32_e32 vcc_lo, 31, v13
	s_mov_b32 s4, exec_lo
	v_add_co_ci_u32_e64 v4, null, 0, v13, vcc_lo
	s_delay_alu instid0(VALU_DEP_1)
	v_lshlrev_b32_e32 v13, 2, v4
	s_wait_dscnt 0x4
	ds_bpermute_b32 v5, v13, v3
	s_wait_dscnt 0x4
	ds_bpermute_b32 v4, v13, v2
	;; [unrolled: 2-line block ×5, first 2 shown]
	v_cmpx_neq_f32_e32 0, v15
	s_cbranch_execz .LBB22_24
; %bb.21:
	s_mov_b32 s5, exec_lo
	s_wait_dscnt 0x0
	v_cmpx_neq_f32_e32 0, v14
	s_cbranch_execz .LBB22_23
; %bb.22:
	v_add_f32_e32 v16, v15, v14
	s_delay_alu instid0(VALU_DEP_1) | instskip(NEXT) | instid1(VALU_DEP_1)
	v_div_scale_f32 v6, null, v16, v16, v14
	v_rcp_f32_e32 v7, v6
	v_nop
	s_delay_alu instid0(TRANS32_DEP_1) | instskip(NEXT) | instid1(VALU_DEP_1)
	v_fma_f32 v8, -v6, v7, 1.0
	v_fmac_f32_e32 v7, v8, v7
	v_div_scale_f32 v17, vcc_lo, v14, v16, v14
	s_delay_alu instid0(VALU_DEP_1) | instskip(NEXT) | instid1(VALU_DEP_1)
	v_mul_f32_e32 v18, v17, v7
	v_fma_f32 v8, -v6, v18, v17
	s_delay_alu instid0(VALU_DEP_1) | instskip(SKIP_2) | instid1(VALU_DEP_2)
	v_fmac_f32_e32 v18, v8, v7
	v_pk_add_f32 v[8:9], v[4:5], v[2:3] neg_lo:[0,1] neg_hi:[0,1]
	v_pk_add_f32 v[4:5], v[2:3], v[4:5]
	v_dual_mov_b32 v5, v3 :: v_dual_mul_f32 v8, v9, v9
	s_delay_alu instid0(VALU_DEP_1) | instskip(SKIP_1) | instid1(VALU_DEP_2)
	v_dual_fma_f32 v6, -v6, v18, v17 :: v_dual_mul_f32 v8, v15, v8
	v_mov_b32_e32 v15, v16
	v_div_fmas_f32 v6, v6, v7, v18
	s_delay_alu instid0(VALU_DEP_1) | instskip(SKIP_1) | instid1(VALU_DEP_2)
	v_div_fixup_f32 v2, v6, v16, v14
	v_mov_b64_e32 v[6:7], -1
	v_pk_fma_f32 v[2:3], v[8:9], v[2:3], v[4:5] op_sel_hi:[1,0,1]
.LBB22_23:
	s_or_b32 exec_lo, exec_lo, s5
	s_delay_alu instid0(VALU_DEP_2) | instskip(NEXT) | instid1(VALU_DEP_2)
	v_mov_b64_e32 v[8:9], v[6:7]
	v_mov_b64_e32 v[4:5], v[2:3]
	v_mov_b32_e32 v14, v15
.LBB22_24:
	s_or_b32 exec_lo, exec_lo, s4
	v_and_b32_e32 v2, 31, v0
	s_mov_b32 s4, exec_lo
	s_wait_dscnt 0x0
	s_barrier_signal -1
	s_barrier_wait -1
	v_cmpx_eq_u32_e32 0, v2
	s_cbranch_execz .LBB22_26
; %bb.25:
	v_dual_mov_b32 v6, v5 :: v_dual_lshrrev_b32 v3, 5, v0
	v_mov_b32_e32 v7, v4
	s_delay_alu instid0(VALU_DEP_2)
	v_mul_u32_u24_e32 v3, 24, v3
	ds_store_2addr_b64 v3, v[6:7], v[8:9] offset1:1
	ds_store_b32 v3, v14 offset:16
.LBB22_26:
	s_or_b32 exec_lo, exec_lo, s4
	s_wait_dscnt 0x0
	s_barrier_signal -1
	s_barrier_wait -1
	s_load_b32 s4, s[0:1], 0x34
	v_mul_u32_u24_e32 v4, 24, v2
	v_dual_mov_b32 v2, 0 :: v_dual_mov_b32 v3, 0
	s_wait_kmcnt 0x0
	s_bfe_u32 s4, s4, 0xb0005
	s_delay_alu instid0(SALU_CYCLE_1)
	v_cmp_gt_u32_e32 vcc_lo, s4, v0
	s_and_saveexec_b32 s4, vcc_lo
	s_cbranch_execnz .LBB22_55
; %bb.27:
	s_or_b32 exec_lo, exec_lo, s4
	s_and_saveexec_b32 s4, vcc_lo
	s_cbranch_execnz .LBB22_56
.LBB22_28:
	s_or_b32 exec_lo, exec_lo, s4
	v_mov_b32_e32 v8, 0
	s_and_saveexec_b32 s4, vcc_lo
.LBB22_29:
	ds_load_b32 v8, v4 offset:16
.LBB22_30:
	s_or_b32 exec_lo, exec_lo, s4
	s_delay_alu instid0(SALU_CYCLE_1)
	s_mov_b32 s4, exec_lo
	v_cmpx_gt_u32_e32 32, v0
	s_cbranch_execz .LBB22_52
; %bb.31:
	s_wait_dscnt 0x0
	ds_bpermute_b32 v5, v10, v3
	ds_bpermute_b32 v4, v10, v2
	;; [unrolled: 1-line block ×3, first 2 shown]
	s_mov_b32 s5, exec_lo
	v_cmpx_neq_f32_e32 0, v8
	s_cbranch_execz .LBB22_35
; %bb.32:
	s_mov_b32 s6, exec_lo
	s_wait_dscnt 0x0
	v_cmpx_neq_f32_e32 0, v6
	s_cbranch_execz .LBB22_34
; %bb.33:
	v_add_f32_e32 v7, v8, v6
	s_delay_alu instid0(VALU_DEP_1) | instskip(SKIP_1) | instid1(VALU_DEP_2)
	v_div_scale_f32 v9, null, v7, v7, v6
	v_div_scale_f32 v15, vcc_lo, v6, v7, v6
	v_rcp_f32_e32 v10, v9
	v_nop
	s_delay_alu instid0(TRANS32_DEP_1) | instskip(NEXT) | instid1(VALU_DEP_1)
	v_fma_f32 v14, -v9, v10, 1.0
	v_fmac_f32_e32 v10, v14, v10
	s_delay_alu instid0(VALU_DEP_1) | instskip(NEXT) | instid1(VALU_DEP_1)
	v_mul_f32_e32 v16, v15, v10
	v_fma_f32 v14, -v9, v16, v15
	s_delay_alu instid0(VALU_DEP_1) | instskip(NEXT) | instid1(VALU_DEP_1)
	v_fmac_f32_e32 v16, v14, v10
	v_fma_f32 v9, -v9, v16, v15
	v_pk_add_f32 v[14:15], v[4:5], v[2:3] neg_lo:[0,1] neg_hi:[0,1]
	v_add_f32_e32 v2, v2, v4
	s_delay_alu instid0(VALU_DEP_3) | instskip(NEXT) | instid1(VALU_DEP_3)
	v_div_fmas_f32 v5, v9, v10, v16
	v_mul_f32_e32 v9, v15, v15
	s_delay_alu instid0(VALU_DEP_2) | instskip(NEXT) | instid1(VALU_DEP_2)
	v_div_fixup_f32 v14, v5, v7, v6
	v_dual_mul_f32 v4, v8, v9 :: v_dual_mov_b32 v8, v7
	s_delay_alu instid0(VALU_DEP_2) | instskip(NEXT) | instid1(VALU_DEP_1)
	v_mov_b32_e32 v5, v14
	v_pk_fma_f32 v[2:3], v[14:15], v[4:5], v[2:3]
.LBB22_34:
	s_or_b32 exec_lo, exec_lo, s6
	s_delay_alu instid0(VALU_DEP_1)
	v_mov_b64_e32 v[4:5], v[2:3]
	v_mov_b32_e32 v6, v8
.LBB22_35:
	s_or_b32 exec_lo, exec_lo, s5
	s_wait_dscnt 0x2
	ds_bpermute_b32 v3, v1, v5
	s_wait_dscnt 0x2
	ds_bpermute_b32 v2, v1, v4
	;; [unrolled: 2-line block ×3, first 2 shown]
	s_mov_b32 s5, exec_lo
	v_cmpx_neq_f32_e32 0, v6
	s_cbranch_execz .LBB22_39
; %bb.36:
	s_mov_b32 s6, exec_lo
	s_wait_dscnt 0x0
	v_cmpx_neq_f32_e32 0, v1
	s_cbranch_execz .LBB22_38
; %bb.37:
	v_add_f32_e32 v7, v6, v1
	s_delay_alu instid0(VALU_DEP_1) | instskip(NEXT) | instid1(VALU_DEP_1)
	v_div_scale_f32 v10, null, v7, v7, v1
	v_rcp_f32_e32 v14, v10
	v_nop
	s_delay_alu instid0(TRANS32_DEP_1) | instskip(NEXT) | instid1(VALU_DEP_1)
	v_fma_f32 v8, -v10, v14, 1.0
	v_fmac_f32_e32 v14, v8, v14
	v_div_scale_f32 v15, vcc_lo, v1, v7, v1
	s_delay_alu instid0(VALU_DEP_1) | instskip(NEXT) | instid1(VALU_DEP_1)
	v_mul_f32_e32 v16, v15, v14
	v_fma_f32 v8, -v10, v16, v15
	s_delay_alu instid0(VALU_DEP_1) | instskip(SKIP_2) | instid1(VALU_DEP_3)
	v_fmac_f32_e32 v16, v8, v14
	v_pk_add_f32 v[8:9], v[2:3], v[4:5] neg_lo:[0,1] neg_hi:[0,1]
	v_pk_add_f32 v[2:3], v[4:5], v[2:3]
	v_dual_mov_b32 v3, v5 :: v_dual_fma_f32 v8, -v10, v16, v15
	s_delay_alu instid0(VALU_DEP_3) | instskip(NEXT) | instid1(VALU_DEP_2)
	v_mul_f32_e32 v10, v9, v9
	v_div_fmas_f32 v14, v8, v14, v16
	s_delay_alu instid0(VALU_DEP_2) | instskip(NEXT) | instid1(VALU_DEP_2)
	v_dual_mul_f32 v8, v6, v10 :: v_dual_mov_b32 v6, v7
	v_div_fixup_f32 v4, v14, v7, v1
	s_delay_alu instid0(VALU_DEP_1)
	v_pk_fma_f32 v[4:5], v[8:9], v[4:5], v[2:3] op_sel_hi:[1,0,1]
.LBB22_38:
	s_or_b32 exec_lo, exec_lo, s6
	s_delay_alu instid0(VALU_DEP_1)
	v_mov_b64_e32 v[2:3], v[4:5]
	v_mov_b32_e32 v1, v6
.LBB22_39:
	s_or_b32 exec_lo, exec_lo, s5
	s_wait_dscnt 0x2
	ds_bpermute_b32 v5, v11, v3
	s_wait_dscnt 0x2
	ds_bpermute_b32 v4, v11, v2
	;; [unrolled: 2-line block ×3, first 2 shown]
	s_mov_b32 s5, exec_lo
	v_cmpx_neq_f32_e32 0, v1
	s_cbranch_execz .LBB22_43
; %bb.40:
	s_mov_b32 s6, exec_lo
	s_wait_dscnt 0x0
	v_cmpx_neq_f32_e32 0, v8
	s_cbranch_execz .LBB22_42
; %bb.41:
	v_add_f32_e32 v9, v1, v8
	s_delay_alu instid0(VALU_DEP_1) | instskip(NEXT) | instid1(VALU_DEP_1)
	v_div_scale_f32 v10, null, v9, v9, v8
	v_rcp_f32_e32 v11, v10
	v_nop
	s_delay_alu instid0(TRANS32_DEP_1) | instskip(NEXT) | instid1(VALU_DEP_1)
	v_fma_f32 v6, -v10, v11, 1.0
	v_fmac_f32_e32 v11, v6, v11
	v_div_scale_f32 v14, vcc_lo, v8, v9, v8
	s_delay_alu instid0(VALU_DEP_1) | instskip(NEXT) | instid1(VALU_DEP_1)
	v_mul_f32_e32 v15, v14, v11
	v_fma_f32 v6, -v10, v15, v14
	s_delay_alu instid0(VALU_DEP_1) | instskip(SKIP_2) | instid1(VALU_DEP_3)
	v_fmac_f32_e32 v15, v6, v11
	v_pk_add_f32 v[6:7], v[4:5], v[2:3] neg_lo:[0,1] neg_hi:[0,1]
	v_pk_add_f32 v[4:5], v[2:3], v[4:5]
	v_dual_mov_b32 v5, v3 :: v_dual_fma_f32 v6, -v10, v15, v14
	s_delay_alu instid0(VALU_DEP_3) | instskip(NEXT) | instid1(VALU_DEP_2)
	v_mul_f32_e32 v10, v7, v7
	v_div_fmas_f32 v11, v6, v11, v15
	s_delay_alu instid0(VALU_DEP_2) | instskip(SKIP_1) | instid1(VALU_DEP_3)
	v_mul_f32_e32 v6, v1, v10
	v_mov_b32_e32 v1, v9
	v_div_fixup_f32 v2, v11, v9, v8
	s_delay_alu instid0(VALU_DEP_1)
	v_pk_fma_f32 v[2:3], v[6:7], v[2:3], v[4:5] op_sel_hi:[1,0,1]
.LBB22_42:
	s_or_b32 exec_lo, exec_lo, s6
	s_delay_alu instid0(VALU_DEP_1)
	v_mov_b64_e32 v[4:5], v[2:3]
	v_mov_b32_e32 v8, v1
.LBB22_43:
	s_or_b32 exec_lo, exec_lo, s5
	s_wait_dscnt 0x2
	ds_bpermute_b32 v7, v12, v5
	s_wait_dscnt 0x2
	ds_bpermute_b32 v6, v12, v4
	;; [unrolled: 2-line block ×3, first 2 shown]
	s_mov_b32 s5, exec_lo
	v_cmpx_neq_f32_e32 0, v8
	s_cbranch_execz .LBB22_47
; %bb.44:
	s_mov_b32 s6, exec_lo
	s_wait_dscnt 0x0
	v_cmpx_neq_f32_e32 0, v1
	s_cbranch_execz .LBB22_46
; %bb.45:
	v_add_f32_e32 v9, v8, v1
	s_delay_alu instid0(VALU_DEP_1) | instskip(NEXT) | instid1(VALU_DEP_1)
	v_div_scale_f32 v10, null, v9, v9, v1
	v_rcp_f32_e32 v11, v10
	v_nop
	s_delay_alu instid0(TRANS32_DEP_1) | instskip(NEXT) | instid1(VALU_DEP_1)
	v_fma_f32 v2, -v10, v11, 1.0
	v_fmac_f32_e32 v11, v2, v11
	v_div_scale_f32 v12, vcc_lo, v1, v9, v1
	s_delay_alu instid0(VALU_DEP_1) | instskip(NEXT) | instid1(VALU_DEP_1)
	v_mul_f32_e32 v14, v12, v11
	v_fma_f32 v2, -v10, v14, v12
	s_delay_alu instid0(VALU_DEP_1) | instskip(SKIP_2) | instid1(VALU_DEP_3)
	v_fmac_f32_e32 v14, v2, v11
	v_pk_add_f32 v[2:3], v[6:7], v[4:5] neg_lo:[0,1] neg_hi:[0,1]
	v_pk_add_f32 v[6:7], v[4:5], v[6:7]
	v_dual_mov_b32 v7, v5 :: v_dual_fma_f32 v2, -v10, v14, v12
	s_delay_alu instid0(VALU_DEP_3) | instskip(NEXT) | instid1(VALU_DEP_2)
	v_mul_f32_e32 v10, v3, v3
	v_div_fmas_f32 v11, v2, v11, v14
	s_delay_alu instid0(VALU_DEP_2) | instskip(NEXT) | instid1(VALU_DEP_2)
	v_dual_mul_f32 v2, v8, v10 :: v_dual_mov_b32 v8, v9
	v_div_fixup_f32 v4, v11, v9, v1
	s_delay_alu instid0(VALU_DEP_1)
	v_pk_fma_f32 v[4:5], v[2:3], v[4:5], v[6:7] op_sel_hi:[1,0,1]
.LBB22_46:
	s_or_b32 exec_lo, exec_lo, s6
	s_delay_alu instid0(VALU_DEP_1)
	v_mov_b64_e32 v[6:7], v[4:5]
	v_mov_b32_e32 v1, v8
.LBB22_47:
	s_or_b32 exec_lo, exec_lo, s5
	s_wait_dscnt 0x2
	ds_bpermute_b32 v3, v13, v7
	s_wait_dscnt 0x2
	ds_bpermute_b32 v2, v13, v6
	;; [unrolled: 2-line block ×3, first 2 shown]
	s_mov_b32 s5, exec_lo
	v_cmpx_neq_f32_e32 0, v1
	s_cbranch_execz .LBB22_51
; %bb.48:
	s_mov_b32 s6, exec_lo
	s_wait_dscnt 0x0
	v_cmpx_neq_f32_e32 0, v8
	s_cbranch_execz .LBB22_50
; %bb.49:
	v_add_f32_e32 v9, v1, v8
	s_delay_alu instid0(VALU_DEP_1) | instskip(NEXT) | instid1(VALU_DEP_1)
	v_div_scale_f32 v10, null, v9, v9, v8
	v_rcp_f32_e32 v11, v10
	v_nop
	s_delay_alu instid0(TRANS32_DEP_1) | instskip(NEXT) | instid1(VALU_DEP_1)
	v_fma_f32 v4, -v10, v11, 1.0
	v_fmac_f32_e32 v11, v4, v11
	v_div_scale_f32 v12, vcc_lo, v8, v9, v8
	s_delay_alu instid0(VALU_DEP_1) | instskip(NEXT) | instid1(VALU_DEP_1)
	v_mul_f32_e32 v13, v12, v11
	v_fma_f32 v4, -v10, v13, v12
	s_delay_alu instid0(VALU_DEP_1) | instskip(SKIP_2) | instid1(VALU_DEP_3)
	v_fmac_f32_e32 v13, v4, v11
	v_pk_add_f32 v[4:5], v[2:3], v[6:7] neg_lo:[0,1] neg_hi:[0,1]
	v_pk_add_f32 v[2:3], v[6:7], v[2:3]
	v_dual_mov_b32 v3, v7 :: v_dual_fma_f32 v4, -v10, v13, v12
	s_delay_alu instid0(VALU_DEP_3) | instskip(NEXT) | instid1(VALU_DEP_2)
	v_mul_f32_e32 v10, v5, v5
	v_div_fmas_f32 v11, v4, v11, v13
	s_delay_alu instid0(VALU_DEP_2) | instskip(SKIP_1) | instid1(VALU_DEP_3)
	v_mul_f32_e32 v4, v1, v10
	v_mov_b32_e32 v1, v9
	v_div_fixup_f32 v6, v11, v9, v8
	s_delay_alu instid0(VALU_DEP_1)
	v_pk_fma_f32 v[6:7], v[4:5], v[6:7], v[2:3] op_sel_hi:[1,0,1]
.LBB22_50:
	s_or_b32 exec_lo, exec_lo, s6
	s_delay_alu instid0(VALU_DEP_1)
	v_mov_b64_e32 v[2:3], v[6:7]
	v_mov_b32_e32 v8, v1
.LBB22_51:
	s_or_b32 exec_lo, exec_lo, s5
.LBB22_52:
	s_delay_alu instid0(SALU_CYCLE_1) | instskip(NEXT) | instid1(SALU_CYCLE_1)
	s_or_b32 exec_lo, exec_lo, s4
	s_mov_b32 s4, exec_lo
	v_cmpx_eq_u32_e32 0, v0
	s_cbranch_execz .LBB22_54
; %bb.53:
	s_wait_dscnt 0x0
	v_max_num_f32_e32 v0, v8, v8
	s_load_b32 s4, s[0:1], 0x8
	s_lshl_b64 s[2:3], s[2:3], 2
	s_wait_xcnt 0x0
	s_load_b64 s[0:1], s[0:1], 0x20
	v_max_num_f32_e32 v0, 0, v0
	s_delay_alu instid0(VALU_DEP_1) | instskip(SKIP_1) | instid1(VALU_DEP_2)
	v_div_scale_f32 v1, null, v0, v0, v2
	v_div_scale_f32 v6, vcc_lo, v2, v0, v2
	v_rcp_f32_e32 v4, v1
	v_nop
	s_delay_alu instid0(TRANS32_DEP_1) | instskip(SKIP_2) | instid1(VALU_DEP_1)
	v_fma_f32 v5, -v1, v4, 1.0
	s_wait_kmcnt 0x0
	s_add_nc_u64 s[0:1], s[0:1], s[2:3]
	v_fmac_f32_e32 v4, v5, v4
	s_delay_alu instid0(VALU_DEP_1) | instskip(NEXT) | instid1(VALU_DEP_1)
	v_mul_f32_e32 v5, v6, v4
	v_fma_f32 v7, -v1, v5, v6
	s_delay_alu instid0(VALU_DEP_1) | instskip(NEXT) | instid1(VALU_DEP_1)
	v_fmac_f32_e32 v5, v7, v4
	v_fma_f32 v1, -v1, v5, v6
	s_delay_alu instid0(VALU_DEP_1) | instskip(NEXT) | instid1(VALU_DEP_1)
	v_div_fmas_f32 v1, v1, v4, v5
	v_div_fixup_f32 v0, v1, v0, v2
	s_delay_alu instid0(VALU_DEP_1) | instskip(NEXT) | instid1(VALU_DEP_1)
	v_fmac_f32_e32 v0, v3, v3
	v_add_f32_e32 v0, s4, v0
	s_delay_alu instid0(VALU_DEP_1) | instskip(SKIP_1) | instid1(VALU_DEP_2)
	v_mul_f32_e32 v1, 0x4b800000, v0
	v_cmp_gt_f32_e32 vcc_lo, 0x800000, v0
	v_cndmask_b32_e32 v0, v0, v1, vcc_lo
	s_delay_alu instid0(VALU_DEP_1) | instskip(SKIP_1) | instid1(TRANS32_DEP_1)
	v_rsq_f32_e32 v0, v0
	v_nop
	v_mul_f32_e32 v1, 0x45800000, v0
	s_delay_alu instid0(VALU_DEP_1)
	v_dual_cndmask_b32 v0, v0, v1 :: v_dual_mov_b32 v1, 0
	global_store_b32 v1, v0, s[0:1]
.LBB22_54:
	s_endpgm
.LBB22_55:
	ds_load_b32 v3, v4
	s_or_b32 exec_lo, exec_lo, s4
	s_and_saveexec_b32 s4, vcc_lo
	s_cbranch_execz .LBB22_28
.LBB22_56:
	ds_load_b32 v2, v4 offset:4
	s_or_b32 exec_lo, exec_lo, s4
	v_mov_b32_e32 v8, 0
	s_and_saveexec_b32 s4, vcc_lo
	s_cbranch_execnz .LBB22_29
	s_branch .LBB22_30
	.section	.rodata,"a",@progbits
	.p2align	6, 0x0
	.amdhsa_kernel _ZN2at6native12_GLOBAL__N_124RowwiseMomentsCUDAKernelIN3c108BFloat16EfLb1EEEvlT0_PKT_PS5_S9_
		.amdhsa_group_segment_fixed_size 768
		.amdhsa_private_segment_fixed_size 0
		.amdhsa_kernarg_size 296
		.amdhsa_user_sgpr_count 2
		.amdhsa_user_sgpr_dispatch_ptr 0
		.amdhsa_user_sgpr_queue_ptr 0
		.amdhsa_user_sgpr_kernarg_segment_ptr 1
		.amdhsa_user_sgpr_dispatch_id 0
		.amdhsa_user_sgpr_kernarg_preload_length 0
		.amdhsa_user_sgpr_kernarg_preload_offset 0
		.amdhsa_user_sgpr_private_segment_size 0
		.amdhsa_wavefront_size32 1
		.amdhsa_uses_dynamic_stack 0
		.amdhsa_enable_private_segment 0
		.amdhsa_system_sgpr_workgroup_id_x 1
		.amdhsa_system_sgpr_workgroup_id_y 0
		.amdhsa_system_sgpr_workgroup_id_z 0
		.amdhsa_system_sgpr_workgroup_info 0
		.amdhsa_system_vgpr_workitem_id 0
		.amdhsa_next_free_vgpr 19
		.amdhsa_next_free_sgpr 17
		.amdhsa_named_barrier_count 0
		.amdhsa_reserve_vcc 1
		.amdhsa_float_round_mode_32 0
		.amdhsa_float_round_mode_16_64 0
		.amdhsa_float_denorm_mode_32 3
		.amdhsa_float_denorm_mode_16_64 3
		.amdhsa_fp16_overflow 0
		.amdhsa_memory_ordered 1
		.amdhsa_forward_progress 1
		.amdhsa_inst_pref_size 27
		.amdhsa_round_robin_scheduling 0
		.amdhsa_exception_fp_ieee_invalid_op 0
		.amdhsa_exception_fp_denorm_src 0
		.amdhsa_exception_fp_ieee_div_zero 0
		.amdhsa_exception_fp_ieee_overflow 0
		.amdhsa_exception_fp_ieee_underflow 0
		.amdhsa_exception_fp_ieee_inexact 0
		.amdhsa_exception_int_div_zero 0
	.end_amdhsa_kernel
	.section	.text._ZN2at6native12_GLOBAL__N_124RowwiseMomentsCUDAKernelIN3c108BFloat16EfLb1EEEvlT0_PKT_PS5_S9_,"axG",@progbits,_ZN2at6native12_GLOBAL__N_124RowwiseMomentsCUDAKernelIN3c108BFloat16EfLb1EEEvlT0_PKT_PS5_S9_,comdat
.Lfunc_end22:
	.size	_ZN2at6native12_GLOBAL__N_124RowwiseMomentsCUDAKernelIN3c108BFloat16EfLb1EEEvlT0_PKT_PS5_S9_, .Lfunc_end22-_ZN2at6native12_GLOBAL__N_124RowwiseMomentsCUDAKernelIN3c108BFloat16EfLb1EEEvlT0_PKT_PS5_S9_
                                        ; -- End function
	.set _ZN2at6native12_GLOBAL__N_124RowwiseMomentsCUDAKernelIN3c108BFloat16EfLb1EEEvlT0_PKT_PS5_S9_.num_vgpr, 19
	.set _ZN2at6native12_GLOBAL__N_124RowwiseMomentsCUDAKernelIN3c108BFloat16EfLb1EEEvlT0_PKT_PS5_S9_.num_agpr, 0
	.set _ZN2at6native12_GLOBAL__N_124RowwiseMomentsCUDAKernelIN3c108BFloat16EfLb1EEEvlT0_PKT_PS5_S9_.numbered_sgpr, 17
	.set _ZN2at6native12_GLOBAL__N_124RowwiseMomentsCUDAKernelIN3c108BFloat16EfLb1EEEvlT0_PKT_PS5_S9_.num_named_barrier, 0
	.set _ZN2at6native12_GLOBAL__N_124RowwiseMomentsCUDAKernelIN3c108BFloat16EfLb1EEEvlT0_PKT_PS5_S9_.private_seg_size, 0
	.set _ZN2at6native12_GLOBAL__N_124RowwiseMomentsCUDAKernelIN3c108BFloat16EfLb1EEEvlT0_PKT_PS5_S9_.uses_vcc, 1
	.set _ZN2at6native12_GLOBAL__N_124RowwiseMomentsCUDAKernelIN3c108BFloat16EfLb1EEEvlT0_PKT_PS5_S9_.uses_flat_scratch, 0
	.set _ZN2at6native12_GLOBAL__N_124RowwiseMomentsCUDAKernelIN3c108BFloat16EfLb1EEEvlT0_PKT_PS5_S9_.has_dyn_sized_stack, 0
	.set _ZN2at6native12_GLOBAL__N_124RowwiseMomentsCUDAKernelIN3c108BFloat16EfLb1EEEvlT0_PKT_PS5_S9_.has_recursion, 0
	.set _ZN2at6native12_GLOBAL__N_124RowwiseMomentsCUDAKernelIN3c108BFloat16EfLb1EEEvlT0_PKT_PS5_S9_.has_indirect_call, 0
	.section	.AMDGPU.csdata,"",@progbits
; Kernel info:
; codeLenInByte = 3452
; TotalNumSgprs: 19
; NumVgprs: 19
; ScratchSize: 0
; MemoryBound: 0
; FloatMode: 240
; IeeeMode: 1
; LDSByteSize: 768 bytes/workgroup (compile time only)
; SGPRBlocks: 0
; VGPRBlocks: 1
; NumSGPRsForWavesPerEU: 19
; NumVGPRsForWavesPerEU: 19
; NamedBarCnt: 0
; Occupancy: 16
; WaveLimiterHint : 0
; COMPUTE_PGM_RSRC2:SCRATCH_EN: 0
; COMPUTE_PGM_RSRC2:USER_SGPR: 2
; COMPUTE_PGM_RSRC2:TRAP_HANDLER: 0
; COMPUTE_PGM_RSRC2:TGID_X_EN: 1
; COMPUTE_PGM_RSRC2:TGID_Y_EN: 0
; COMPUTE_PGM_RSRC2:TGID_Z_EN: 0
; COMPUTE_PGM_RSRC2:TIDIG_COMP_CNT: 0
	.section	.text._ZN2at6native12_GLOBAL__N_126LayerNormForwardCUDAKernelIN3c108BFloat16EfLb1EEEvlPKT_PKT0_SA_S7_S7_PS5_,"axG",@progbits,_ZN2at6native12_GLOBAL__N_126LayerNormForwardCUDAKernelIN3c108BFloat16EfLb1EEEvlPKT_PKT0_SA_S7_S7_PS5_,comdat
	.globl	_ZN2at6native12_GLOBAL__N_126LayerNormForwardCUDAKernelIN3c108BFloat16EfLb1EEEvlPKT_PKT0_SA_S7_S7_PS5_ ; -- Begin function _ZN2at6native12_GLOBAL__N_126LayerNormForwardCUDAKernelIN3c108BFloat16EfLb1EEEvlPKT_PKT0_SA_S7_S7_PS5_
	.p2align	8
	.type	_ZN2at6native12_GLOBAL__N_126LayerNormForwardCUDAKernelIN3c108BFloat16EfLb1EEEvlPKT_PKT0_SA_S7_S7_PS5_,@function
_ZN2at6native12_GLOBAL__N_126LayerNormForwardCUDAKernelIN3c108BFloat16EfLb1EEEvlPKT_PKT0_SA_S7_S7_PS5_: ; @_ZN2at6native12_GLOBAL__N_126LayerNormForwardCUDAKernelIN3c108BFloat16EfLb1EEEvlPKT_PKT0_SA_S7_S7_PS5_
; %bb.0:
	s_load_b128 s[4:7], s[0:1], 0x0
	v_mov_b32_e32 v1, 0
	s_mov_b32 s2, exec_lo
	s_wait_kmcnt 0x0
	s_delay_alu instid0(VALU_DEP_1)
	v_cmpx_gt_i64_e64 s[4:5], v[0:1]
	s_cbranch_execz .LBB23_6
; %bb.1:
	s_load_b128 s[8:11], s[0:1], 0x18
	s_bfe_u32 s2, ttmp6, 0x4000c
	s_and_b32 s3, ttmp6, 15
	s_add_co_i32 s2, s2, 1
	s_getreg_b32 s12, hwreg(HW_REG_IB_STS2, 6, 4)
	s_mul_i32 s2, ttmp9, s2
	s_load_b32 s15, s[0:1], 0x44
	s_add_co_i32 s3, s3, s2
	s_cmp_eq_u32 s12, 0
	s_load_b64 s[12:13], s[0:1], 0x30
	s_cselect_b32 s2, ttmp9, s3
	s_mov_b32 s3, 0
	v_dual_mov_b32 v3, v1 :: v_dual_lshlrev_b32 v2, 1, v0
	s_mul_u64 s[16:17], s[4:5], s[2:3]
	s_wait_kmcnt 0x0
	s_load_b32 s1, s[8:9], s2 offset:0x0 scale_offset
	s_cmp_lg_u64 s[10:11], 0
	s_wait_xcnt 0x0
	s_mov_b32 s9, s3
	s_cselect_b32 s14, -1, 0
	s_lshl_b64 s[16:17], s[16:17], 1
	s_and_b32 s8, s15, 0xffff
	s_add_nc_u64 s[6:7], s[6:7], s[16:17]
	s_lshl_b32 s2, s8, 1
	s_add_nc_u64 s[12:13], s[12:13], s[16:17]
	s_mov_b32 s15, s3
	s_branch .LBB23_4
.LBB23_2:                               ;   in Loop: Header=BB23_4 Depth=1
	v_add_nc_u64_e32 v[4:5], s[10:11], v[2:3]
	global_load_u16 v4, v[4:5], off
	s_wait_loadcnt 0x0
	s_wait_xcnt 0x0
	v_lshlrev_b32_e32 v4, 16, v4
.LBB23_3:                               ;   in Loop: Header=BB23_4 Depth=1
	v_add_nc_u64_e32 v[6:7], s[6:7], v[2:3]
	v_add_nc_u64_e32 v[0:1], s[8:9], v[0:1]
	global_load_u16 v5, v[6:7], off
	v_cmp_le_i64_e32 vcc_lo, s[4:5], v[0:1]
	s_or_b32 s15, vcc_lo, s15
	s_wait_loadcnt 0x0
	v_lshlrev_b32_e32 v5, 16, v5
	s_wait_kmcnt 0x0
	s_delay_alu instid0(VALU_DEP_1) | instskip(SKIP_1) | instid1(VALU_DEP_1)
	v_mul_f32_e32 v5, s1, v5
	s_wait_xcnt 0x0
	v_mul_f32_e32 v6, v4, v5
	s_delay_alu instid0(VALU_DEP_1) | instskip(SKIP_1) | instid1(VALU_DEP_2)
	v_bfe_u32 v4, v6, 16, 1
	v_cmp_o_f32_e64 s0, v6, v6
	v_add3_u32 v4, v6, v4, 0x7fff
	s_delay_alu instid0(VALU_DEP_1) | instskip(SKIP_2) | instid1(VALU_DEP_3)
	v_lshrrev_b32_e32 v7, 16, v4
	v_add_nc_u64_e32 v[4:5], s[12:13], v[2:3]
	v_add_nc_u64_e32 v[2:3], s[2:3], v[2:3]
	v_cndmask_b32_e64 v6, 0x7fc0, v7, s0
	global_store_b16 v[4:5], v6, off
	s_wait_xcnt 0x0
	s_and_not1_b32 exec_lo, exec_lo, s15
	s_cbranch_execz .LBB23_6
.LBB23_4:                               ; =>This Inner Loop Header: Depth=1
	s_and_not1_b32 vcc_lo, exec_lo, s14
	s_cbranch_vccz .LBB23_2
; %bb.5:                                ;   in Loop: Header=BB23_4 Depth=1
	v_mov_b32_e32 v4, 1.0
	s_branch .LBB23_3
.LBB23_6:
	s_endpgm
	.section	.rodata,"a",@progbits
	.p2align	6, 0x0
	.amdhsa_kernel _ZN2at6native12_GLOBAL__N_126LayerNormForwardCUDAKernelIN3c108BFloat16EfLb1EEEvlPKT_PKT0_SA_S7_S7_PS5_
		.amdhsa_group_segment_fixed_size 0
		.amdhsa_private_segment_fixed_size 0
		.amdhsa_kernarg_size 312
		.amdhsa_user_sgpr_count 2
		.amdhsa_user_sgpr_dispatch_ptr 0
		.amdhsa_user_sgpr_queue_ptr 0
		.amdhsa_user_sgpr_kernarg_segment_ptr 1
		.amdhsa_user_sgpr_dispatch_id 0
		.amdhsa_user_sgpr_kernarg_preload_length 0
		.amdhsa_user_sgpr_kernarg_preload_offset 0
		.amdhsa_user_sgpr_private_segment_size 0
		.amdhsa_wavefront_size32 1
		.amdhsa_uses_dynamic_stack 0
		.amdhsa_enable_private_segment 0
		.amdhsa_system_sgpr_workgroup_id_x 1
		.amdhsa_system_sgpr_workgroup_id_y 0
		.amdhsa_system_sgpr_workgroup_id_z 0
		.amdhsa_system_sgpr_workgroup_info 0
		.amdhsa_system_vgpr_workitem_id 0
		.amdhsa_next_free_vgpr 8
		.amdhsa_next_free_sgpr 18
		.amdhsa_named_barrier_count 0
		.amdhsa_reserve_vcc 1
		.amdhsa_float_round_mode_32 0
		.amdhsa_float_round_mode_16_64 0
		.amdhsa_float_denorm_mode_32 3
		.amdhsa_float_denorm_mode_16_64 3
		.amdhsa_fp16_overflow 0
		.amdhsa_memory_ordered 1
		.amdhsa_forward_progress 1
		.amdhsa_inst_pref_size 3
		.amdhsa_round_robin_scheduling 0
		.amdhsa_exception_fp_ieee_invalid_op 0
		.amdhsa_exception_fp_denorm_src 0
		.amdhsa_exception_fp_ieee_div_zero 0
		.amdhsa_exception_fp_ieee_overflow 0
		.amdhsa_exception_fp_ieee_underflow 0
		.amdhsa_exception_fp_ieee_inexact 0
		.amdhsa_exception_int_div_zero 0
	.end_amdhsa_kernel
	.section	.text._ZN2at6native12_GLOBAL__N_126LayerNormForwardCUDAKernelIN3c108BFloat16EfLb1EEEvlPKT_PKT0_SA_S7_S7_PS5_,"axG",@progbits,_ZN2at6native12_GLOBAL__N_126LayerNormForwardCUDAKernelIN3c108BFloat16EfLb1EEEvlPKT_PKT0_SA_S7_S7_PS5_,comdat
.Lfunc_end23:
	.size	_ZN2at6native12_GLOBAL__N_126LayerNormForwardCUDAKernelIN3c108BFloat16EfLb1EEEvlPKT_PKT0_SA_S7_S7_PS5_, .Lfunc_end23-_ZN2at6native12_GLOBAL__N_126LayerNormForwardCUDAKernelIN3c108BFloat16EfLb1EEEvlPKT_PKT0_SA_S7_S7_PS5_
                                        ; -- End function
	.set _ZN2at6native12_GLOBAL__N_126LayerNormForwardCUDAKernelIN3c108BFloat16EfLb1EEEvlPKT_PKT0_SA_S7_S7_PS5_.num_vgpr, 8
	.set _ZN2at6native12_GLOBAL__N_126LayerNormForwardCUDAKernelIN3c108BFloat16EfLb1EEEvlPKT_PKT0_SA_S7_S7_PS5_.num_agpr, 0
	.set _ZN2at6native12_GLOBAL__N_126LayerNormForwardCUDAKernelIN3c108BFloat16EfLb1EEEvlPKT_PKT0_SA_S7_S7_PS5_.numbered_sgpr, 18
	.set _ZN2at6native12_GLOBAL__N_126LayerNormForwardCUDAKernelIN3c108BFloat16EfLb1EEEvlPKT_PKT0_SA_S7_S7_PS5_.num_named_barrier, 0
	.set _ZN2at6native12_GLOBAL__N_126LayerNormForwardCUDAKernelIN3c108BFloat16EfLb1EEEvlPKT_PKT0_SA_S7_S7_PS5_.private_seg_size, 0
	.set _ZN2at6native12_GLOBAL__N_126LayerNormForwardCUDAKernelIN3c108BFloat16EfLb1EEEvlPKT_PKT0_SA_S7_S7_PS5_.uses_vcc, 1
	.set _ZN2at6native12_GLOBAL__N_126LayerNormForwardCUDAKernelIN3c108BFloat16EfLb1EEEvlPKT_PKT0_SA_S7_S7_PS5_.uses_flat_scratch, 0
	.set _ZN2at6native12_GLOBAL__N_126LayerNormForwardCUDAKernelIN3c108BFloat16EfLb1EEEvlPKT_PKT0_SA_S7_S7_PS5_.has_dyn_sized_stack, 0
	.set _ZN2at6native12_GLOBAL__N_126LayerNormForwardCUDAKernelIN3c108BFloat16EfLb1EEEvlPKT_PKT0_SA_S7_S7_PS5_.has_recursion, 0
	.set _ZN2at6native12_GLOBAL__N_126LayerNormForwardCUDAKernelIN3c108BFloat16EfLb1EEEvlPKT_PKT0_SA_S7_S7_PS5_.has_indirect_call, 0
	.section	.AMDGPU.csdata,"",@progbits
; Kernel info:
; codeLenInByte = 360
; TotalNumSgprs: 20
; NumVgprs: 8
; ScratchSize: 0
; MemoryBound: 0
; FloatMode: 240
; IeeeMode: 1
; LDSByteSize: 0 bytes/workgroup (compile time only)
; SGPRBlocks: 0
; VGPRBlocks: 0
; NumSGPRsForWavesPerEU: 20
; NumVGPRsForWavesPerEU: 8
; NamedBarCnt: 0
; Occupancy: 16
; WaveLimiterHint : 0
; COMPUTE_PGM_RSRC2:SCRATCH_EN: 0
; COMPUTE_PGM_RSRC2:USER_SGPR: 2
; COMPUTE_PGM_RSRC2:TRAP_HANDLER: 0
; COMPUTE_PGM_RSRC2:TGID_X_EN: 1
; COMPUTE_PGM_RSRC2:TGID_Y_EN: 0
; COMPUTE_PGM_RSRC2:TGID_Z_EN: 0
; COMPUTE_PGM_RSRC2:TIDIG_COMP_CNT: 0
	.section	.text._ZN2at6native12_GLOBAL__N_118cuComputeGradInputIddLb0EEEvPKT_S5_llPKT0_S8_S5_PS3_,"axG",@progbits,_ZN2at6native12_GLOBAL__N_118cuComputeGradInputIddLb0EEEvPKT_S5_llPKT0_S8_S5_PS3_,comdat
	.globl	_ZN2at6native12_GLOBAL__N_118cuComputeGradInputIddLb0EEEvPKT_S5_llPKT0_S8_S5_PS3_ ; -- Begin function _ZN2at6native12_GLOBAL__N_118cuComputeGradInputIddLb0EEEvPKT_S5_llPKT0_S8_S5_PS3_
	.p2align	8
	.type	_ZN2at6native12_GLOBAL__N_118cuComputeGradInputIddLb0EEEvPKT_S5_llPKT0_S8_S5_PS3_,@function
_ZN2at6native12_GLOBAL__N_118cuComputeGradInputIddLb0EEEvPKT_S5_llPKT0_S8_S5_PS3_: ; @_ZN2at6native12_GLOBAL__N_118cuComputeGradInputIddLb0EEEvPKT_S5_llPKT0_S8_S5_PS3_
; %bb.0:
	s_load_b128 s[16:19], s[0:1], 0x10
	s_bfe_u32 s2, ttmp6, 0x40010
	s_bfe_u32 s3, ttmp6, 0x40004
	s_add_co_i32 s2, s2, 1
	s_getreg_b32 s4, hwreg(HW_REG_IB_STS2, 6, 4)
	s_mul_i32 s2, ttmp7, s2
	s_delay_alu instid0(SALU_CYCLE_1) | instskip(SKIP_2) | instid1(SALU_CYCLE_1)
	s_add_co_i32 s3, s3, s2
	s_cmp_eq_u32 s4, 0
	s_cselect_b32 s6, ttmp7, s3
	s_ashr_i32 s7, s6, 31
	s_wait_kmcnt 0x0
	v_cmp_le_i64_e64 s2, s[16:17], s[6:7]
	s_and_b32 vcc_lo, exec_lo, s2
	s_cbranch_vccnz .LBB24_47
; %bb.1:
	v_cvt_f64_i32_e32 v[2:3], s19
	v_cvt_f64_u32_e32 v[4:5], s18
	s_clause 0x2
	s_load_b32 s2, s[0:1], 0x4c
	s_load_b256 s[8:15], s[0:1], 0x20
	s_load_b32 s33, s[0:1], 0x44
	v_and_b32_e32 v20, 0x3ff, v0
	v_bfe_u32 v21, v0, 10, 10
	s_load_b128 s[20:23], s[0:1], 0x0
	v_cmp_gt_i64_e64 s43, s[18:19], 0
	v_mbcnt_lo_u32_b32 v24, -1, 0
	s_wait_xcnt 0x0
	v_cmp_eq_u32_e64 s0, 0, v21
	v_cmp_ne_u32_e64 s1, 0, v21
	s_delay_alu instid0(VALU_DEP_4)
	v_cndmask_b32_e64 v22, 0, 1, s43
	s_wait_kmcnt 0x0
	s_lshr_b32 s38, s2, 16
	s_and_b32 s39, s2, 0xffff
	s_cmp_lg_u64 s[12:13], 0
	s_mul_i32 s24, s38, s39
	s_cselect_b32 s40, -1, 0
	s_cmp_gt_u32 s39, 1
	s_cselect_b32 s41, -1, 0
	s_cmp_gt_u32 s38, 1
	s_cselect_b32 s42, -1, 0
	s_ashr_i32 s25, s24, 31
	v_ldexp_f64 v[2:3], v[2:3], 32
	s_delay_alu instid0(VALU_DEP_1) | instskip(NEXT) | instid1(VALU_DEP_1)
	v_add_f64_e32 v[4:5], v[2:3], v[4:5]
	v_div_scale_f64 v[2:3], null, v[4:5], v[4:5], 1.0
	s_delay_alu instid0(VALU_DEP_1) | instskip(SKIP_1) | instid1(TRANS32_DEP_1)
	v_rcp_f64_e32 v[6:7], v[2:3]
	v_nop
	v_fma_f64 v[8:9], -v[2:3], v[6:7], 1.0
	s_delay_alu instid0(VALU_DEP_1) | instskip(NEXT) | instid1(VALU_DEP_1)
	v_fmac_f64_e32 v[6:7], v[6:7], v[8:9]
	v_fma_f64 v[8:9], -v[2:3], v[6:7], 1.0
	s_delay_alu instid0(VALU_DEP_1) | instskip(SKIP_1) | instid1(VALU_DEP_1)
	v_fmac_f64_e32 v[6:7], v[6:7], v[8:9]
	v_div_scale_f64 v[8:9], vcc_lo, 1.0, v[4:5], 1.0
	v_mul_f64_e32 v[10:11], v[8:9], v[6:7]
	s_delay_alu instid0(VALU_DEP_1) | instskip(SKIP_1) | instid1(VALU_DEP_1)
	v_fma_f64 v[2:3], -v[2:3], v[10:11], v[8:9]
	v_mad_u32_u24 v8, v21, s39, v20
	v_dual_mov_b32 v9, 0 :: v_dual_add_nc_u32 v0, s24, v8
	s_delay_alu instid0(VALU_DEP_1) | instskip(NEXT) | instid1(VALU_DEP_2)
	v_cmp_gt_i64_e64 s2, s[18:19], v[8:9]
	v_ashrrev_i32_e32 v1, 31, v0
	v_div_fmas_f64 v[2:3], v[2:3], v[6:7], v[10:11]
	s_delay_alu instid0(VALU_DEP_2) | instskip(NEXT) | instid1(VALU_DEP_2)
	v_sub_nc_u64_e64 v[10:11], v[0:1], s[24:25]
	v_div_fixup_f64 v[6:7], v[2:3], v[4:5], 1.0
	v_lshlrev_b32_e32 v3, 4, v20
	s_delay_alu instid0(VALU_DEP_1) | instskip(NEXT) | instid1(VALU_DEP_1)
	v_dual_lshlrev_b32 v2, 4, v8 :: v_dual_add_nc_u32 v25, 0, v3
	v_add_nc_u32_e32 v23, 0, v2
	s_branch .LBB24_4
.LBB24_2:                               ;   in Loop: Header=BB24_4 Depth=1
	s_or_b32 exec_lo, exec_lo, s3
.LBB24_3:                               ;   in Loop: Header=BB24_4 Depth=1
	s_add_co_i32 s6, s33, s6
	s_wait_storecnt_dscnt 0x0
	s_ashr_i32 s7, s6, 31
	s_barrier_signal -1
	v_cmp_le_i64_e64 s3, s[16:17], s[6:7]
	s_barrier_wait -1
	s_and_b32 vcc_lo, exec_lo, s3
	s_cbranch_vccnz .LBB24_47
.LBB24_4:                               ; =>This Loop Header: Depth=1
                                        ;     Child Loop BB24_8 Depth 2
                                        ;     Child Loop BB24_19 Depth 2
	;; [unrolled: 1-line block ×6, first 2 shown]
	s_lshl_b64 s[4:5], s[6:7], 3
	v_cmp_ne_u32_e64 s3, 1, v22
	s_add_nc_u64 s[30:31], s[8:9], s[4:5]
	s_add_nc_u64 s[4:5], s[10:11], s[4:5]
	s_load_b64 s[26:27], s[30:31], 0x0
	s_load_b64 s[28:29], s[4:5], 0x0
	s_wait_xcnt 0x0
	s_mul_u64 s[4:5], s[6:7], s[18:19]
	s_and_not1_b32 vcc_lo, exec_lo, s40
	s_lshl_b64 s[36:37], s[4:5], 3
	s_mov_b32 s4, -1
	s_add_nc_u64 s[30:31], s[22:23], s[36:37]
	s_add_nc_u64 s[34:35], s[20:21], s[36:37]
                                        ; implicit-def: $vgpr0_vgpr1
	s_cbranch_vccnz .LBB24_15
; %bb.5:                                ;   in Loop: Header=BB24_4 Depth=1
	v_mov_b64_e32 v[0:1], 0
	s_and_b32 vcc_lo, exec_lo, s3
	s_delay_alu instid0(VALU_DEP_1)
	v_mov_b64_e32 v[2:3], v[0:1]
	s_cbranch_vccnz .LBB24_14
; %bb.6:                                ;   in Loop: Header=BB24_4 Depth=1
	s_mov_b32 s4, 0
	s_branch .LBB24_8
.LBB24_7:                               ;   in Loop: Header=BB24_8 Depth=2
	s_wait_xcnt 0x0
	s_or_b32 exec_lo, exec_lo, s3
	s_wait_loadcnt 0x0
	v_mul_f64_e32 v[14:15], v[12:13], v[16:17]
	s_wait_kmcnt 0x0
	v_add_f64_e64 v[18:19], v[18:19], -s[26:27]
	v_fmac_f64_e32 v[0:1], v[12:13], v[16:17]
	s_add_co_i32 s4, s4, s24
	s_delay_alu instid0(SALU_CYCLE_1) | instskip(NEXT) | instid1(SALU_CYCLE_1)
	s_ashr_i32 s5, s4, 31
	v_cmp_le_i64_e64 s3, s[18:19], s[4:5]
	s_and_b32 vcc_lo, exec_lo, s3
	v_mul_f64_e32 v[14:15], v[18:19], v[14:15]
	s_delay_alu instid0(VALU_DEP_1)
	v_fmac_f64_e32 v[2:3], s[28:29], v[14:15]
	s_cbranch_vccnz .LBB24_14
.LBB24_8:                               ;   Parent Loop BB24_4 Depth=1
                                        ; =>  This Inner Loop Header: Depth=2
	v_add_nc_u32_e32 v14, s4, v8
	v_mov_b64_e32 v[12:13], 0
	s_delay_alu instid0(VALU_DEP_2) | instskip(NEXT) | instid1(VALU_DEP_1)
	v_ashrrev_i32_e32 v15, 31, v14
	v_cmp_gt_i64_e32 vcc_lo, s[18:19], v[14:15]
	s_and_saveexec_b32 s3, vcc_lo
	s_cbranch_execz .LBB24_10
; %bb.9:                                ;   in Loop: Header=BB24_8 Depth=2
	v_lshl_add_u64 v[12:13], v[14:15], 3, s[12:13]
	global_load_b64 v[12:13], v[12:13], off
.LBB24_10:                              ;   in Loop: Header=BB24_8 Depth=2
	s_wait_xcnt 0x0
	s_or_b32 exec_lo, exec_lo, s3
	v_mov_b64_e32 v[16:17], 0
	v_mov_b64_e32 v[18:19], 0
	s_and_saveexec_b32 s3, vcc_lo
	s_cbranch_execz .LBB24_12
; %bb.11:                               ;   in Loop: Header=BB24_8 Depth=2
	v_lshl_add_u64 v[18:19], v[14:15], 3, s[30:31]
	global_load_b64 v[18:19], v[18:19], off
.LBB24_12:                              ;   in Loop: Header=BB24_8 Depth=2
	s_wait_xcnt 0x0
	s_or_b32 exec_lo, exec_lo, s3
	s_and_saveexec_b32 s3, vcc_lo
	s_cbranch_execz .LBB24_7
; %bb.13:                               ;   in Loop: Header=BB24_8 Depth=2
	v_lshl_add_u64 v[14:15], v[14:15], 3, s[34:35]
	global_load_b64 v[16:17], v[14:15], off
	s_branch .LBB24_7
.LBB24_14:                              ;   in Loop: Header=BB24_4 Depth=1
	s_mov_b32 s4, 0
.LBB24_15:                              ;   in Loop: Header=BB24_4 Depth=1
	s_delay_alu instid0(SALU_CYCLE_1)
	s_and_not1_b32 vcc_lo, exec_lo, s4
	s_cbranch_vccnz .LBB24_23
; %bb.16:                               ;   in Loop: Header=BB24_4 Depth=1
	v_mov_b64_e32 v[0:1], 0
	s_and_not1_b32 vcc_lo, exec_lo, s43
	s_delay_alu instid0(VALU_DEP_1)
	v_mov_b64_e32 v[2:3], v[0:1]
	s_cbranch_vccnz .LBB24_23
; %bb.17:                               ;   in Loop: Header=BB24_4 Depth=1
	s_mov_b32 s4, 0
	s_branch .LBB24_19
.LBB24_18:                              ;   in Loop: Header=BB24_19 Depth=2
	s_wait_xcnt 0x0
	s_or_b32 exec_lo, exec_lo, s3
	s_wait_loadcnt 0x0
	s_wait_kmcnt 0x0
	v_add_f64_e64 v[12:13], v[14:15], -s[26:27]
	v_add_f64_e32 v[0:1], v[0:1], v[16:17]
	s_add_co_i32 s4, s4, s24
	s_delay_alu instid0(SALU_CYCLE_1) | instskip(NEXT) | instid1(SALU_CYCLE_1)
	s_ashr_i32 s5, s4, 31
	v_cmp_le_i64_e64 s3, s[18:19], s[4:5]
	s_and_b32 vcc_lo, exec_lo, s3
	v_mul_f64_e32 v[12:13], v[12:13], v[16:17]
	s_delay_alu instid0(VALU_DEP_1)
	v_fmac_f64_e32 v[2:3], s[28:29], v[12:13]
	s_cbranch_vccnz .LBB24_23
.LBB24_19:                              ;   Parent Loop BB24_4 Depth=1
                                        ; =>  This Inner Loop Header: Depth=2
	v_add_nc_u32_e32 v12, s4, v8
	v_mov_b64_e32 v[14:15], 0
	s_delay_alu instid0(VALU_DEP_2) | instskip(NEXT) | instid1(VALU_DEP_1)
	v_ashrrev_i32_e32 v13, 31, v12
	v_cmp_gt_i64_e32 vcc_lo, s[18:19], v[12:13]
	s_and_saveexec_b32 s3, vcc_lo
	s_cbranch_execz .LBB24_21
; %bb.20:                               ;   in Loop: Header=BB24_19 Depth=2
	v_lshl_add_u64 v[14:15], v[12:13], 3, s[30:31]
	global_load_b64 v[14:15], v[14:15], off
.LBB24_21:                              ;   in Loop: Header=BB24_19 Depth=2
	s_wait_xcnt 0x0
	s_or_b32 exec_lo, exec_lo, s3
	v_mov_b64_e32 v[16:17], 0
	s_and_saveexec_b32 s3, vcc_lo
	s_cbranch_execz .LBB24_18
; %bb.22:                               ;   in Loop: Header=BB24_19 Depth=2
	v_lshl_add_u64 v[12:13], v[12:13], 3, s[34:35]
	global_load_b64 v[16:17], v[12:13], off
	s_branch .LBB24_18
.LBB24_23:                              ;   in Loop: Header=BB24_4 Depth=1
	s_and_not1_b32 vcc_lo, exec_lo, s41
	s_cbranch_vccnz .LBB24_26
; %bb.24:                               ;   in Loop: Header=BB24_4 Depth=1
	s_mov_b32 s3, s39
.LBB24_25:                              ;   Parent Loop BB24_4 Depth=1
                                        ; =>  This Inner Loop Header: Depth=2
	s_delay_alu instid0(SALU_CYCLE_1) | instskip(SKIP_3) | instid1(VALU_DEP_1)
	s_lshr_b32 s4, s3, 1
	s_cmp_lt_u32 s3, 4
	v_xor_b32_e32 v12, s4, v24
	s_mov_b32 s3, s4
	v_cmp_gt_i32_e32 vcc_lo, 32, v12
	v_cndmask_b32_e32 v12, v24, v12, vcc_lo
	s_delay_alu instid0(VALU_DEP_1)
	v_lshlrev_b32_e32 v15, 2, v12
	ds_bpermute_b32 v12, v15, v0
	ds_bpermute_b32 v13, v15, v1
	;; [unrolled: 1-line block ×4, first 2 shown]
	s_wait_dscnt 0x2
	v_add_f64_e32 v[0:1], v[0:1], v[12:13]
	s_wait_dscnt 0x0
	v_add_f64_e32 v[2:3], v[2:3], v[14:15]
	s_cbranch_scc0 .LBB24_25
.LBB24_26:                              ;   in Loop: Header=BB24_4 Depth=1
	s_and_not1_b32 vcc_lo, exec_lo, s42
	s_mov_b32 s5, s38
	s_cbranch_vccnz .LBB24_38
.LBB24_27:                              ;   Parent Loop BB24_4 Depth=1
                                        ; =>  This Inner Loop Header: Depth=2
	s_lshr_b32 s7, s5, 1
	s_and_b32 s4, s5, 0xfffe
	v_cmp_le_u32_e64 s3, s7, v21
	v_cmp_gt_u32_e64 s4, s4, v21
	v_cmp_gt_u32_e32 vcc_lo, s7, v21
	s_and_b32 s4, s3, s4
	s_delay_alu instid0(SALU_CYCLE_1)
	s_and_saveexec_b32 s3, s4
	s_cbranch_execz .LBB24_29
; %bb.28:                               ;   in Loop: Header=BB24_27 Depth=2
	v_subrev_nc_u32_e32 v12, s7, v21
	s_delay_alu instid0(VALU_DEP_1) | instskip(NEXT) | instid1(VALU_DEP_1)
	v_mad_u32_u24 v12, v12, s39, v20
	v_lshl_add_u32 v12, v12, 4, 0
	ds_store_2addr_b64 v12, v[0:1], v[2:3] offset1:1
.LBB24_29:                              ;   in Loop: Header=BB24_27 Depth=2
	s_or_b32 exec_lo, exec_lo, s3
	s_wait_dscnt 0x0
	s_barrier_signal -1
	s_barrier_wait -1
	s_and_saveexec_b32 s3, vcc_lo
	s_cbranch_execz .LBB24_31
; %bb.30:                               ;   in Loop: Header=BB24_27 Depth=2
	ds_load_2addr_b64 v[12:15], v23 offset1:1
	s_wait_dscnt 0x0
	v_add_f64_e32 v[0:1], v[0:1], v[12:13]
	v_add_f64_e32 v[2:3], v[2:3], v[14:15]
.LBB24_31:                              ;   in Loop: Header=BB24_27 Depth=2
	s_or_b32 exec_lo, exec_lo, s3
	s_cmp_lt_u32 s5, 4
	s_barrier_signal -1
	s_barrier_wait -1
	s_cbranch_scc1 .LBB24_33
; %bb.32:                               ;   in Loop: Header=BB24_27 Depth=2
	s_mov_b32 s5, s7
	s_branch .LBB24_27
.LBB24_33:                              ;   in Loop: Header=BB24_4 Depth=1
	s_and_saveexec_b32 s3, s0
; %bb.34:                               ;   in Loop: Header=BB24_4 Depth=1
	ds_store_2addr_b64 v25, v[0:1], v[2:3] offset1:1
; %bb.35:                               ;   in Loop: Header=BB24_4 Depth=1
	s_or_b32 exec_lo, exec_lo, s3
	s_wait_dscnt 0x0
	s_barrier_signal -1
	s_barrier_wait -1
	s_and_saveexec_b32 s3, s1
; %bb.36:                               ;   in Loop: Header=BB24_4 Depth=1
	ds_load_2addr_b64 v[0:3], v25 offset1:1
; %bb.37:                               ;   in Loop: Header=BB24_4 Depth=1
	s_or_b32 exec_lo, exec_lo, s3
.LBB24_38:                              ;   in Loop: Header=BB24_4 Depth=1
	s_wait_kmcnt 0x0
	v_mul_f64_e32 v[12:13], s[28:29], v[6:7]
	s_and_not1_b32 vcc_lo, exec_lo, s40
	s_add_nc_u64 s[4:5], s[14:15], s[36:37]
	s_cbranch_vccnz .LBB24_43
; %bb.39:                               ;   in Loop: Header=BB24_4 Depth=1
	s_and_saveexec_b32 s3, s2
	s_cbranch_execz .LBB24_42
; %bb.40:                               ;   in Loop: Header=BB24_4 Depth=1
	v_mov_b64_e32 v[14:15], v[10:11]
	v_mov_b64_e32 v[16:17], v[8:9]
	s_mov_b32 s7, 0
.LBB24_41:                              ;   Parent Loop BB24_4 Depth=1
                                        ; =>  This Inner Loop Header: Depth=2
	s_delay_alu instid0(VALU_DEP_1) | instskip(NEXT) | instid1(VALU_DEP_3)
	v_lshlrev_b64_e32 v[16:17], 3, v[16:17]
	v_add_nc_u64_e32 v[14:15], s[24:25], v[14:15]
	s_delay_alu instid0(VALU_DEP_2) | instskip(SKIP_1) | instid1(VALU_DEP_3)
	v_add_nc_u64_e32 v[18:19], s[34:35], v[16:17]
	v_add_nc_u64_e32 v[26:27], s[30:31], v[16:17]
	v_cmp_le_i64_e32 vcc_lo, s[18:19], v[14:15]
	global_load_b64 v[28:29], v[18:19], off
	global_load_b64 v[30:31], v[26:27], off
	s_wait_xcnt 0x1
	v_add_nc_u64_e32 v[18:19], s[12:13], v[16:17]
	s_or_b32 s7, vcc_lo, s7
	global_load_b64 v[18:19], v[18:19], off
	s_wait_loadcnt 0x2
	s_wait_xcnt 0x1
	v_mul_f64_e32 v[26:27], v[28:29], v[4:5]
	s_wait_loadcnt 0x1
	v_add_f64_e64 v[28:29], v[30:31], -s[26:27]
	s_wait_loadcnt_dscnt 0x0
	s_wait_xcnt 0x0
	s_delay_alu instid0(VALU_DEP_2) | instskip(NEXT) | instid1(VALU_DEP_2)
	v_fma_f64 v[18:19], v[26:27], v[18:19], -v[0:1]
	v_mul_f64_e32 v[26:27], s[28:29], v[28:29]
	s_delay_alu instid0(VALU_DEP_1) | instskip(SKIP_2) | instid1(VALU_DEP_3)
	v_fma_f64 v[18:19], -v[2:3], v[26:27], v[18:19]
	v_add_nc_u64_e32 v[26:27], s[4:5], v[16:17]
	v_dual_mov_b32 v16, v14 :: v_dual_ashrrev_i32 v17, 31, v14
	v_mul_f64_e32 v[18:19], v[12:13], v[18:19]
	global_store_b64 v[26:27], v[18:19], off
	s_wait_xcnt 0x0
	s_and_not1_b32 exec_lo, exec_lo, s7
	s_cbranch_execnz .LBB24_41
.LBB24_42:                              ;   in Loop: Header=BB24_4 Depth=1
	s_or_b32 exec_lo, exec_lo, s3
	s_cbranch_execnz .LBB24_3
	s_branch .LBB24_44
.LBB24_43:                              ;   in Loop: Header=BB24_4 Depth=1
.LBB24_44:                              ;   in Loop: Header=BB24_4 Depth=1
	s_and_saveexec_b32 s3, s2
	s_cbranch_execz .LBB24_2
; %bb.45:                               ;   in Loop: Header=BB24_4 Depth=1
	v_mov_b64_e32 v[14:15], v[10:11]
	v_mov_b64_e32 v[16:17], v[8:9]
	s_mov_b32 s7, 0
.LBB24_46:                              ;   Parent Loop BB24_4 Depth=1
                                        ; =>  This Inner Loop Header: Depth=2
	s_delay_alu instid0(VALU_DEP_1) | instskip(NEXT) | instid1(VALU_DEP_3)
	v_lshlrev_b64_e32 v[16:17], 3, v[16:17]
	v_add_nc_u64_e32 v[14:15], s[24:25], v[14:15]
	s_delay_alu instid0(VALU_DEP_2) | instskip(SKIP_1) | instid1(VALU_DEP_3)
	v_add_nc_u64_e32 v[18:19], s[30:31], v[16:17]
	v_add_nc_u64_e32 v[26:27], s[34:35], v[16:17]
	v_cmp_le_i64_e32 vcc_lo, s[18:19], v[14:15]
	global_load_b64 v[18:19], v[18:19], off
	global_load_b64 v[26:27], v[26:27], off
	s_or_b32 s7, vcc_lo, s7
	s_wait_loadcnt 0x1
	s_wait_xcnt 0x1
	v_add_f64_e64 v[18:19], v[18:19], -s[26:27]
	s_wait_loadcnt_dscnt 0x0
	v_fma_f64 v[26:27], v[26:27], v[4:5], -v[0:1]
	s_delay_alu instid0(VALU_DEP_2) | instskip(NEXT) | instid1(VALU_DEP_1)
	v_mul_f64_e32 v[18:19], s[28:29], v[18:19]
	v_fma_f64 v[18:19], -v[2:3], v[18:19], v[26:27]
	v_add_nc_u64_e32 v[26:27], s[4:5], v[16:17]
	v_dual_mov_b32 v16, v14 :: v_dual_ashrrev_i32 v17, 31, v14
	s_delay_alu instid0(VALU_DEP_3)
	v_mul_f64_e32 v[18:19], v[12:13], v[18:19]
	global_store_b64 v[26:27], v[18:19], off
	s_wait_xcnt 0x0
	s_and_not1_b32 exec_lo, exec_lo, s7
	s_cbranch_execnz .LBB24_46
	s_branch .LBB24_2
.LBB24_47:
	s_endpgm
	.section	.rodata,"a",@progbits
	.p2align	6, 0x0
	.amdhsa_kernel _ZN2at6native12_GLOBAL__N_118cuComputeGradInputIddLb0EEEvPKT_S5_llPKT0_S8_S5_PS3_
		.amdhsa_group_segment_fixed_size 0
		.amdhsa_private_segment_fixed_size 0
		.amdhsa_kernarg_size 320
		.amdhsa_user_sgpr_count 2
		.amdhsa_user_sgpr_dispatch_ptr 0
		.amdhsa_user_sgpr_queue_ptr 0
		.amdhsa_user_sgpr_kernarg_segment_ptr 1
		.amdhsa_user_sgpr_dispatch_id 0
		.amdhsa_user_sgpr_kernarg_preload_length 0
		.amdhsa_user_sgpr_kernarg_preload_offset 0
		.amdhsa_user_sgpr_private_segment_size 0
		.amdhsa_wavefront_size32 1
		.amdhsa_uses_dynamic_stack 0
		.amdhsa_enable_private_segment 0
		.amdhsa_system_sgpr_workgroup_id_x 1
		.amdhsa_system_sgpr_workgroup_id_y 1
		.amdhsa_system_sgpr_workgroup_id_z 0
		.amdhsa_system_sgpr_workgroup_info 0
		.amdhsa_system_vgpr_workitem_id 1
		.amdhsa_next_free_vgpr 32
		.amdhsa_next_free_sgpr 44
		.amdhsa_named_barrier_count 0
		.amdhsa_reserve_vcc 1
		.amdhsa_float_round_mode_32 0
		.amdhsa_float_round_mode_16_64 0
		.amdhsa_float_denorm_mode_32 3
		.amdhsa_float_denorm_mode_16_64 3
		.amdhsa_fp16_overflow 0
		.amdhsa_memory_ordered 1
		.amdhsa_forward_progress 1
		.amdhsa_inst_pref_size 13
		.amdhsa_round_robin_scheduling 0
		.amdhsa_exception_fp_ieee_invalid_op 0
		.amdhsa_exception_fp_denorm_src 0
		.amdhsa_exception_fp_ieee_div_zero 0
		.amdhsa_exception_fp_ieee_overflow 0
		.amdhsa_exception_fp_ieee_underflow 0
		.amdhsa_exception_fp_ieee_inexact 0
		.amdhsa_exception_int_div_zero 0
	.end_amdhsa_kernel
	.section	.text._ZN2at6native12_GLOBAL__N_118cuComputeGradInputIddLb0EEEvPKT_S5_llPKT0_S8_S5_PS3_,"axG",@progbits,_ZN2at6native12_GLOBAL__N_118cuComputeGradInputIddLb0EEEvPKT_S5_llPKT0_S8_S5_PS3_,comdat
.Lfunc_end24:
	.size	_ZN2at6native12_GLOBAL__N_118cuComputeGradInputIddLb0EEEvPKT_S5_llPKT0_S8_S5_PS3_, .Lfunc_end24-_ZN2at6native12_GLOBAL__N_118cuComputeGradInputIddLb0EEEvPKT_S5_llPKT0_S8_S5_PS3_
                                        ; -- End function
	.set _ZN2at6native12_GLOBAL__N_118cuComputeGradInputIddLb0EEEvPKT_S5_llPKT0_S8_S5_PS3_.num_vgpr, 32
	.set _ZN2at6native12_GLOBAL__N_118cuComputeGradInputIddLb0EEEvPKT_S5_llPKT0_S8_S5_PS3_.num_agpr, 0
	.set _ZN2at6native12_GLOBAL__N_118cuComputeGradInputIddLb0EEEvPKT_S5_llPKT0_S8_S5_PS3_.numbered_sgpr, 44
	.set _ZN2at6native12_GLOBAL__N_118cuComputeGradInputIddLb0EEEvPKT_S5_llPKT0_S8_S5_PS3_.num_named_barrier, 0
	.set _ZN2at6native12_GLOBAL__N_118cuComputeGradInputIddLb0EEEvPKT_S5_llPKT0_S8_S5_PS3_.private_seg_size, 0
	.set _ZN2at6native12_GLOBAL__N_118cuComputeGradInputIddLb0EEEvPKT_S5_llPKT0_S8_S5_PS3_.uses_vcc, 1
	.set _ZN2at6native12_GLOBAL__N_118cuComputeGradInputIddLb0EEEvPKT_S5_llPKT0_S8_S5_PS3_.uses_flat_scratch, 0
	.set _ZN2at6native12_GLOBAL__N_118cuComputeGradInputIddLb0EEEvPKT_S5_llPKT0_S8_S5_PS3_.has_dyn_sized_stack, 0
	.set _ZN2at6native12_GLOBAL__N_118cuComputeGradInputIddLb0EEEvPKT_S5_llPKT0_S8_S5_PS3_.has_recursion, 0
	.set _ZN2at6native12_GLOBAL__N_118cuComputeGradInputIddLb0EEEvPKT_S5_llPKT0_S8_S5_PS3_.has_indirect_call, 0
	.section	.AMDGPU.csdata,"",@progbits
; Kernel info:
; codeLenInByte = 1664
; TotalNumSgprs: 46
; NumVgprs: 32
; ScratchSize: 0
; MemoryBound: 0
; FloatMode: 240
; IeeeMode: 1
; LDSByteSize: 0 bytes/workgroup (compile time only)
; SGPRBlocks: 0
; VGPRBlocks: 1
; NumSGPRsForWavesPerEU: 46
; NumVGPRsForWavesPerEU: 32
; NamedBarCnt: 0
; Occupancy: 16
; WaveLimiterHint : 0
; COMPUTE_PGM_RSRC2:SCRATCH_EN: 0
; COMPUTE_PGM_RSRC2:USER_SGPR: 2
; COMPUTE_PGM_RSRC2:TRAP_HANDLER: 0
; COMPUTE_PGM_RSRC2:TGID_X_EN: 1
; COMPUTE_PGM_RSRC2:TGID_Y_EN: 1
; COMPUTE_PGM_RSRC2:TGID_Z_EN: 0
; COMPUTE_PGM_RSRC2:TIDIG_COMP_CNT: 1
	.section	.text._ZN2at6native12_GLOBAL__N_128layer_norm_grad_input_kernelIddLb0EEEvPKT_S5_PKT0_S8_S5_PS3_i,"axG",@progbits,_ZN2at6native12_GLOBAL__N_128layer_norm_grad_input_kernelIddLb0EEEvPKT_S5_PKT0_S8_S5_PS3_i,comdat
	.globl	_ZN2at6native12_GLOBAL__N_128layer_norm_grad_input_kernelIddLb0EEEvPKT_S5_PKT0_S8_S5_PS3_i ; -- Begin function _ZN2at6native12_GLOBAL__N_128layer_norm_grad_input_kernelIddLb0EEEvPKT_S5_PKT0_S8_S5_PS3_i
	.p2align	8
	.type	_ZN2at6native12_GLOBAL__N_128layer_norm_grad_input_kernelIddLb0EEEvPKT_S5_PKT0_S8_S5_PS3_i,@function
_ZN2at6native12_GLOBAL__N_128layer_norm_grad_input_kernelIddLb0EEEvPKT_S5_PKT0_S8_S5_PS3_i: ; @_ZN2at6native12_GLOBAL__N_128layer_norm_grad_input_kernelIddLb0EEEvPKT_S5_PKT0_S8_S5_PS3_i
; %bb.0:
	s_load_b256 s[4:11], s[0:1], 0x0
	s_bfe_u32 s2, ttmp6, 0x4000c
	s_load_b32 s12, s[0:1], 0x30
	s_add_co_i32 s2, s2, 1
	s_and_b32 s3, ttmp6, 15
	s_mul_i32 s2, ttmp9, s2
	s_getreg_b32 s13, hwreg(HW_REG_IB_STS2, 6, 4)
	s_add_co_i32 s3, s3, s2
	s_cmp_eq_u32 s13, 0
	v_lshlrev_b32_e32 v6, 2, v0
	s_cselect_b32 s22, ttmp9, s3
	s_mov_b32 s23, 0
	v_mov_b64_e32 v[4:5], 0
	v_mov_b64_e32 v[2:3], 0
	v_or_b32_e32 v1, 3, v6
	s_load_b64 s[14:15], s[0:1], 0x20
	s_wait_kmcnt 0x0
	s_load_b64 s[16:17], s[8:9], s22 offset:0x0 scale_offset
	s_load_b64 s[18:19], s[10:11], s22 offset:0x0 scale_offset
	s_ashr_i32 s13, s12, 31
	s_delay_alu instid0(SALU_CYCLE_1)
	s_mul_u64 s[2:3], s[12:13], s[22:23]
	s_mov_b32 s13, exec_lo
	s_lshl_b64 s[20:21], s[2:3], 3
	s_wait_xcnt 0x0
	s_add_nc_u64 s[8:9], s[6:7], s[20:21]
	s_add_nc_u64 s[10:11], s[4:5], s[20:21]
	v_cmpx_gt_u32_e64 s12, v1
	s_cbranch_execz .LBB25_12
; %bb.1:
	s_load_b32 s24, s[0:1], 0x44
	v_mov_b64_e32 v[4:5], 0
	v_mov_b64_e32 v[2:3], 0
	s_cmp_lg_u64 s[14:15], 0
	v_mov_b32_e32 v7, 0
	s_cselect_b32 s22, -1, 0
	s_wait_kmcnt 0x0
	s_and_b32 s24, s24, 0xffff
	s_delay_alu instid0(SALU_CYCLE_1)
	s_lshl_b32 s24, s24, 2
	s_branch .LBB25_3
.LBB25_2:                               ;   in Loop: Header=BB25_3 Depth=1
	global_load_b64 v[30:31], v[20:21], off offset:24
	global_load_b64 v[34:35], v[16:17], off offset:24
	s_wait_loadcnt 0x6
	s_wait_xcnt 0x0
	v_mul_f64_e32 v[16:17], v[10:11], v[14:15]
	v_add_f64_e64 v[18:19], v[18:19], -s[16:17]
	s_wait_loadcnt 0x4
	v_dual_mul_f64 v[20:21], v[8:9], v[24:25] :: v_dual_add_nc_u32 v6, s24, v6
	v_add_f64_e64 v[26:27], v[26:27], -s[16:17]
	v_fmac_f64_e32 v[4:5], v[10:11], v[14:15]
	s_wait_loadcnt 0x2
	v_mul_f64_e32 v[10:11], v[22:23], v[28:29]
	v_add_f64_e64 v[14:15], v[32:33], -s[16:17]
	v_add_nc_u32_e32 v1, 3, v6
	s_delay_alu instid0(VALU_DEP_1)
	v_cmp_le_u32_e32 vcc_lo, s12, v1
	s_or_b32 s23, vcc_lo, s23
	v_mul_f64_e32 v[16:17], v[18:19], v[16:17]
	v_mul_f64_e32 v[18:19], v[26:27], v[20:21]
	v_fmac_f64_e32 v[4:5], v[8:9], v[24:25]
	v_mul_f64_e32 v[8:9], v[14:15], v[10:11]
	s_delay_alu instid0(VALU_DEP_4) | instskip(NEXT) | instid1(VALU_DEP_3)
	v_fmac_f64_e32 v[2:3], s[18:19], v[16:17]
	v_fmac_f64_e32 v[4:5], v[22:23], v[28:29]
	s_delay_alu instid0(VALU_DEP_2) | instskip(NEXT) | instid1(VALU_DEP_1)
	v_fmac_f64_e32 v[2:3], s[18:19], v[18:19]
	v_fmac_f64_e32 v[2:3], s[18:19], v[8:9]
	s_wait_loadcnt 0x1
	v_mul_f64_e32 v[10:11], v[12:13], v[30:31]
	s_wait_loadcnt 0x0
	v_add_f64_e64 v[14:15], v[34:35], -s[16:17]
	v_fmac_f64_e32 v[4:5], v[12:13], v[30:31]
	s_delay_alu instid0(VALU_DEP_2) | instskip(NEXT) | instid1(VALU_DEP_1)
	v_mul_f64_e32 v[8:9], v[14:15], v[10:11]
	v_fmac_f64_e32 v[2:3], s[18:19], v[8:9]
	s_and_not1_b32 exec_lo, exec_lo, s23
	s_cbranch_execz .LBB25_11
.LBB25_3:                               ; =>This Inner Loop Header: Depth=1
	v_mov_b64_e32 v[8:9], 1.0
	v_mov_b64_e32 v[10:11], 1.0
	v_lshl_add_u64 v[30:31], v[6:7], 3, s[14:15]
	s_and_b32 vcc_lo, exec_lo, s22
	s_cbranch_vccz .LBB25_5
; %bb.4:                                ;   in Loop: Header=BB25_3 Depth=1
	global_load_b64 v[10:11], v[30:31], off
.LBB25_5:                               ;   in Loop: Header=BB25_3 Depth=1
	v_lshlrev_b64_e32 v[12:13], 3, v[6:7]
	s_and_not1_b32 vcc_lo, exec_lo, s22
	s_delay_alu instid0(VALU_DEP_1)
	v_add_nc_u64_e32 v[16:17], s[8:9], v[12:13]
	v_add_nc_u64_e32 v[20:21], s[10:11], v[12:13]
	global_load_b64 v[18:19], v[16:17], off
	global_load_b64 v[14:15], v[20:21], off
	s_cbranch_vccnz .LBB25_7
; %bb.6:                                ;   in Loop: Header=BB25_3 Depth=1
	global_load_b64 v[8:9], v[30:31], off offset:8
.LBB25_7:                               ;   in Loop: Header=BB25_3 Depth=1
	global_load_b64 v[26:27], v[16:17], off offset:8
	global_load_b64 v[24:25], v[20:21], off offset:8
	v_mov_b64_e32 v[12:13], 1.0
	v_mov_b64_e32 v[22:23], 1.0
	s_and_not1_b32 vcc_lo, exec_lo, s22
	s_cbranch_vccnz .LBB25_9
; %bb.8:                                ;   in Loop: Header=BB25_3 Depth=1
	global_load_b64 v[22:23], v[30:31], off offset:16
.LBB25_9:                               ;   in Loop: Header=BB25_3 Depth=1
	global_load_b64 v[32:33], v[16:17], off offset:16
	global_load_b64 v[28:29], v[20:21], off offset:16
	s_and_not1_b32 vcc_lo, exec_lo, s22
	s_cbranch_vccnz .LBB25_2
; %bb.10:                               ;   in Loop: Header=BB25_3 Depth=1
	global_load_b64 v[12:13], v[30:31], off offset:24
	s_branch .LBB25_2
.LBB25_11:
	s_or_b32 exec_lo, exec_lo, s23
.LBB25_12:
	s_delay_alu instid0(SALU_CYCLE_1) | instskip(NEXT) | instid1(SALU_CYCLE_1)
	s_or_b32 exec_lo, exec_lo, s13
	s_mov_b32 s13, exec_lo
	v_cmpx_gt_u32_e64 s12, v6
	s_cbranch_execz .LBB25_19
; %bb.13:
	v_mov_b32_e32 v7, 0
	s_cmp_lg_u64 s[14:15], 0
	s_delay_alu instid0(VALU_DEP_1) | instskip(NEXT) | instid1(VALU_DEP_1)
	v_lshlrev_b64_e32 v[8:9], 3, v[6:7]
	v_lshl_add_u64 v[12:13], s[2:3], 3, v[8:9]
	v_add_nc_u64_e32 v[8:9], s[14:15], v[8:9]
	s_cselect_b32 s2, -1, 0
	s_mov_b32 s3, 0
	s_delay_alu instid0(VALU_DEP_2)
	v_add_nc_u64_e32 v[10:11], s[6:7], v[12:13]
	v_add_nc_u64_e32 v[12:13], s[4:5], v[12:13]
	s_branch .LBB25_16
.LBB25_14:                              ;   in Loop: Header=BB25_16 Depth=1
	global_load_b64 v[14:15], v[8:9], off
.LBB25_15:                              ;   in Loop: Header=BB25_16 Depth=1
	global_load_b64 v[16:17], v[12:13], off
	global_load_b64 v[18:19], v[10:11], off
	s_wait_xcnt 0x2
	v_add_nc_u64_e32 v[8:9], 8, v[8:9]
	s_wait_xcnt 0x0
	v_add_nc_u64_e32 v[10:11], 8, v[10:11]
	v_add_nc_u64_e32 v[12:13], 8, v[12:13]
	v_add_nc_u32_e32 v6, 1, v6
	s_delay_alu instid0(VALU_DEP_1)
	v_cmp_le_u32_e32 vcc_lo, s12, v6
	s_or_b32 s3, vcc_lo, s3
	s_wait_loadcnt 0x1
	v_mul_f64_e32 v[20:21], v[14:15], v[16:17]
	s_wait_loadcnt 0x0
	s_wait_kmcnt 0x0
	v_add_f64_e64 v[18:19], v[18:19], -s[16:17]
	v_fmac_f64_e32 v[4:5], v[14:15], v[16:17]
	s_delay_alu instid0(VALU_DEP_2) | instskip(NEXT) | instid1(VALU_DEP_1)
	v_mul_f64_e32 v[18:19], v[18:19], v[20:21]
	v_fmac_f64_e32 v[2:3], s[18:19], v[18:19]
	s_and_not1_b32 exec_lo, exec_lo, s3
	s_cbranch_execz .LBB25_18
.LBB25_16:                              ; =>This Inner Loop Header: Depth=1
	s_and_not1_b32 vcc_lo, exec_lo, s2
	s_cbranch_vccz .LBB25_14
; %bb.17:                               ;   in Loop: Header=BB25_16 Depth=1
	v_mov_b64_e32 v[14:15], 1.0
	s_branch .LBB25_15
.LBB25_18:
	s_or_b32 exec_lo, exec_lo, s3
.LBB25_19:
	s_delay_alu instid0(SALU_CYCLE_1) | instskip(SKIP_3) | instid1(VALU_DEP_1)
	s_or_b32 exec_lo, exec_lo, s13
	v_mbcnt_lo_u32_b32 v11, -1, 0
	s_barrier_signal -1
	s_barrier_wait -1
	v_lshl_or_b32 v1, v11, 2, 64
	v_cmp_gt_u32_e32 vcc_lo, 24, v11
	v_dual_lshrrev_b32 v12, 2, v0 :: v_dual_bitop2_b32 v13, 31, v0 bitop3:0x40
	ds_bpermute_b32 v6, v1, v4
	ds_bpermute_b32 v7, v1, v5
	s_wait_dscnt 0x0
	v_add_f64_e32 v[4:5], v[4:5], v[6:7]
	v_cndmask_b32_e64 v6, 0, 8, vcc_lo
	v_cmp_gt_u32_e32 vcc_lo, 28, v11
	s_delay_alu instid0(VALU_DEP_2)
	v_add_lshl_u32 v8, v6, v11, 2
	ds_bpermute_b32 v6, v8, v4
	ds_bpermute_b32 v7, v8, v5
	s_wait_dscnt 0x0
	v_add_f64_e32 v[4:5], v[4:5], v[6:7]
	v_cndmask_b32_e64 v6, 0, 4, vcc_lo
	v_cmp_gt_u32_e32 vcc_lo, 30, v11
	s_delay_alu instid0(VALU_DEP_2)
	v_add_lshl_u32 v9, v6, v11, 2
	ds_bpermute_b32 v6, v9, v4
	ds_bpermute_b32 v7, v9, v5
	s_wait_dscnt 0x0
	v_add_f64_e32 v[4:5], v[4:5], v[6:7]
	v_cndmask_b32_e64 v6, 0, 2, vcc_lo
	v_cmp_ne_u32_e32 vcc_lo, 31, v11
	s_delay_alu instid0(VALU_DEP_2)
	v_add_lshl_u32 v10, v6, v11, 2
	ds_bpermute_b32 v6, v10, v4
	ds_bpermute_b32 v7, v10, v5
	s_wait_dscnt 0x0
	v_add_f64_e32 v[4:5], v[4:5], v[6:7]
	v_add_co_ci_u32_e64 v6, null, 0, v11, vcc_lo
	v_cmp_eq_u32_e32 vcc_lo, 0, v13
	s_delay_alu instid0(VALU_DEP_2)
	v_lshlrev_b32_e32 v11, 2, v6
	ds_bpermute_b32 v6, v11, v4
	ds_bpermute_b32 v7, v11, v5
	s_and_saveexec_b32 s2, vcc_lo
	s_cbranch_execz .LBB25_21
; %bb.20:
	s_wait_dscnt 0x0
	v_dual_add_f64 v[4:5], v[4:5], v[6:7] :: v_dual_add_nc_u32 v6, 0, v12
	ds_store_b64 v6, v[4:5]
.LBB25_21:
	s_or_b32 exec_lo, exec_lo, s2
	s_wait_dscnt 0x0
	s_barrier_signal -1
	s_barrier_wait -1
	s_load_b32 s4, s[0:1], 0x44
	v_mov_b64_e32 v[4:5], 0
	v_lshl_add_u32 v13, v13, 3, 0
	s_wait_kmcnt 0x0
	s_bfe_u32 s2, s4, 0xb0005
	s_delay_alu instid0(SALU_CYCLE_1)
	v_cmp_gt_u32_e64 s2, s2, v0
	s_and_saveexec_b32 s3, s2
; %bb.22:
	ds_load_b64 v[4:5], v13
; %bb.23:
	s_or_b32 exec_lo, exec_lo, s3
	v_cmp_gt_u32_e64 s3, 32, v0
	s_and_saveexec_b32 s5, s3
	s_cbranch_execz .LBB25_25
; %bb.24:
	s_wait_dscnt 0x0
	ds_bpermute_b32 v6, v1, v4
	ds_bpermute_b32 v7, v1, v5
	s_wait_dscnt 0x0
	v_add_f64_e32 v[4:5], v[4:5], v[6:7]
	ds_bpermute_b32 v6, v8, v4
	ds_bpermute_b32 v7, v8, v5
	s_wait_dscnt 0x0
	v_add_f64_e32 v[4:5], v[4:5], v[6:7]
	;; [unrolled: 4-line block ×5, first 2 shown]
.LBB25_25:
	s_or_b32 exec_lo, exec_lo, s5
	ds_bpermute_b32 v6, v1, v2
	ds_bpermute_b32 v7, v1, v3
	s_wait_dscnt 0x0
	s_barrier_signal -1
	s_barrier_wait -1
	v_add_f64_e32 v[2:3], v[2:3], v[6:7]
	ds_bpermute_b32 v6, v8, v2
	ds_bpermute_b32 v7, v8, v3
	s_wait_dscnt 0x0
	v_add_f64_e32 v[2:3], v[2:3], v[6:7]
	ds_bpermute_b32 v6, v9, v2
	ds_bpermute_b32 v7, v9, v3
	s_wait_dscnt 0x0
	;; [unrolled: 4-line block ×3, first 2 shown]
	v_add_f64_e32 v[2:3], v[2:3], v[6:7]
	ds_bpermute_b32 v6, v11, v2
	ds_bpermute_b32 v7, v11, v3
	s_and_saveexec_b32 s5, vcc_lo
	s_cbranch_execz .LBB25_27
; %bb.26:
	s_wait_dscnt 0x0
	v_dual_add_f64 v[2:3], v[2:3], v[6:7] :: v_dual_add_nc_u32 v6, 0, v12
	ds_store_b64 v6, v[2:3]
.LBB25_27:
	s_or_b32 exec_lo, exec_lo, s5
	v_mov_b64_e32 v[2:3], 0
	s_wait_dscnt 0x0
	s_barrier_signal -1
	s_barrier_wait -1
	s_and_saveexec_b32 s5, s2
; %bb.28:
	ds_load_b64 v[2:3], v13
; %bb.29:
	s_or_b32 exec_lo, exec_lo, s5
	s_and_saveexec_b32 s2, s3
	s_cbranch_execz .LBB25_31
; %bb.30:
	s_wait_dscnt 0x0
	ds_bpermute_b32 v6, v1, v2
	ds_bpermute_b32 v7, v1, v3
	s_wait_dscnt 0x0
	v_add_f64_e32 v[2:3], v[2:3], v[6:7]
	ds_bpermute_b32 v6, v8, v2
	ds_bpermute_b32 v7, v8, v3
	s_wait_dscnt 0x0
	v_add_f64_e32 v[2:3], v[2:3], v[6:7]
	;; [unrolled: 4-line block ×5, first 2 shown]
.LBB25_31:
	s_or_b32 exec_lo, exec_lo, s2
	s_delay_alu instid0(SALU_CYCLE_1)
	s_mov_b32 s2, exec_lo
	v_cmpx_eq_u32_e32 0, v0
	s_cbranch_execz .LBB25_33
; %bb.32:
	v_mov_b32_e32 v1, 0
	s_wait_dscnt 0x0
	ds_store_2addr_b64 v1, v[4:5], v[2:3] offset1:1
.LBB25_33:
	s_or_b32 exec_lo, exec_lo, s2
	s_wait_dscnt 0x0
	s_barrier_signal -1
	s_barrier_wait -1
	s_mov_b32 s2, exec_lo
	v_cmpx_gt_i32_e64 s12, v0
	s_cbranch_execz .LBB25_39
; %bb.34:
	v_cvt_f64_i32_e32 v[6:7], s12
	s_load_b64 s[0:1], s[0:1], 0x28
	s_and_b32 s2, 0xffff, s4
	s_cmp_lg_u64 s[14:15], 0
	s_mov_b32 s4, 0
	s_cselect_b32 s3, -1, 0
	v_mov_b32_e32 v1, 0
	s_wait_kmcnt 0x0
	s_add_nc_u64 s[0:1], s[0:1], s[20:21]
	s_delay_alu instid0(VALU_DEP_2) | instskip(NEXT) | instid1(VALU_DEP_1)
	v_div_scale_f64 v[2:3], null, v[6:7], v[6:7], 1.0
	v_rcp_f64_e32 v[4:5], v[2:3]
	v_nop
	s_delay_alu instid0(TRANS32_DEP_1) | instskip(NEXT) | instid1(VALU_DEP_1)
	v_fma_f64 v[8:9], -v[2:3], v[4:5], 1.0
	v_fmac_f64_e32 v[4:5], v[4:5], v[8:9]
	s_delay_alu instid0(VALU_DEP_1) | instskip(NEXT) | instid1(VALU_DEP_1)
	v_fma_f64 v[8:9], -v[2:3], v[4:5], 1.0
	v_fmac_f64_e32 v[4:5], v[4:5], v[8:9]
	v_div_scale_f64 v[8:9], vcc_lo, 1.0, v[6:7], 1.0
	s_delay_alu instid0(VALU_DEP_1) | instskip(NEXT) | instid1(VALU_DEP_1)
	v_mul_f64_e32 v[10:11], v[8:9], v[4:5]
	v_fma_f64 v[2:3], -v[2:3], v[10:11], v[8:9]
	s_delay_alu instid0(VALU_DEP_1) | instskip(NEXT) | instid1(VALU_DEP_1)
	v_div_fmas_f64 v[2:3], v[2:3], v[4:5], v[10:11]
	v_div_fixup_f64 v[2:3], v[2:3], v[6:7], 1.0
	s_delay_alu instid0(VALU_DEP_1)
	v_mul_f64_e32 v[8:9], s[18:19], v[2:3]
	ds_load_2addr_b64 v[2:5], v1 offset1:1
	s_branch .LBB25_37
.LBB25_35:                              ;   in Loop: Header=BB25_37 Depth=1
	s_delay_alu instid0(VALU_DEP_1)
	v_lshl_add_u64 v[14:15], v[0:1], 3, s[14:15]
	global_load_b64 v[14:15], v[14:15], off
.LBB25_36:                              ;   in Loop: Header=BB25_37 Depth=1
	s_wait_loadcnt 0x1
	v_add_f64_e64 v[12:13], v[12:13], -s[16:17]
	s_wait_loadcnt 0x0
	s_wait_xcnt 0x0
	s_delay_alu instid0(VALU_DEP_2) | instskip(NEXT) | instid1(VALU_DEP_2)
	v_mul_f64_e32 v[14:15], v[14:15], v[6:7]
	v_mul_f64_e32 v[12:13], s[18:19], v[12:13]
	s_wait_dscnt 0x0
	s_delay_alu instid0(VALU_DEP_1) | instskip(NEXT) | instid1(VALU_DEP_1)
	v_mul_f64_e32 v[12:13], v[4:5], v[12:13]
	v_fma_f64 v[10:11], v[10:11], v[14:15], -v[12:13]
	v_lshl_add_u64 v[12:13], v[0:1], 3, s[0:1]
	v_add_nc_u32_e32 v0, s2, v0
	s_delay_alu instid0(VALU_DEP_1) | instskip(SKIP_1) | instid1(VALU_DEP_4)
	v_cmp_le_i32_e32 vcc_lo, s12, v0
	s_or_b32 s4, vcc_lo, s4
	v_add_f64_e64 v[10:11], v[10:11], -v[2:3]
	s_delay_alu instid0(VALU_DEP_1)
	v_mul_f64_e32 v[10:11], v[8:9], v[10:11]
	global_store_b64 v[12:13], v[10:11], off
	s_wait_xcnt 0x0
	s_and_not1_b32 exec_lo, exec_lo, s4
	s_cbranch_execz .LBB25_39
.LBB25_37:                              ; =>This Inner Loop Header: Depth=1
	s_clause 0x1
	global_load_b64 v[12:13], v0, s[8:9] scale_offset
	global_load_b64 v[10:11], v0, s[10:11] scale_offset
	v_ashrrev_i32_e32 v1, 31, v0
	s_and_not1_b32 vcc_lo, exec_lo, s3
	s_cbranch_vccz .LBB25_35
; %bb.38:                               ;   in Loop: Header=BB25_37 Depth=1
	v_mov_b64_e32 v[14:15], 1.0
	s_branch .LBB25_36
.LBB25_39:
	s_endpgm
	.section	.rodata,"a",@progbits
	.p2align	6, 0x0
	.amdhsa_kernel _ZN2at6native12_GLOBAL__N_128layer_norm_grad_input_kernelIddLb0EEEvPKT_S5_PKT0_S8_S5_PS3_i
		.amdhsa_group_segment_fixed_size 0
		.amdhsa_private_segment_fixed_size 0
		.amdhsa_kernarg_size 312
		.amdhsa_user_sgpr_count 2
		.amdhsa_user_sgpr_dispatch_ptr 0
		.amdhsa_user_sgpr_queue_ptr 0
		.amdhsa_user_sgpr_kernarg_segment_ptr 1
		.amdhsa_user_sgpr_dispatch_id 0
		.amdhsa_user_sgpr_kernarg_preload_length 0
		.amdhsa_user_sgpr_kernarg_preload_offset 0
		.amdhsa_user_sgpr_private_segment_size 0
		.amdhsa_wavefront_size32 1
		.amdhsa_uses_dynamic_stack 0
		.amdhsa_enable_private_segment 0
		.amdhsa_system_sgpr_workgroup_id_x 1
		.amdhsa_system_sgpr_workgroup_id_y 0
		.amdhsa_system_sgpr_workgroup_id_z 0
		.amdhsa_system_sgpr_workgroup_info 0
		.amdhsa_system_vgpr_workitem_id 0
		.amdhsa_next_free_vgpr 36
		.amdhsa_next_free_sgpr 25
		.amdhsa_named_barrier_count 0
		.amdhsa_reserve_vcc 1
		.amdhsa_float_round_mode_32 0
		.amdhsa_float_round_mode_16_64 0
		.amdhsa_float_denorm_mode_32 3
		.amdhsa_float_denorm_mode_16_64 3
		.amdhsa_fp16_overflow 0
		.amdhsa_memory_ordered 1
		.amdhsa_forward_progress 1
		.amdhsa_inst_pref_size 16
		.amdhsa_round_robin_scheduling 0
		.amdhsa_exception_fp_ieee_invalid_op 0
		.amdhsa_exception_fp_denorm_src 0
		.amdhsa_exception_fp_ieee_div_zero 0
		.amdhsa_exception_fp_ieee_overflow 0
		.amdhsa_exception_fp_ieee_underflow 0
		.amdhsa_exception_fp_ieee_inexact 0
		.amdhsa_exception_int_div_zero 0
	.end_amdhsa_kernel
	.section	.text._ZN2at6native12_GLOBAL__N_128layer_norm_grad_input_kernelIddLb0EEEvPKT_S5_PKT0_S8_S5_PS3_i,"axG",@progbits,_ZN2at6native12_GLOBAL__N_128layer_norm_grad_input_kernelIddLb0EEEvPKT_S5_PKT0_S8_S5_PS3_i,comdat
.Lfunc_end25:
	.size	_ZN2at6native12_GLOBAL__N_128layer_norm_grad_input_kernelIddLb0EEEvPKT_S5_PKT0_S8_S5_PS3_i, .Lfunc_end25-_ZN2at6native12_GLOBAL__N_128layer_norm_grad_input_kernelIddLb0EEEvPKT_S5_PKT0_S8_S5_PS3_i
                                        ; -- End function
	.set _ZN2at6native12_GLOBAL__N_128layer_norm_grad_input_kernelIddLb0EEEvPKT_S5_PKT0_S8_S5_PS3_i.num_vgpr, 36
	.set _ZN2at6native12_GLOBAL__N_128layer_norm_grad_input_kernelIddLb0EEEvPKT_S5_PKT0_S8_S5_PS3_i.num_agpr, 0
	.set _ZN2at6native12_GLOBAL__N_128layer_norm_grad_input_kernelIddLb0EEEvPKT_S5_PKT0_S8_S5_PS3_i.numbered_sgpr, 25
	.set _ZN2at6native12_GLOBAL__N_128layer_norm_grad_input_kernelIddLb0EEEvPKT_S5_PKT0_S8_S5_PS3_i.num_named_barrier, 0
	.set _ZN2at6native12_GLOBAL__N_128layer_norm_grad_input_kernelIddLb0EEEvPKT_S5_PKT0_S8_S5_PS3_i.private_seg_size, 0
	.set _ZN2at6native12_GLOBAL__N_128layer_norm_grad_input_kernelIddLb0EEEvPKT_S5_PKT0_S8_S5_PS3_i.uses_vcc, 1
	.set _ZN2at6native12_GLOBAL__N_128layer_norm_grad_input_kernelIddLb0EEEvPKT_S5_PKT0_S8_S5_PS3_i.uses_flat_scratch, 0
	.set _ZN2at6native12_GLOBAL__N_128layer_norm_grad_input_kernelIddLb0EEEvPKT_S5_PKT0_S8_S5_PS3_i.has_dyn_sized_stack, 0
	.set _ZN2at6native12_GLOBAL__N_128layer_norm_grad_input_kernelIddLb0EEEvPKT_S5_PKT0_S8_S5_PS3_i.has_recursion, 0
	.set _ZN2at6native12_GLOBAL__N_128layer_norm_grad_input_kernelIddLb0EEEvPKT_S5_PKT0_S8_S5_PS3_i.has_indirect_call, 0
	.section	.AMDGPU.csdata,"",@progbits
; Kernel info:
; codeLenInByte = 2044
; TotalNumSgprs: 27
; NumVgprs: 36
; ScratchSize: 0
; MemoryBound: 0
; FloatMode: 240
; IeeeMode: 1
; LDSByteSize: 0 bytes/workgroup (compile time only)
; SGPRBlocks: 0
; VGPRBlocks: 2
; NumSGPRsForWavesPerEU: 27
; NumVGPRsForWavesPerEU: 36
; NamedBarCnt: 0
; Occupancy: 16
; WaveLimiterHint : 0
; COMPUTE_PGM_RSRC2:SCRATCH_EN: 0
; COMPUTE_PGM_RSRC2:USER_SGPR: 2
; COMPUTE_PGM_RSRC2:TRAP_HANDLER: 0
; COMPUTE_PGM_RSRC2:TGID_X_EN: 1
; COMPUTE_PGM_RSRC2:TGID_Y_EN: 0
; COMPUTE_PGM_RSRC2:TGID_Z_EN: 0
; COMPUTE_PGM_RSRC2:TIDIG_COMP_CNT: 0
	.section	.text._ZN2at6native12_GLOBAL__N_133GammaBetaBackwardSimpleCUDAKernelIddLb0EEEvllPKT_S5_PKT0_S8_PS3_S9_,"axG",@progbits,_ZN2at6native12_GLOBAL__N_133GammaBetaBackwardSimpleCUDAKernelIddLb0EEEvllPKT_S5_PKT0_S8_PS3_S9_,comdat
	.globl	_ZN2at6native12_GLOBAL__N_133GammaBetaBackwardSimpleCUDAKernelIddLb0EEEvllPKT_S5_PKT0_S8_PS3_S9_ ; -- Begin function _ZN2at6native12_GLOBAL__N_133GammaBetaBackwardSimpleCUDAKernelIddLb0EEEvllPKT_S5_PKT0_S8_PS3_S9_
	.p2align	8
	.type	_ZN2at6native12_GLOBAL__N_133GammaBetaBackwardSimpleCUDAKernelIddLb0EEEvllPKT_S5_PKT0_S8_PS3_S9_,@function
_ZN2at6native12_GLOBAL__N_133GammaBetaBackwardSimpleCUDAKernelIddLb0EEEvllPKT_S5_PKT0_S8_PS3_S9_: ; @_ZN2at6native12_GLOBAL__N_133GammaBetaBackwardSimpleCUDAKernelIddLb0EEEvllPKT_S5_PKT0_S8_PS3_S9_
; %bb.0:
	s_load_b32 s2, s[0:1], 0x4c
	s_bfe_u32 s20, ttmp6, 0x4000c
	s_load_b512 s[4:19], s[0:1], 0x0
	s_add_co_i32 s20, s20, 1
	s_and_b32 s3, ttmp6, 15
	s_wait_xcnt 0x0
	s_mul_i32 s1, ttmp9, s20
	s_getreg_b32 s0, hwreg(HW_REG_IB_STS2, 6, 4)
	v_mov_b32_e32 v1, 0
	s_add_co_i32 s3, s3, s1
	s_wait_kmcnt 0x0
	s_and_b32 s2, s2, 0xffff
	s_cmp_eq_u32 s0, 0
	s_cselect_b32 s0, ttmp9, s3
	s_delay_alu instid0(SALU_CYCLE_1) | instskip(SKIP_1) | instid1(VALU_DEP_1)
	v_mad_nc_u64_u32 v[0:1], s2, s0, v[0:1]
	s_mov_b32 s0, exec_lo
	v_cmpx_gt_i64_e64 s[6:7], v[0:1]
	s_cbranch_execz .LBB26_14
; %bb.1:
	v_cmp_lt_i64_e64 s0, s[4:5], 1
	s_and_b32 vcc_lo, exec_lo, s0
	s_cbranch_vccnz .LBB26_9
; %bb.2:
	v_lshlrev_b64_e32 v[6:7], 3, v[0:1]
	v_mov_b64_e32 v[2:3], 0
	v_mov_b64_e32 v[4:5], 0
	s_cmp_lg_u64 s[16:17], 0
	s_cselect_b32 s2, -1, 0
	s_cmp_lg_u64 s[18:19], 0
	s_cselect_b32 s3, -1, 0
	s_lshl_b64 s[0:1], s[6:7], 3
	s_branch .LBB26_5
.LBB26_3:                               ;   in Loop: Header=BB26_5 Depth=1
	global_load_b64 v[8:9], v[8:9], off
.LBB26_4:                               ;   in Loop: Header=BB26_5 Depth=1
	s_delay_alu instid0(VALU_DEP_2) | instskip(SKIP_1) | instid1(VALU_DEP_2)
	v_add_f64_e32 v[2:3], v[2:3], v[10:11]
	s_wait_loadcnt 0x0
	v_add_f64_e32 v[4:5], v[4:5], v[8:9]
	v_add_nc_u64_e32 v[6:7], s[0:1], v[6:7]
	s_add_nc_u64 s[4:5], s[4:5], -1
	s_add_nc_u64 s[14:15], s[14:15], 8
	s_cmp_eq_u64 s[4:5], 0
	s_add_nc_u64 s[12:13], s[12:13], 8
	s_cbranch_scc1 .LBB26_10
.LBB26_5:                               ; =>This Inner Loop Header: Depth=1
	s_delay_alu instid0(VALU_DEP_1)
	v_add_nc_u64_e32 v[8:9], s[8:9], v[6:7]
	v_mov_b64_e32 v[10:11], 0
	s_and_not1_b32 vcc_lo, exec_lo, s2
	s_cbranch_vccnz .LBB26_7
; %bb.6:                                ;   in Loop: Header=BB26_5 Depth=1
	v_add_nc_u64_e32 v[10:11], s[10:11], v[6:7]
	global_load_b64 v[12:13], v[10:11], off
	global_load_b64 v[14:15], v[8:9], off
	s_load_b64 s[6:7], s[12:13], 0x0
	s_wait_loadcnt 0x1
	s_wait_kmcnt 0x0
	v_add_f64_e64 v[10:11], v[12:13], -s[6:7]
	s_load_b64 s[6:7], s[14:15], 0x0
	s_wait_loadcnt 0x0
	s_delay_alu instid0(VALU_DEP_1) | instskip(SKIP_1) | instid1(VALU_DEP_1)
	v_mul_f64_e32 v[10:11], v[14:15], v[10:11]
	s_wait_kmcnt 0x0
	v_mul_f64_e32 v[10:11], s[6:7], v[10:11]
.LBB26_7:                               ;   in Loop: Header=BB26_5 Depth=1
	s_and_not1_b32 vcc_lo, exec_lo, s3
	s_cbranch_vccz .LBB26_3
; %bb.8:                                ;   in Loop: Header=BB26_5 Depth=1
	v_mov_b64_e32 v[8:9], 0
	s_branch .LBB26_4
.LBB26_9:
	v_mov_b64_e32 v[2:3], 0
	v_mov_b64_e32 v[4:5], 0
.LBB26_10:
	s_cmp_lg_u64 s[16:17], 0
	s_cbranch_scc0 .LBB26_12
; %bb.11:
	v_lshl_add_u64 v[6:7], v[0:1], 3, s[16:17]
	global_store_b64 v[6:7], v[2:3], off
.LBB26_12:
	s_cmp_eq_u64 s[18:19], 0
	s_cbranch_scc1 .LBB26_14
; %bb.13:
	v_lshl_add_u64 v[0:1], v[0:1], 3, s[18:19]
	global_store_b64 v[0:1], v[4:5], off
.LBB26_14:
	s_endpgm
	.section	.rodata,"a",@progbits
	.p2align	6, 0x0
	.amdhsa_kernel _ZN2at6native12_GLOBAL__N_133GammaBetaBackwardSimpleCUDAKernelIddLb0EEEvllPKT_S5_PKT0_S8_PS3_S9_
		.amdhsa_group_segment_fixed_size 0
		.amdhsa_private_segment_fixed_size 0
		.amdhsa_kernarg_size 320
		.amdhsa_user_sgpr_count 2
		.amdhsa_user_sgpr_dispatch_ptr 0
		.amdhsa_user_sgpr_queue_ptr 0
		.amdhsa_user_sgpr_kernarg_segment_ptr 1
		.amdhsa_user_sgpr_dispatch_id 0
		.amdhsa_user_sgpr_kernarg_preload_length 0
		.amdhsa_user_sgpr_kernarg_preload_offset 0
		.amdhsa_user_sgpr_private_segment_size 0
		.amdhsa_wavefront_size32 1
		.amdhsa_uses_dynamic_stack 0
		.amdhsa_enable_private_segment 0
		.amdhsa_system_sgpr_workgroup_id_x 1
		.amdhsa_system_sgpr_workgroup_id_y 0
		.amdhsa_system_sgpr_workgroup_id_z 0
		.amdhsa_system_sgpr_workgroup_info 0
		.amdhsa_system_vgpr_workitem_id 0
		.amdhsa_next_free_vgpr 16
		.amdhsa_next_free_sgpr 21
		.amdhsa_named_barrier_count 0
		.amdhsa_reserve_vcc 1
		.amdhsa_float_round_mode_32 0
		.amdhsa_float_round_mode_16_64 0
		.amdhsa_float_denorm_mode_32 3
		.amdhsa_float_denorm_mode_16_64 3
		.amdhsa_fp16_overflow 0
		.amdhsa_memory_ordered 1
		.amdhsa_forward_progress 1
		.amdhsa_inst_pref_size 4
		.amdhsa_round_robin_scheduling 0
		.amdhsa_exception_fp_ieee_invalid_op 0
		.amdhsa_exception_fp_denorm_src 0
		.amdhsa_exception_fp_ieee_div_zero 0
		.amdhsa_exception_fp_ieee_overflow 0
		.amdhsa_exception_fp_ieee_underflow 0
		.amdhsa_exception_fp_ieee_inexact 0
		.amdhsa_exception_int_div_zero 0
	.end_amdhsa_kernel
	.section	.text._ZN2at6native12_GLOBAL__N_133GammaBetaBackwardSimpleCUDAKernelIddLb0EEEvllPKT_S5_PKT0_S8_PS3_S9_,"axG",@progbits,_ZN2at6native12_GLOBAL__N_133GammaBetaBackwardSimpleCUDAKernelIddLb0EEEvllPKT_S5_PKT0_S8_PS3_S9_,comdat
.Lfunc_end26:
	.size	_ZN2at6native12_GLOBAL__N_133GammaBetaBackwardSimpleCUDAKernelIddLb0EEEvllPKT_S5_PKT0_S8_PS3_S9_, .Lfunc_end26-_ZN2at6native12_GLOBAL__N_133GammaBetaBackwardSimpleCUDAKernelIddLb0EEEvllPKT_S5_PKT0_S8_PS3_S9_
                                        ; -- End function
	.set _ZN2at6native12_GLOBAL__N_133GammaBetaBackwardSimpleCUDAKernelIddLb0EEEvllPKT_S5_PKT0_S8_PS3_S9_.num_vgpr, 16
	.set _ZN2at6native12_GLOBAL__N_133GammaBetaBackwardSimpleCUDAKernelIddLb0EEEvllPKT_S5_PKT0_S8_PS3_S9_.num_agpr, 0
	.set _ZN2at6native12_GLOBAL__N_133GammaBetaBackwardSimpleCUDAKernelIddLb0EEEvllPKT_S5_PKT0_S8_PS3_S9_.numbered_sgpr, 21
	.set _ZN2at6native12_GLOBAL__N_133GammaBetaBackwardSimpleCUDAKernelIddLb0EEEvllPKT_S5_PKT0_S8_PS3_S9_.num_named_barrier, 0
	.set _ZN2at6native12_GLOBAL__N_133GammaBetaBackwardSimpleCUDAKernelIddLb0EEEvllPKT_S5_PKT0_S8_PS3_S9_.private_seg_size, 0
	.set _ZN2at6native12_GLOBAL__N_133GammaBetaBackwardSimpleCUDAKernelIddLb0EEEvllPKT_S5_PKT0_S8_PS3_S9_.uses_vcc, 1
	.set _ZN2at6native12_GLOBAL__N_133GammaBetaBackwardSimpleCUDAKernelIddLb0EEEvllPKT_S5_PKT0_S8_PS3_S9_.uses_flat_scratch, 0
	.set _ZN2at6native12_GLOBAL__N_133GammaBetaBackwardSimpleCUDAKernelIddLb0EEEvllPKT_S5_PKT0_S8_PS3_S9_.has_dyn_sized_stack, 0
	.set _ZN2at6native12_GLOBAL__N_133GammaBetaBackwardSimpleCUDAKernelIddLb0EEEvllPKT_S5_PKT0_S8_PS3_S9_.has_recursion, 0
	.set _ZN2at6native12_GLOBAL__N_133GammaBetaBackwardSimpleCUDAKernelIddLb0EEEvllPKT_S5_PKT0_S8_PS3_S9_.has_indirect_call, 0
	.section	.AMDGPU.csdata,"",@progbits
; Kernel info:
; codeLenInByte = 388
; TotalNumSgprs: 23
; NumVgprs: 16
; ScratchSize: 0
; MemoryBound: 1
; FloatMode: 240
; IeeeMode: 1
; LDSByteSize: 0 bytes/workgroup (compile time only)
; SGPRBlocks: 0
; VGPRBlocks: 0
; NumSGPRsForWavesPerEU: 23
; NumVGPRsForWavesPerEU: 16
; NamedBarCnt: 0
; Occupancy: 16
; WaveLimiterHint : 0
; COMPUTE_PGM_RSRC2:SCRATCH_EN: 0
; COMPUTE_PGM_RSRC2:USER_SGPR: 2
; COMPUTE_PGM_RSRC2:TRAP_HANDLER: 0
; COMPUTE_PGM_RSRC2:TGID_X_EN: 1
; COMPUTE_PGM_RSRC2:TGID_Y_EN: 0
; COMPUTE_PGM_RSRC2:TGID_Z_EN: 0
; COMPUTE_PGM_RSRC2:TIDIG_COMP_CNT: 0
	.section	.text._ZN2at6native12_GLOBAL__N_135GammaBetaBackwardCUDAKernelTemplateIddLj64ELj1ELj32ELb1ELb1ELb0EEEvllPKT_S5_PKT0_S8_PS3_S9_,"axG",@progbits,_ZN2at6native12_GLOBAL__N_135GammaBetaBackwardCUDAKernelTemplateIddLj64ELj1ELj32ELb1ELb1ELb0EEEvllPKT_S5_PKT0_S8_PS3_S9_,comdat
	.globl	_ZN2at6native12_GLOBAL__N_135GammaBetaBackwardCUDAKernelTemplateIddLj64ELj1ELj32ELb1ELb1ELb0EEEvllPKT_S5_PKT0_S8_PS3_S9_ ; -- Begin function _ZN2at6native12_GLOBAL__N_135GammaBetaBackwardCUDAKernelTemplateIddLj64ELj1ELj32ELb1ELb1ELb0EEEvllPKT_S5_PKT0_S8_PS3_S9_
	.p2align	8
	.type	_ZN2at6native12_GLOBAL__N_135GammaBetaBackwardCUDAKernelTemplateIddLj64ELj1ELj32ELb1ELb1ELb0EEEvllPKT_S5_PKT0_S8_PS3_S9_,@function
_ZN2at6native12_GLOBAL__N_135GammaBetaBackwardCUDAKernelTemplateIddLj64ELj1ELj32ELb1ELb1ELb0EEEvllPKT_S5_PKT0_S8_PS3_S9_: ; @_ZN2at6native12_GLOBAL__N_135GammaBetaBackwardCUDAKernelTemplateIddLj64ELj1ELj32ELb1ELb1ELb0EEEvllPKT_S5_PKT0_S8_PS3_S9_
; %bb.0:
	s_load_b128 s[12:15], s[0:1], 0x0
	s_bfe_u32 s3, ttmp6, 0x4000c
	s_bfe_u32 s4, ttmp6, 0x40010
	s_add_co_i32 s3, s3, 1
	s_add_co_i32 s4, s4, 1
	s_and_b32 s2, ttmp6, 15
	s_bfe_u32 s5, ttmp6, 0x40004
	s_mul_i32 s3, ttmp9, s3
	s_mul_i32 s4, ttmp7, s4
	s_getreg_b32 s6, hwreg(HW_REG_IB_STS2, 6, 4)
	s_add_co_i32 s2, s2, s3
	s_add_co_i32 s5, s5, s4
	s_cmp_eq_u32 s6, 0
	s_mov_b32 s3, 0
	s_cselect_b32 s17, ttmp7, s5
	s_cselect_b32 s16, ttmp9, s2
	s_lshl_b32 s2, s17, 5
	v_bfe_u32 v1, v0, 10, 10
	s_add_nc_u64 s[18:19], s[0:1], 64
	s_wait_kmcnt 0x0
	v_cmp_gt_i64_e64 s4, s[12:13], s[2:3]
	s_and_b32 vcc_lo, exec_lo, s4
	s_cbranch_vccnz .LBB27_2
; %bb.1:
	v_bfe_u32 v2, v0, 10, 10
	s_add_nc_u64 s[4:5], s[0:1], 64
	s_mov_b32 s6, s3
	s_branch .LBB27_3
.LBB27_2:
	s_mov_b32 s6, -1
                                        ; implicit-def: $sgpr4_sgpr5
                                        ; implicit-def: $vgpr2
.LBB27_3:
	v_mov_b64_e32 v[16:17], 0
	v_mov_b64_e32 v[4:5], 0
	v_and_b32_e32 v0, 0x3ff, v0
	s_and_not1_b32 vcc_lo, exec_lo, s6
	s_cbranch_vccnz .LBB27_9
; %bb.4:
	v_dual_mov_b32 v3, 0 :: v_dual_lshlrev_b32 v2, 5, v1
	s_clause 0x2
	s_load_b32 s20, s[0:1], 0x4c
	s_load_b32 s22, s[0:1], 0x44
	s_load_b256 s[4:11], s[0:1], 0x10
	v_lshl_add_u32 v4, s16, 6, v0
	v_mov_b64_e32 v[16:17], 0
	s_mov_b32 s21, 0
	v_add_nc_u64_e32 v[6:7], s[2:3], v[2:3]
	v_dual_mov_b32 v9, v3 :: v_dual_mov_b32 v5, v3
	v_dual_mov_b32 v18, 4 :: v_dual_mov_b32 v19, 8
	;; [unrolled: 1-line block ×3, first 2 shown]
	s_delay_alu instid0(VALU_DEP_4) | instskip(NEXT) | instid1(VALU_DEP_4)
	v_mul_u64_e32 v[10:11], s[14:15], v[6:7]
	v_lshlrev_b64_e32 v[12:13], 3, v[4:5]
	v_mov_b64_e32 v[4:5], 0
	v_dual_mov_b32 v22, 20 :: v_dual_mov_b32 v2, 24
	v_dual_mov_b32 v23, 28 :: v_dual_mov_b32 v24, 32
	s_wait_kmcnt 0x0
	s_and_b32 s20, s20, 0xffff
	v_dual_mov_b32 v25, 36 :: v_dual_mov_b32 v26, 40
	v_mad_u32_u24 v8, v1, s20, v0
	s_lshl_b32 s20, s22, 5
	v_dual_mov_b32 v31, 60 :: v_dual_mov_b32 v27, 44
	s_delay_alu instid0(VALU_DEP_2) | instskip(SKIP_2) | instid1(VALU_DEP_3)
	v_dual_mov_b32 v28, 48 :: v_dual_bitop2_b32 v8, 31, v8 bitop3:0x40
	v_dual_mov_b32 v29, 52 :: v_dual_mov_b32 v30, 56
	v_dual_mov_b32 v32, 64 :: v_dual_mov_b32 v33, 0x44
	v_add_nc_u64_e32 v[6:7], v[6:7], v[8:9]
	v_mov_b32_e32 v34, 0x48
	v_mov_b32_e32 v35, 0x4c
	v_mov_b32_e32 v36, 0x50
	v_mov_b32_e32 v37, 0x54
	v_mov_b32_e32 v38, 0x58
	v_mov_b32_e32 v39, 0x5c
	v_lshlrev_b64_e32 v[8:9], 3, v[6:7]
	v_mov_b32_e32 v40, 0x60
	v_mov_b32_e32 v41, 0x64
	;; [unrolled: 1-line block ×8, first 2 shown]
	v_lshl_add_u64 v[10:11], v[10:11], 3, v[12:13]
	s_mul_u64 s[22:23], s[14:15], s[20:21]
	s_lshl_b64 s[24:25], s[20:21], 3
	s_lshl_b64 s[22:23], s[22:23], 3
	;; [unrolled: 1-line block ×3, first 2 shown]
	s_branch .LBB27_6
.LBB27_5:                               ;   in Loop: Header=BB27_6 Depth=1
	s_wait_xcnt 0x0
	s_or_b32 exec_lo, exec_lo, s28
	v_add_nc_u64_e32 v[48:49], s[6:7], v[10:11]
	v_add_nc_u64_e32 v[52:53], s[4:5], v[10:11]
	s_wait_loadcnt 0x1
	ds_bpermute_b32 v90, v3, v14
	ds_bpermute_b32 v91, v3, v15
	s_wait_loadcnt 0x0
	ds_bpermute_b32 v100, v3, v12
	ds_bpermute_b32 v101, v3, v13
	s_add_nc_u64 s[2:3], s[2:3], s[20:21]
	global_load_b64 v[50:51], v[48:49], off
	s_wait_xcnt 0x0
	v_add_nc_u64_e32 v[48:49], s[26:27], v[48:49]
	v_cmp_lt_i64_e64 s28, s[2:3], s[12:13]
	v_add_nc_u64_e32 v[10:11], s[22:23], v[10:11]
	v_add_nc_u64_e32 v[8:9], s[24:25], v[8:9]
	;; [unrolled: 1-line block ×3, first 2 shown]
	global_load_b64 v[54:55], v[48:49], off
	global_load_b64 v[56:57], v[52:53], off
	s_wait_xcnt 0x1
	v_add_nc_u64_e32 v[48:49], s[26:27], v[48:49]
	s_wait_xcnt 0x0
	v_add_nc_u64_e32 v[52:53], s[26:27], v[52:53]
	s_and_b32 vcc_lo, exec_lo, s28
	global_load_b64 v[58:59], v[48:49], off
	global_load_b64 v[60:61], v[52:53], off
	s_wait_xcnt 0x1
	v_add_nc_u64_e32 v[48:49], s[26:27], v[48:49]
	s_wait_xcnt 0x0
	v_add_nc_u64_e32 v[52:53], s[26:27], v[52:53]
	global_load_b64 v[62:63], v[48:49], off
	global_load_b64 v[64:65], v[52:53], off
	s_wait_xcnt 0x1
	v_add_nc_u64_e32 v[48:49], s[26:27], v[48:49]
	s_wait_xcnt 0x0
	v_add_nc_u64_e32 v[52:53], s[26:27], v[52:53]
	;; [unrolled: 6-line block ×8, first 2 shown]
	global_load_b64 v[92:93], v[48:49], off
	global_load_b64 v[94:95], v[52:53], off
	s_wait_xcnt 0x0
	v_add_nc_u64_e32 v[52:53], s[26:27], v[52:53]
	v_add_nc_u64_e32 v[48:49], s[26:27], v[48:49]
	global_load_b64 v[96:97], v[52:53], off
	global_load_b64 v[98:99], v[48:49], off
	s_wait_xcnt 0x1
	v_add_nc_u64_e32 v[52:53], s[26:27], v[52:53]
	s_wait_xcnt 0x0
	v_add_nc_u64_e32 v[48:49], s[26:27], v[48:49]
	global_load_b64 v[102:103], v[52:53], off
	global_load_b64 v[104:105], v[48:49], off
	s_wait_xcnt 0x1
	v_add_nc_u64_e32 v[52:53], s[26:27], v[52:53]
	s_wait_xcnt 0x0
	v_add_nc_u64_e32 v[48:49], s[26:27], v[48:49]
	s_wait_loadcnt_dscnt 0x1802
	v_add_f64_e64 v[50:51], v[50:51], -v[90:91]
	ds_bpermute_b32 v90, v18, v14
	ds_bpermute_b32 v91, v18, v15
	s_wait_loadcnt 0x16
	v_add_f64_e32 v[16:17], v[16:17], v[56:57]
	s_wait_dscnt 0x0
	v_add_f64_e64 v[54:55], v[54:55], -v[90:91]
	ds_bpermute_b32 v90, v19, v14
	ds_bpermute_b32 v91, v19, v15
	v_mul_f64_e32 v[50:51], v[56:57], v[50:51]
	ds_bpermute_b32 v56, v18, v12
	ds_bpermute_b32 v57, v18, v13
	s_wait_loadcnt 0x14
	v_add_f64_e32 v[16:17], v[16:17], v[60:61]
	s_wait_dscnt 0x2
	v_add_f64_e64 v[58:59], v[58:59], -v[90:91]
	v_mul_f64_e32 v[54:55], v[60:61], v[54:55]
	v_fmac_f64_e32 v[4:5], v[50:51], v[100:101]
	ds_bpermute_b32 v50, v20, v14
	ds_bpermute_b32 v51, v20, v15
	global_load_b64 v[90:91], v[52:53], off
	global_load_b64 v[100:101], v[48:49], off
	s_wait_xcnt 0x1
	v_add_nc_u64_e32 v[52:53], s[26:27], v[52:53]
	s_wait_xcnt 0x0
	v_add_nc_u64_e32 v[48:49], s[26:27], v[48:49]
	s_wait_loadcnt 0x14
	v_add_f64_e32 v[16:17], v[16:17], v[64:65]
	v_mul_f64_e32 v[58:59], v[64:65], v[58:59]
	s_wait_dscnt 0x0
	v_add_f64_e64 v[50:51], v[62:63], -v[50:51]
	global_load_b64 v[60:61], v[52:53], off
	global_load_b64 v[62:63], v[48:49], off
	s_wait_xcnt 0x1
	v_add_nc_u64_e32 v[52:53], s[26:27], v[52:53]
	s_wait_xcnt 0x0
	v_add_nc_u64_e32 v[48:49], s[26:27], v[48:49]
	v_fmac_f64_e32 v[4:5], v[54:55], v[56:57]
	ds_bpermute_b32 v54, v21, v14
	ds_bpermute_b32 v55, v21, v15
	ds_bpermute_b32 v56, v19, v12
	ds_bpermute_b32 v57, v19, v13
	s_wait_loadcnt 0x14
	v_add_f64_e32 v[16:17], v[16:17], v[68:69]
	s_wait_dscnt 0x2
	v_add_f64_e64 v[54:55], v[66:67], -v[54:55]
	v_mul_f64_e32 v[50:51], v[68:69], v[50:51]
	global_load_b64 v[64:65], v[52:53], off
	global_load_b64 v[66:67], v[48:49], off
	s_wait_xcnt 0x1
	v_add_nc_u64_e32 v[52:53], s[26:27], v[52:53]
	s_wait_xcnt 0x0
	v_add_nc_u64_e32 v[48:49], s[26:27], v[48:49]
	s_wait_dscnt 0x0
	v_fmac_f64_e32 v[4:5], v[58:59], v[56:57]
	ds_bpermute_b32 v56, v22, v14
	ds_bpermute_b32 v57, v22, v15
	ds_bpermute_b32 v58, v20, v12
	ds_bpermute_b32 v59, v20, v13
	s_wait_loadcnt 0x14
	v_add_f64_e32 v[16:17], v[16:17], v[72:73]
	s_wait_dscnt 0x2
	v_add_f64_e64 v[56:57], v[70:71], -v[56:57]
	v_mul_f64_e32 v[54:55], v[72:73], v[54:55]
	global_load_b64 v[68:69], v[52:53], off
	global_load_b64 v[70:71], v[48:49], off
	s_wait_xcnt 0x1
	v_add_nc_u64_e32 v[52:53], s[26:27], v[52:53]
	s_wait_xcnt 0x0
	v_add_nc_u64_e32 v[48:49], s[26:27], v[48:49]
	s_wait_dscnt 0x0
	;; [unrolled: 17-line block ×7, first 2 shown]
	v_fmac_f64_e32 v[4:5], v[56:57], v[58:59]
	ds_bpermute_b32 v56, v27, v14
	ds_bpermute_b32 v57, v27, v15
	ds_bpermute_b32 v58, v25, v12
	ds_bpermute_b32 v59, v25, v13
	s_wait_loadcnt 0x15
	v_add_f64_e32 v[16:17], v[16:17], v[96:97]
	s_wait_loadcnt_dscnt 0x1402
	v_add_f64_e64 v[56:57], v[98:99], -v[56:57]
	v_mul_f64_e32 v[54:55], v[96:97], v[54:55]
	global_load_b64 v[94:95], v[52:53], off
	global_load_b64 v[98:99], v[48:49], off
	s_wait_xcnt 0x1
	v_add_nc_u64_e32 v[52:53], s[26:27], v[52:53]
	s_wait_xcnt 0x0
	v_add_nc_u64_e32 v[48:49], s[26:27], v[48:49]
	s_wait_dscnt 0x0
	v_fmac_f64_e32 v[4:5], v[50:51], v[58:59]
	ds_bpermute_b32 v50, v28, v14
	ds_bpermute_b32 v51, v28, v15
	ds_bpermute_b32 v58, v26, v12
	ds_bpermute_b32 v59, v26, v13
	s_wait_loadcnt 0x15
	v_add_f64_e32 v[16:17], v[16:17], v[102:103]
	s_wait_loadcnt_dscnt 0x1402
	v_add_f64_e64 v[50:51], v[104:105], -v[50:51]
	v_mul_f64_e32 v[56:57], v[102:103], v[56:57]
	global_load_b64 v[96:97], v[52:53], off
	global_load_b64 v[104:105], v[48:49], off
	s_wait_xcnt 0x1
	v_add_nc_u64_e32 v[52:53], s[26:27], v[52:53]
	s_wait_xcnt 0x0
	v_add_nc_u64_e32 v[48:49], s[26:27], v[48:49]
	s_wait_dscnt 0x0
	;; [unrolled: 17-line block ×9, first 2 shown]
	v_fmac_f64_e32 v[4:5], v[56:57], v[58:59]
	ds_bpermute_b32 v56, v36, v14
	ds_bpermute_b32 v57, v36, v15
	;; [unrolled: 1-line block ×4, first 2 shown]
	s_wait_loadcnt 0x15
	v_add_f64_e32 v[16:17], v[16:17], v[84:85]
	s_wait_loadcnt_dscnt 0x1402
	v_add_f64_e64 v[56:57], v[86:87], -v[56:57]
	v_mul_f64_e32 v[54:55], v[84:85], v[54:55]
	global_load_b64 v[80:81], v[52:53], off
	global_load_b64 v[86:87], v[48:49], off
	s_wait_xcnt 0x1
	v_add_nc_u64_e32 v[52:53], s[26:27], v[52:53]
	global_load_b64 v[52:53], v[52:53], off
	s_wait_dscnt 0x0
	v_fmac_f64_e32 v[4:5], v[50:51], v[58:59]
	ds_bpermute_b32 v50, v37, v14
	ds_bpermute_b32 v51, v37, v15
	ds_bpermute_b32 v58, v35, v12
	ds_bpermute_b32 v59, v35, v13
	s_wait_loadcnt 0x16
	v_add_f64_e32 v[16:17], v[16:17], v[88:89]
	s_wait_loadcnt_dscnt 0x1502
	s_wait_xcnt 0x1
	v_add_f64_e64 v[48:49], v[92:93], -v[50:51]
	v_mul_f64_e32 v[50:51], v[88:89], v[56:57]
	ds_bpermute_b32 v56, v36, v12
	ds_bpermute_b32 v57, v36, v13
	s_wait_dscnt 0x2
	v_fmac_f64_e32 v[4:5], v[54:55], v[58:59]
	ds_bpermute_b32 v54, v38, v14
	ds_bpermute_b32 v55, v38, v15
	s_wait_loadcnt 0x14
	v_add_f64_e32 v[16:17], v[16:17], v[94:95]
	s_wait_loadcnt_dscnt 0x1300
	v_add_f64_e64 v[54:55], v[98:99], -v[54:55]
	v_mul_f64_e32 v[48:49], v[94:95], v[48:49]
	v_fmac_f64_e32 v[4:5], v[50:51], v[56:57]
	ds_bpermute_b32 v50, v39, v14
	ds_bpermute_b32 v51, v39, v15
	ds_bpermute_b32 v56, v37, v12
	ds_bpermute_b32 v57, v37, v13
	s_wait_loadcnt 0x12
	v_add_f64_e32 v[16:17], v[16:17], v[96:97]
	s_wait_loadcnt_dscnt 0x1102
	v_add_f64_e64 v[50:51], v[104:105], -v[50:51]
	v_mul_f64_e32 v[54:55], v[96:97], v[54:55]
	s_wait_dscnt 0x0
	v_fmac_f64_e32 v[4:5], v[48:49], v[56:57]
	ds_bpermute_b32 v48, v40, v14
	ds_bpermute_b32 v49, v40, v15
	ds_bpermute_b32 v56, v38, v12
	ds_bpermute_b32 v57, v38, v13
	s_wait_loadcnt 0x10
	v_add_f64_e32 v[16:17], v[16:17], v[100:101]
	s_wait_loadcnt_dscnt 0xf02
	v_add_f64_e64 v[48:49], v[102:103], -v[48:49]
	v_mul_f64_e32 v[50:51], v[100:101], v[50:51]
	s_wait_dscnt 0x0
	;; [unrolled: 11-line block ×7, first 2 shown]
	v_fmac_f64_e32 v[4:5], v[48:49], v[56:57]
	ds_bpermute_b32 v48, v46, v14
	ds_bpermute_b32 v49, v46, v15
	;; [unrolled: 1-line block ×6, first 2 shown]
	s_wait_loadcnt 0x4
	v_add_f64_e32 v[16:17], v[16:17], v[76:77]
	s_wait_loadcnt_dscnt 0x304
	v_add_f64_e64 v[48:49], v[82:83], -v[48:49]
	v_mul_f64_e32 v[50:51], v[76:77], v[50:51]
	s_wait_loadcnt_dscnt 0x100
	v_add_f64_e64 v[14:15], v[86:87], -v[14:15]
	v_fmac_f64_e32 v[4:5], v[54:55], v[56:57]
	ds_bpermute_b32 v54, v45, v12
	ds_bpermute_b32 v55, v45, v13
	v_add_f64_e32 v[16:17], v[16:17], v[80:81]
	v_mul_f64_e32 v[48:49], v[80:81], v[48:49]
	s_wait_loadcnt 0x0
	v_mul_f64_e32 v[14:15], v[52:53], v[14:15]
	s_wait_dscnt 0x0
	v_fmac_f64_e32 v[4:5], v[50:51], v[54:55]
	ds_bpermute_b32 v50, v46, v12
	ds_bpermute_b32 v51, v46, v13
	;; [unrolled: 1-line block ×4, first 2 shown]
	v_add_f64_e32 v[16:17], v[16:17], v[52:53]
	s_wait_dscnt 0x2
	v_fmac_f64_e32 v[4:5], v[48:49], v[50:51]
	s_wait_dscnt 0x0
	s_delay_alu instid0(VALU_DEP_1)
	v_fmac_f64_e32 v[4:5], v[14:15], v[12:13]
	s_cbranch_vccz .LBB27_8
.LBB27_6:                               ; =>This Inner Loop Header: Depth=1
	v_mov_b64_e32 v[12:13], 0
	v_mov_b64_e32 v[14:15], 0
	s_mov_b32 s28, exec_lo
	v_cmpx_gt_i64_e64 s[12:13], v[6:7]
	s_cbranch_execz .LBB27_5
; %bb.7:                                ;   in Loop: Header=BB27_6 Depth=1
	v_add_nc_u64_e32 v[48:49], s[8:9], v[8:9]
	v_add_nc_u64_e32 v[50:51], s[10:11], v[8:9]
	global_load_b64 v[14:15], v[48:49], off
	global_load_b64 v[12:13], v[50:51], off
	s_branch .LBB27_5
.LBB27_8:
	v_mov_b32_e32 v2, v1
	s_mov_b64 s[4:5], s[18:19]
.LBB27_9:
	s_load_b128 s[0:3], s[0:1], 0x30
	s_nop 0
	s_load_u16 s4, s[4:5], 0xe
	v_mov_b32_e32 v1, 0
	s_delay_alu instid0(VALU_DEP_1) | instskip(SKIP_1) | instid1(VALU_DEP_1)
	v_mov_b32_e32 v3, v1
	s_wait_kmcnt 0x0
	v_mad_nc_u64_u32 v[2:3], s4, s17, v[2:3]
	s_mov_b32 s17, 0
	s_delay_alu instid0(SALU_CYCLE_1) | instskip(SKIP_2) | instid1(VALU_DEP_2)
	s_lshl_b64 s[4:5], s[16:17], 6
	s_cmp_eq_u64 s[0:1], 0
	v_add_nc_u64_e32 v[0:1], s[4:5], v[0:1]
	v_mul_u64_e32 v[2:3], s[14:15], v[2:3]
	s_cbranch_scc1 .LBB27_11
; %bb.10:
	s_delay_alu instid0(VALU_DEP_1) | instskip(NEXT) | instid1(VALU_DEP_1)
	v_lshl_add_u64 v[6:7], v[2:3], 3, s[0:1]
	v_lshl_add_u64 v[6:7], v[0:1], 3, v[6:7]
	global_store_b64 v[6:7], v[4:5], off
.LBB27_11:
	s_cmp_eq_u64 s[2:3], 0
	s_cbranch_scc1 .LBB27_13
; %bb.12:
	s_delay_alu instid0(VALU_DEP_1) | instskip(NEXT) | instid1(VALU_DEP_1)
	v_lshl_add_u64 v[2:3], v[2:3], 3, s[2:3]
	v_lshl_add_u64 v[0:1], v[0:1], 3, v[2:3]
	global_store_b64 v[0:1], v[16:17], off
.LBB27_13:
	s_sendmsg sendmsg(MSG_DEALLOC_VGPRS)
	s_endpgm
	.section	.rodata,"a",@progbits
	.p2align	6, 0x0
	.amdhsa_kernel _ZN2at6native12_GLOBAL__N_135GammaBetaBackwardCUDAKernelTemplateIddLj64ELj1ELj32ELb1ELb1ELb0EEEvllPKT_S5_PKT0_S8_PS3_S9_
		.amdhsa_group_segment_fixed_size 0
		.amdhsa_private_segment_fixed_size 0
		.amdhsa_kernarg_size 320
		.amdhsa_user_sgpr_count 2
		.amdhsa_user_sgpr_dispatch_ptr 0
		.amdhsa_user_sgpr_queue_ptr 0
		.amdhsa_user_sgpr_kernarg_segment_ptr 1
		.amdhsa_user_sgpr_dispatch_id 0
		.amdhsa_user_sgpr_kernarg_preload_length 0
		.amdhsa_user_sgpr_kernarg_preload_offset 0
		.amdhsa_user_sgpr_private_segment_size 0
		.amdhsa_wavefront_size32 1
		.amdhsa_uses_dynamic_stack 0
		.amdhsa_enable_private_segment 0
		.amdhsa_system_sgpr_workgroup_id_x 1
		.amdhsa_system_sgpr_workgroup_id_y 1
		.amdhsa_system_sgpr_workgroup_id_z 0
		.amdhsa_system_sgpr_workgroup_info 0
		.amdhsa_system_vgpr_workitem_id 1
		.amdhsa_next_free_vgpr 106
		.amdhsa_next_free_sgpr 29
		.amdhsa_named_barrier_count 0
		.amdhsa_reserve_vcc 1
		.amdhsa_float_round_mode_32 0
		.amdhsa_float_round_mode_16_64 0
		.amdhsa_float_denorm_mode_32 3
		.amdhsa_float_denorm_mode_16_64 3
		.amdhsa_fp16_overflow 0
		.amdhsa_memory_ordered 1
		.amdhsa_forward_progress 1
		.amdhsa_inst_pref_size 32
		.amdhsa_round_robin_scheduling 0
		.amdhsa_exception_fp_ieee_invalid_op 0
		.amdhsa_exception_fp_denorm_src 0
		.amdhsa_exception_fp_ieee_div_zero 0
		.amdhsa_exception_fp_ieee_overflow 0
		.amdhsa_exception_fp_ieee_underflow 0
		.amdhsa_exception_fp_ieee_inexact 0
		.amdhsa_exception_int_div_zero 0
	.end_amdhsa_kernel
	.section	.text._ZN2at6native12_GLOBAL__N_135GammaBetaBackwardCUDAKernelTemplateIddLj64ELj1ELj32ELb1ELb1ELb0EEEvllPKT_S5_PKT0_S8_PS3_S9_,"axG",@progbits,_ZN2at6native12_GLOBAL__N_135GammaBetaBackwardCUDAKernelTemplateIddLj64ELj1ELj32ELb1ELb1ELb0EEEvllPKT_S5_PKT0_S8_PS3_S9_,comdat
.Lfunc_end27:
	.size	_ZN2at6native12_GLOBAL__N_135GammaBetaBackwardCUDAKernelTemplateIddLj64ELj1ELj32ELb1ELb1ELb0EEEvllPKT_S5_PKT0_S8_PS3_S9_, .Lfunc_end27-_ZN2at6native12_GLOBAL__N_135GammaBetaBackwardCUDAKernelTemplateIddLj64ELj1ELj32ELb1ELb1ELb0EEEvllPKT_S5_PKT0_S8_PS3_S9_
                                        ; -- End function
	.set _ZN2at6native12_GLOBAL__N_135GammaBetaBackwardCUDAKernelTemplateIddLj64ELj1ELj32ELb1ELb1ELb0EEEvllPKT_S5_PKT0_S8_PS3_S9_.num_vgpr, 106
	.set _ZN2at6native12_GLOBAL__N_135GammaBetaBackwardCUDAKernelTemplateIddLj64ELj1ELj32ELb1ELb1ELb0EEEvllPKT_S5_PKT0_S8_PS3_S9_.num_agpr, 0
	.set _ZN2at6native12_GLOBAL__N_135GammaBetaBackwardCUDAKernelTemplateIddLj64ELj1ELj32ELb1ELb1ELb0EEEvllPKT_S5_PKT0_S8_PS3_S9_.numbered_sgpr, 29
	.set _ZN2at6native12_GLOBAL__N_135GammaBetaBackwardCUDAKernelTemplateIddLj64ELj1ELj32ELb1ELb1ELb0EEEvllPKT_S5_PKT0_S8_PS3_S9_.num_named_barrier, 0
	.set _ZN2at6native12_GLOBAL__N_135GammaBetaBackwardCUDAKernelTemplateIddLj64ELj1ELj32ELb1ELb1ELb0EEEvllPKT_S5_PKT0_S8_PS3_S9_.private_seg_size, 0
	.set _ZN2at6native12_GLOBAL__N_135GammaBetaBackwardCUDAKernelTemplateIddLj64ELj1ELj32ELb1ELb1ELb0EEEvllPKT_S5_PKT0_S8_PS3_S9_.uses_vcc, 1
	.set _ZN2at6native12_GLOBAL__N_135GammaBetaBackwardCUDAKernelTemplateIddLj64ELj1ELj32ELb1ELb1ELb0EEEvllPKT_S5_PKT0_S8_PS3_S9_.uses_flat_scratch, 0
	.set _ZN2at6native12_GLOBAL__N_135GammaBetaBackwardCUDAKernelTemplateIddLj64ELj1ELj32ELb1ELb1ELb0EEEvllPKT_S5_PKT0_S8_PS3_S9_.has_dyn_sized_stack, 0
	.set _ZN2at6native12_GLOBAL__N_135GammaBetaBackwardCUDAKernelTemplateIddLj64ELj1ELj32ELb1ELb1ELb0EEEvllPKT_S5_PKT0_S8_PS3_S9_.has_recursion, 0
	.set _ZN2at6native12_GLOBAL__N_135GammaBetaBackwardCUDAKernelTemplateIddLj64ELj1ELj32ELb1ELb1ELb0EEEvllPKT_S5_PKT0_S8_PS3_S9_.has_indirect_call, 0
	.section	.AMDGPU.csdata,"",@progbits
; Kernel info:
; codeLenInByte = 4084
; TotalNumSgprs: 31
; NumVgprs: 106
; ScratchSize: 0
; MemoryBound: 0
; FloatMode: 240
; IeeeMode: 1
; LDSByteSize: 0 bytes/workgroup (compile time only)
; SGPRBlocks: 0
; VGPRBlocks: 6
; NumSGPRsForWavesPerEU: 31
; NumVGPRsForWavesPerEU: 106
; NamedBarCnt: 0
; Occupancy: 9
; WaveLimiterHint : 0
; COMPUTE_PGM_RSRC2:SCRATCH_EN: 0
; COMPUTE_PGM_RSRC2:USER_SGPR: 2
; COMPUTE_PGM_RSRC2:TRAP_HANDLER: 0
; COMPUTE_PGM_RSRC2:TGID_X_EN: 1
; COMPUTE_PGM_RSRC2:TGID_Y_EN: 1
; COMPUTE_PGM_RSRC2:TGID_Z_EN: 0
; COMPUTE_PGM_RSRC2:TIDIG_COMP_CNT: 1
	.section	.text._ZN2at6native12_GLOBAL__N_135GammaBetaBackwardCUDAKernelTemplateIddLj64ELj1ELj32ELb1ELb0ELb0EEEvllPKT_S5_PKT0_S8_PS3_S9_,"axG",@progbits,_ZN2at6native12_GLOBAL__N_135GammaBetaBackwardCUDAKernelTemplateIddLj64ELj1ELj32ELb1ELb0ELb0EEEvllPKT_S5_PKT0_S8_PS3_S9_,comdat
	.globl	_ZN2at6native12_GLOBAL__N_135GammaBetaBackwardCUDAKernelTemplateIddLj64ELj1ELj32ELb1ELb0ELb0EEEvllPKT_S5_PKT0_S8_PS3_S9_ ; -- Begin function _ZN2at6native12_GLOBAL__N_135GammaBetaBackwardCUDAKernelTemplateIddLj64ELj1ELj32ELb1ELb0ELb0EEEvllPKT_S5_PKT0_S8_PS3_S9_
	.p2align	8
	.type	_ZN2at6native12_GLOBAL__N_135GammaBetaBackwardCUDAKernelTemplateIddLj64ELj1ELj32ELb1ELb0ELb0EEEvllPKT_S5_PKT0_S8_PS3_S9_,@function
_ZN2at6native12_GLOBAL__N_135GammaBetaBackwardCUDAKernelTemplateIddLj64ELj1ELj32ELb1ELb0ELb0EEEvllPKT_S5_PKT0_S8_PS3_S9_: ; @_ZN2at6native12_GLOBAL__N_135GammaBetaBackwardCUDAKernelTemplateIddLj64ELj1ELj32ELb1ELb0ELb0EEEvllPKT_S5_PKT0_S8_PS3_S9_
; %bb.0:
	s_load_b256 s[4:11], s[0:1], 0x0
	s_bfe_u32 s3, ttmp6, 0x4000c
	s_bfe_u32 s12, ttmp6, 0x40010
	s_add_co_i32 s3, s3, 1
	s_add_co_i32 s12, s12, 1
	s_and_b32 s2, ttmp6, 15
	s_bfe_u32 s13, ttmp6, 0x40004
	s_mul_i32 s3, ttmp9, s3
	s_mul_i32 s12, ttmp7, s12
	s_getreg_b32 s14, hwreg(HW_REG_IB_STS2, 6, 4)
	s_add_co_i32 s2, s2, s3
	s_add_co_i32 s3, s13, s12
	s_cmp_eq_u32 s14, 0
	s_mov_b32 s19, 0
	s_cselect_b32 s16, ttmp9, s2
	s_cselect_b32 s33, ttmp7, s3
	s_lshl_b32 s3, s16, 6
	s_load_b128 s[12:15], s[0:1], 0x20
	s_or_b32 s18, s3, 63
	s_wait_kmcnt 0x0
	v_cmp_le_i64_e64 s2, s[6:7], s[18:19]
	s_lshl_b32 s18, s33, 5
	s_delay_alu instid0(SALU_CYCLE_1) | instskip(SKIP_2) | instid1(VALU_DEP_1)
	v_cmp_gt_i64_e64 s17, s[4:5], s[18:19]
	s_and_b32 vcc_lo, exec_lo, s2
	v_cndmask_b32_e64 v1, 0, 1, s17
	v_cmp_ne_u32_e64 s2, 1, v1
	s_cbranch_vccz .LBB28_141
; %bb.1:
	v_mov_b64_e32 v[2:3], 0
	s_set_vgpr_msb 64                       ;  msbs: dst=1 src0=0 src1=0 src2=0
	v_mov_b64_e32 v[8:9] /*v[264:265]*/, 0
	s_and_b32 vcc_lo, exec_lo, s2
	s_set_vgpr_msb 0                        ;  msbs: dst=0 src0=0 src1=0 src2=0
	s_cbranch_vccnz .LBB28_142
; %bb.2:
	v_bfe_u32 v1, v0, 10, 10
	v_mov_b32_e32 v5, 0
	s_set_vgpr_msb 64                       ;  msbs: dst=1 src0=0 src1=0 src2=0
	v_and_b32_e32 v20 /*v276*/, 0x3ff, v0
	s_load_b32 s20, s[0:1], 0x44
	s_mov_b32 s21, 0
	s_set_vgpr_msb 0                        ;  msbs: dst=0 src0=0 src1=0 src2=0
	v_dual_mov_b32 v7, v5 :: v_dual_lshlrev_b32 v6, 5, v1
	s_set_vgpr_msb 4                        ;  msbs: dst=0 src0=0 src1=1 src2=0
	v_add_nc_u32_e32 v4, s3, v20 /*v276*/
	v_mov_b64_e32 v[138:139], 0
	s_mov_b32 s23, s21
	s_add_nc_u64 s[24:25], s[0:1], 64
	s_set_vgpr_msb 0                        ;  msbs: dst=0 src0=0 src1=0 src2=0
	v_add_nc_u64_e32 v[2:3], s[18:19], v[6:7]
	v_cmp_gt_i64_e64 s2, s[6:7], v[4:5]
	s_mov_b64 s[28:29], 31
	s_mov_b64 s[30:31], s[18:19]
	v_add_nc_u64_e32 v[10:11], 30, v[2:3]
	v_add_nc_u64_e32 v[12:13], 29, v[2:3]
	;; [unrolled: 1-line block ×7, first 2 shown]
	v_mul_u64_e32 v[24:25], s[6:7], v[10:11]
	v_mul_u64_e32 v[26:27], s[6:7], v[12:13]
	v_add_nc_u64_e32 v[10:11], 24, v[2:3]
	v_add_nc_u64_e32 v[12:13], 23, v[2:3]
	v_mul_u64_e32 v[20:21], s[6:7], v[20:21]
	v_mul_u64_e32 v[44:45], s[6:7], v[28:29]
	;; [unrolled: 1-line block ×7, first 2 shown]
	v_add_nc_u64_e32 v[10:11], 18, v[2:3]
	v_add_nc_u64_e32 v[42:43], 17, v[2:3]
	;; [unrolled: 1-line block ×7, first 2 shown]
	v_mul_u64_e32 v[62:63], s[6:7], v[10:11]
	v_mul_u64_e32 v[68:69], s[6:7], v[42:43]
	;; [unrolled: 1-line block ×4, first 2 shown]
	v_add_nc_u64_e32 v[66:67], 13, v[2:3]
	v_mul_u64_e32 v[78:79], s[6:7], v[74:75]
	v_mul_u64_e32 v[92:93], s[6:7], v[84:85]
	v_add_nc_u64_e32 v[84:85], 7, v[2:3]
	v_mul_u64_e32 v[88:89], s[6:7], v[80:81]
	v_mul_u64_e32 v[116:117], s[6:7], v[2:3]
	v_add_nc_u64_e32 v[8:9], 31, v[2:3]
	v_mul_u64_e32 v[82:83], s[6:7], v[66:67]
	v_add_nc_u64_e32 v[14:15], 28, v[2:3]
	v_add_nc_u64_e32 v[16:17], 27, v[2:3]
	v_mul_u64_e32 v[100:101], s[6:7], v[84:85]
	v_add_nc_u64_e32 v[84:85], 5, v[2:3]
	v_add_nc_u64_e32 v[18:19], 26, v[2:3]
	;; [unrolled: 1-line block ×3, first 2 shown]
	v_lshlrev_b64_e32 v[46:47], 3, v[20:21]
	v_lshlrev_b64_e32 v[60:61], 3, v[44:45]
	;; [unrolled: 1-line block ×4, first 2 shown]
	v_add_nc_u64_e32 v[102:103], 3, v[2:3]
	v_lshlrev_b64_e32 v[50:51], 3, v[38:39]
	v_lshlrev_b64_e32 v[54:55], 3, v[40:41]
	v_add_nc_u64_e32 v[38:39], s[8:9], v[46:47]
	v_add_nc_u64_e32 v[40:41], s[10:11], v[46:47]
	;; [unrolled: 1-line block ×4, first 2 shown]
	v_mul_u64_e32 v[112:113], s[6:7], v[84:85]
	v_add_nc_u64_e32 v[42:43], s[8:9], v[50:51]
	v_add_nc_u64_e32 v[44:45], s[10:11], v[50:51]
	;; [unrolled: 1-line block ×6, first 2 shown]
	v_lshlrev_b64_e32 v[64:65], 3, v[58:59]
	v_add_nc_u64_e32 v[58:59], s[8:9], v[72:73]
	v_add_nc_u64_e32 v[60:61], s[10:11], v[72:73]
	;; [unrolled: 1-line block ×3, first 2 shown]
	v_lshlrev_b64_e32 v[74:75], 3, v[62:63]
	v_lshlrev_b64_e32 v[80:81], 3, v[68:69]
	;; [unrolled: 1-line block ×3, first 2 shown]
	v_mul_u64_e32 v[22:23], s[6:7], v[8:9]
	v_mul_u64_e32 v[14:15], s[6:7], v[14:15]
	;; [unrolled: 1-line block ×4, first 2 shown]
	v_add_nc_u64_e32 v[72:73], 9, v[2:3]
	v_add_nc_u64_e32 v[66:67], s[8:9], v[74:75]
	;; [unrolled: 1-line block ×5, first 2 shown]
	v_mul_u64_e32 v[18:19], s[6:7], v[18:19]
	v_mul_u64_e32 v[98:99], s[6:7], v[90:91]
	;; [unrolled: 1-line block ×3, first 2 shown]
	v_add_nc_u64_e32 v[72:73], s[10:11], v[80:81]
	v_add_nc_u64_e32 v[80:81], 4, v[2:3]
	v_mul_u64_e32 v[104:105], s[6:7], v[74:75]
	v_add_nc_u64_e32 v[2:3], 2, v[2:3]
	v_mul_u64_e32 v[120:121], s[6:7], v[102:103]
	v_lshlrev_b64_e32 v[90:91], 3, v[76:77]
	v_lshlrev_b64_e32 v[122:123], 3, v[100:101]
	;; [unrolled: 1-line block ×3, first 2 shown]
	v_mul_u64_e32 v[118:119], s[6:7], v[80:81]
	v_lshlrev_b64_e32 v[108:109], 3, v[92:93]
	v_mul_u64_e32 v[2:3], s[6:7], v[2:3]
	v_lshlrev_b64_e32 v[126:127], 3, v[112:113]
	v_add_nc_u64_e32 v[78:79], s[8:9], v[90:91]
	v_add_nc_u64_e32 v[80:81], s[10:11], v[90:91]
	;; [unrolled: 1-line block ×3, first 2 shown]
	v_lshlrev_b64_e32 v[12:13], 3, v[116:117]
	v_lshlrev_b64_e32 v[24:25], 3, v[24:25]
	;; [unrolled: 1-line block ×3, first 2 shown]
	v_add_nc_u64_e32 v[74:75], s[8:9], v[96:97]
	v_add_nc_u64_e32 v[76:77], s[10:11], v[96:97]
	v_lshlrev_b64_e32 v[22:23], 3, v[22:23]
	v_lshlrev_b64_e32 v[28:29], 3, v[14:15]
	;; [unrolled: 1-line block ×7, first 2 shown]
	v_add_nc_u64_e32 v[10:11], s[8:9], v[12:13]
	v_add_nc_u64_e32 v[12:13], s[10:11], v[12:13]
	v_lshlrev_b64_e32 v[36:37], 3, v[18:19]
	v_add_nc_u64_e32 v[90:91], s[8:9], v[102:103]
	v_lshlrev_b64_e32 v[110:111], 3, v[94:95]
	;; [unrolled: 2-line block ×3, first 2 shown]
	v_lshlrev_b64_e32 v[124:125], 3, v[104:105]
	v_add_nc_u64_e32 v[14:15], s[8:9], v[22:23]
	v_lshlrev_b64_e32 v[130:131], 3, v[120:121]
	v_add_nc_u64_e32 v[16:17], s[10:11], v[22:23]
	v_add_nc_u64_e32 v[102:103], s[8:9], v[110:111]
	v_add_nc_u64_e32 v[104:105], s[10:11], v[110:111]
	v_add_nc_u64_e32 v[110:111], s[8:9], v[122:123]
	v_add_nc_u64_e32 v[122:123], s[6:7], v[116:117]
	v_lshlrev_b64_e32 v[128:129], 3, v[118:119]
	v_lshlrev_b64_e32 v[2:3], 3, v[2:3]
	v_add_nc_u64_e32 v[18:19], s[8:9], v[24:25]
	v_add_nc_u64_e32 v[20:21], s[10:11], v[24:25]
	;; [unrolled: 1-line block ×4, first 2 shown]
	v_lshlrev_b64_e32 v[136:137], 3, v[122:123]
	v_add_nc_u64_e32 v[26:27], s[8:9], v[28:29]
	v_add_nc_u64_e32 v[28:29], s[10:11], v[28:29]
	;; [unrolled: 1-line block ×30, first 2 shown]
	v_mov_b64_e32 v[2:3], 0
	s_wait_kmcnt 0x0
	s_lshl_b32 s22, s20, 5
	s_delay_alu instid0(SALU_CYCLE_1) | instskip(NEXT) | instid1(SALU_CYCLE_1)
	s_mul_u64 s[26:27], s[6:7], s[22:23]
	s_lshl_b64 s[26:27], s[26:27], 3
.LBB28_3:                               ; =>This Inner Loop Header: Depth=1
	s_add_nc_u64 s[34:35], s[18:19], s[28:29]
	v_add_nc_u64_e32 v[140:141], s[18:19], v[6:7]
	v_cmp_ge_i64_e64 s20, s[34:35], s[4:5]
                                        ; implicit-def: $vgpr144_vgpr145
                                        ; implicit-def: $vgpr146_vgpr147
                                        ; implicit-def: $vgpr148_vgpr149
                                        ; implicit-def: $vgpr142
                                        ; implicit-def: $vgpr150_vgpr151
                                        ; implicit-def: $vgpr264_vgpr265
	s_and_b32 vcc_lo, exec_lo, s20
	s_mov_b32 s20, -1
	s_cbranch_vccz .LBB28_71
; %bb.4:                                ;   in Loop: Header=BB28_3 Depth=1
	s_load_b32 s20, s[24:25], 0xc
	v_mov_b64_e32 v[150:151], 0
	v_mov_b64_e32 v[144:145], 0
	;; [unrolled: 1-line block ×3, first 2 shown]
	s_wait_kmcnt 0x0
	s_and_b32 s20, s20, 0xffff
	s_set_vgpr_msb 16                       ;  msbs: dst=0 src0=0 src1=0 src2=1
	v_mad_u32_u24 v4, v1, s20, v20 /*v276*/
	s_mov_b32 s20, exec_lo
	s_delay_alu instid0(VALU_DEP_1) | instskip(NEXT) | instid1(VALU_DEP_1)
	v_and_b32_e32 v4, 31, v4
	v_add_nc_u64_e32 v[146:147], v[140:141], v[4:5]
	s_delay_alu instid0(VALU_DEP_1)
	v_cmpx_gt_i64_e64 s[4:5], v[146:147]
	s_set_vgpr_msb 0                        ;  msbs: dst=0 src0=0 src1=0 src2=0
	s_cbranch_execz .LBB28_6
; %bb.5:                                ;   in Loop: Header=BB28_3 Depth=1
	v_lshlrev_b64_e32 v[142:143], 3, v[146:147]
	s_delay_alu instid0(VALU_DEP_1)
	v_add_nc_u64_e32 v[146:147], s[12:13], v[142:143]
	v_add_nc_u64_e32 v[148:149], s[14:15], v[142:143]
	global_load_b64 v[142:143], v[146:147], off
	global_load_b64 v[144:145], v[148:149], off
.LBB28_6:                               ;   in Loop: Header=BB28_3 Depth=1
	s_wait_xcnt 0x0
	s_or_b32 exec_lo, exec_lo, s20
	v_cmp_gt_i64_e32 vcc_lo, s[4:5], v[140:141]
	v_mov_b64_e32 v[162:163], 0
	s_and_b32 s34, s2, vcc_lo
	s_delay_alu instid0(SALU_CYCLE_1)
	s_and_saveexec_b32 s20, s34
	s_cbranch_execz .LBB28_8
; %bb.7:                                ;   in Loop: Header=BB28_3 Depth=1
	v_add_nc_u64_e32 v[146:147], v[10:11], v[8:9]
	v_add_nc_u64_e32 v[148:149], v[12:13], v[8:9]
	global_load_b64 v[150:151], v[146:147], off
	global_load_b64 v[162:163], v[148:149], off
.LBB28_8:                               ;   in Loop: Header=BB28_3 Depth=1
	s_wait_xcnt 0x0
	s_or_b32 exec_lo, exec_lo, s20
	v_add_nc_u64_e32 v[146:147], 1, v[140:141]
	v_mov_b64_e32 v[152:153], 0
	v_mov_b64_e32 v[156:157], 0
	;; [unrolled: 1-line block ×3, first 2 shown]
	s_delay_alu instid0(VALU_DEP_4) | instskip(SKIP_1) | instid1(SALU_CYCLE_1)
	v_cmp_gt_i64_e32 vcc_lo, s[4:5], v[146:147]
	s_and_b32 s34, s2, vcc_lo
	s_and_saveexec_b32 s20, s34
	s_cbranch_execz .LBB28_10
; %bb.9:                                ;   in Loop: Header=BB28_3 Depth=1
	v_add_nc_u64_e32 v[146:147], v[134:135], v[8:9]
	v_add_nc_u64_e32 v[148:149], v[136:137], v[8:9]
	global_load_b64 v[156:157], v[146:147], off
	global_load_b64 v[168:169], v[148:149], off
.LBB28_10:                              ;   in Loop: Header=BB28_3 Depth=1
	s_wait_xcnt 0x0
	s_or_b32 exec_lo, exec_lo, s20
	v_add_nc_u64_e32 v[146:147], 2, v[140:141]
	v_mov_b64_e32 v[174:175], 0
	s_delay_alu instid0(VALU_DEP_2) | instskip(SKIP_1) | instid1(SALU_CYCLE_1)
	v_cmp_gt_i64_e32 vcc_lo, s[4:5], v[146:147]
	s_and_b32 s34, s2, vcc_lo
	s_and_saveexec_b32 s20, s34
	s_cbranch_execz .LBB28_12
; %bb.11:                               ;   in Loop: Header=BB28_3 Depth=1
	v_add_nc_u64_e32 v[146:147], v[130:131], v[8:9]
	v_add_nc_u64_e32 v[148:149], v[132:133], v[8:9]
	global_load_b64 v[152:153], v[146:147], off
	global_load_b64 v[174:175], v[148:149], off
.LBB28_12:                              ;   in Loop: Header=BB28_3 Depth=1
	s_wait_xcnt 0x0
	s_or_b32 exec_lo, exec_lo, s20
	v_add_nc_u64_e32 v[146:147], 3, v[140:141]
	v_mov_b64_e32 v[154:155], 0
	v_mov_b64_e32 v[160:161], 0
	v_mov_b64_e32 v[176:177], 0
	s_delay_alu instid0(VALU_DEP_4) | instskip(SKIP_1) | instid1(SALU_CYCLE_1)
	v_cmp_gt_i64_e32 vcc_lo, s[4:5], v[146:147]
	s_and_b32 s34, s2, vcc_lo
	s_and_saveexec_b32 s20, s34
	s_cbranch_execz .LBB28_14
; %bb.13:                               ;   in Loop: Header=BB28_3 Depth=1
	v_add_nc_u64_e32 v[146:147], v[126:127], v[8:9]
	v_add_nc_u64_e32 v[148:149], v[128:129], v[8:9]
	global_load_b64 v[160:161], v[146:147], off
	global_load_b64 v[176:177], v[148:149], off
.LBB28_14:                              ;   in Loop: Header=BB28_3 Depth=1
	s_wait_xcnt 0x0
	s_or_b32 exec_lo, exec_lo, s20
	v_add_nc_u64_e32 v[146:147], 4, v[140:141]
	v_mov_b64_e32 v[182:183], 0
	s_delay_alu instid0(VALU_DEP_2) | instskip(SKIP_1) | instid1(SALU_CYCLE_1)
	v_cmp_gt_i64_e32 vcc_lo, s[4:5], v[146:147]
	s_and_b32 s34, s2, vcc_lo
	s_and_saveexec_b32 s20, s34
	s_cbranch_execz .LBB28_16
; %bb.15:                               ;   in Loop: Header=BB28_3 Depth=1
	v_add_nc_u64_e32 v[146:147], v[122:123], v[8:9]
	v_add_nc_u64_e32 v[148:149], v[124:125], v[8:9]
	global_load_b64 v[154:155], v[146:147], off
	global_load_b64 v[182:183], v[148:149], off
.LBB28_16:                              ;   in Loop: Header=BB28_3 Depth=1
	s_wait_xcnt 0x0
	s_or_b32 exec_lo, exec_lo, s20
	v_add_nc_u64_e32 v[146:147], 5, v[140:141]
	v_mov_b64_e32 v[158:159], 0
	v_mov_b64_e32 v[166:167], 0
	v_mov_b64_e32 v[184:185], 0
	s_delay_alu instid0(VALU_DEP_4) | instskip(SKIP_1) | instid1(SALU_CYCLE_1)
	v_cmp_gt_i64_e32 vcc_lo, s[4:5], v[146:147]
	s_and_b32 s34, s2, vcc_lo
	s_and_saveexec_b32 s20, s34
	s_cbranch_execz .LBB28_18
; %bb.17:                               ;   in Loop: Header=BB28_3 Depth=1
	v_add_nc_u64_e32 v[146:147], v[118:119], v[8:9]
	v_add_nc_u64_e32 v[148:149], v[120:121], v[8:9]
	global_load_b64 v[166:167], v[146:147], off
	global_load_b64 v[184:185], v[148:149], off
.LBB28_18:                              ;   in Loop: Header=BB28_3 Depth=1
	;; [unrolled: 32-line block ×11, first 2 shown]
	s_wait_xcnt 0x0
	s_or_b32 exec_lo, exec_lo, s20
	v_add_nc_u64_e32 v[146:147], 24, v[140:141]
	s_set_vgpr_msb 64                       ;  msbs: dst=1 src0=0 src1=0 src2=0
	v_mov_b64_e32 v[0:1] /*v[256:257]*/, 0
	s_delay_alu instid0(VALU_DEP_2) | instskip(SKIP_1) | instid1(SALU_CYCLE_1)
	v_cmp_gt_i64_e32 vcc_lo, s[4:5], v[146:147]
	s_and_b32 s34, s2, vcc_lo
	s_and_saveexec_b32 s20, s34
	s_set_vgpr_msb 0                        ;  msbs: dst=0 src0=0 src1=0 src2=0
	s_cbranch_execz .LBB28_56
; %bb.55:                               ;   in Loop: Header=BB28_3 Depth=1
	v_add_nc_u64_e32 v[146:147], v[42:43], v[8:9]
	v_add_nc_u64_e32 v[148:149], v[44:45], v[8:9]
	global_load_b64 v[226:227], v[146:147], off
	s_set_vgpr_msb 64                       ;  msbs: dst=1 src0=0 src1=0 src2=0
	global_load_b64 v[0:1] /*v[256:257]*/, v[148:149], off
.LBB28_56:                              ;   in Loop: Header=BB28_3 Depth=1
	s_wait_xcnt 0x0
	s_or_b32 exec_lo, exec_lo, s20
	s_set_vgpr_msb 0                        ;  msbs: dst=0 src0=0 src1=0 src2=0
	v_add_nc_u64_e32 v[146:147], 25, v[140:141]
	v_mov_b64_e32 v[234:235], 0
	v_mov_b64_e32 v[244:245], 0
	s_set_vgpr_msb 64                       ;  msbs: dst=1 src0=0 src1=0 src2=0
	v_mov_b64_e32 v[4:5] /*v[260:261]*/, 0
	s_delay_alu instid0(VALU_DEP_4) | instskip(SKIP_1) | instid1(SALU_CYCLE_1)
	v_cmp_gt_i64_e32 vcc_lo, s[4:5], v[146:147]
	s_and_b32 s34, s2, vcc_lo
	s_and_saveexec_b32 s20, s34
	s_set_vgpr_msb 0                        ;  msbs: dst=0 src0=0 src1=0 src2=0
	s_cbranch_execz .LBB28_58
; %bb.57:                               ;   in Loop: Header=BB28_3 Depth=1
	v_add_nc_u64_e32 v[146:147], v[38:39], v[8:9]
	v_add_nc_u64_e32 v[148:149], v[40:41], v[8:9]
	global_load_b64 v[244:245], v[146:147], off
	s_set_vgpr_msb 64                       ;  msbs: dst=1 src0=0 src1=0 src2=0
	global_load_b64 v[4:5] /*v[260:261]*/, v[148:149], off
.LBB28_58:                              ;   in Loop: Header=BB28_3 Depth=1
	s_wait_xcnt 0x0
	s_or_b32 exec_lo, exec_lo, s20
	s_set_vgpr_msb 0                        ;  msbs: dst=0 src0=0 src1=0 src2=0
	v_add_nc_u64_e32 v[146:147], 26, v[140:141]
	s_set_vgpr_msb 64                       ;  msbs: dst=1 src0=0 src1=0 src2=0
	v_mov_b64_e32 v[10:11] /*v[266:267]*/, 0
	s_delay_alu instid0(VALU_DEP_2) | instskip(SKIP_1) | instid1(SALU_CYCLE_1)
	v_cmp_gt_i64_e32 vcc_lo, s[4:5], v[146:147]
	s_and_b32 s34, s2, vcc_lo
	s_and_saveexec_b32 s20, s34
	s_set_vgpr_msb 0                        ;  msbs: dst=0 src0=0 src1=0 src2=0
	s_cbranch_execz .LBB28_60
; %bb.59:                               ;   in Loop: Header=BB28_3 Depth=1
	v_add_nc_u64_e32 v[146:147], v[34:35], v[8:9]
	v_add_nc_u64_e32 v[148:149], v[36:37], v[8:9]
	global_load_b64 v[234:235], v[146:147], off
	s_set_vgpr_msb 64                       ;  msbs: dst=1 src0=0 src1=0 src2=0
	global_load_b64 v[10:11] /*v[266:267]*/, v[148:149], off
.LBB28_60:                              ;   in Loop: Header=BB28_3 Depth=1
	s_wait_xcnt 0x0
	s_or_b32 exec_lo, exec_lo, s20
	s_set_vgpr_msb 0                        ;  msbs: dst=0 src0=0 src1=0 src2=0
	v_add_nc_u64_e32 v[146:147], 27, v[140:141]
	v_mov_b64_e32 v[242:243], 0
	v_mov_b64_e32 v[250:251], 0
	s_set_vgpr_msb 64                       ;  msbs: dst=1 src0=0 src1=0 src2=0
	v_mov_b64_e32 v[12:13] /*v[268:269]*/, 0
	s_delay_alu instid0(VALU_DEP_4) | instskip(SKIP_1) | instid1(SALU_CYCLE_1)
	v_cmp_gt_i64_e32 vcc_lo, s[4:5], v[146:147]
	s_and_b32 s34, s2, vcc_lo
	s_and_saveexec_b32 s20, s34
	s_set_vgpr_msb 0                        ;  msbs: dst=0 src0=0 src1=0 src2=0
	s_cbranch_execz .LBB28_62
; %bb.61:                               ;   in Loop: Header=BB28_3 Depth=1
	v_add_nc_u64_e32 v[146:147], v[30:31], v[8:9]
	v_add_nc_u64_e32 v[148:149], v[32:33], v[8:9]
	global_load_b64 v[250:251], v[146:147], off
	s_set_vgpr_msb 64                       ;  msbs: dst=1 src0=0 src1=0 src2=0
	global_load_b64 v[12:13] /*v[268:269]*/, v[148:149], off
.LBB28_62:                              ;   in Loop: Header=BB28_3 Depth=1
	s_wait_xcnt 0x0
	s_or_b32 exec_lo, exec_lo, s20
	s_set_vgpr_msb 0                        ;  msbs: dst=0 src0=0 src1=0 src2=0
	v_add_nc_u64_e32 v[146:147], 28, v[140:141]
	s_set_vgpr_msb 64                       ;  msbs: dst=1 src0=0 src1=0 src2=0
	v_mov_b64_e32 v[14:15] /*v[270:271]*/, 0
	s_delay_alu instid0(VALU_DEP_2) | instskip(SKIP_1) | instid1(SALU_CYCLE_1)
	v_cmp_gt_i64_e32 vcc_lo, s[4:5], v[146:147]
	s_and_b32 s34, s2, vcc_lo
	s_and_saveexec_b32 s20, s34
	s_set_vgpr_msb 0                        ;  msbs: dst=0 src0=0 src1=0 src2=0
	s_cbranch_execz .LBB28_64
; %bb.63:                               ;   in Loop: Header=BB28_3 Depth=1
	v_add_nc_u64_e32 v[146:147], v[26:27], v[8:9]
	v_add_nc_u64_e32 v[148:149], v[28:29], v[8:9]
	global_load_b64 v[242:243], v[146:147], off
	s_set_vgpr_msb 64                       ;  msbs: dst=1 src0=0 src1=0 src2=0
	global_load_b64 v[14:15] /*v[270:271]*/, v[148:149], off
.LBB28_64:                              ;   in Loop: Header=BB28_3 Depth=1
	s_wait_xcnt 0x0
	s_or_b32 exec_lo, exec_lo, s20
	s_set_vgpr_msb 0                        ;  msbs: dst=0 src0=0 src1=0 src2=0
	v_add_nc_u64_e32 v[146:147], 29, v[140:141]
	s_set_vgpr_msb 64                       ;  msbs: dst=1 src0=0 src1=0 src2=0
	v_mov_b64_e32 v[2:3] /*v[258:259]*/, 0
	v_mov_b64_e32 v[6:7] /*v[262:263]*/, 0
	;; [unrolled: 1-line block ×3, first 2 shown]
	s_delay_alu instid0(VALU_DEP_4) | instskip(SKIP_1) | instid1(SALU_CYCLE_1)
	v_cmp_gt_i64_e32 vcc_lo, s[4:5], v[146:147]
	s_and_b32 s34, s2, vcc_lo
	s_and_saveexec_b32 s20, s34
	s_set_vgpr_msb 0                        ;  msbs: dst=0 src0=0 src1=0 src2=0
	s_cbranch_execz .LBB28_66
; %bb.65:                               ;   in Loop: Header=BB28_3 Depth=1
	v_add_nc_u64_e32 v[146:147], v[22:23], v[8:9]
	v_add_nc_u64_e32 v[148:149], v[24:25], v[8:9]
	s_set_vgpr_msb 64                       ;  msbs: dst=1 src0=0 src1=0 src2=0
	global_load_b64 v[6:7] /*v[262:263]*/, v[146:147], off
	global_load_b64 v[16:17] /*v[272:273]*/, v[148:149], off
.LBB28_66:                              ;   in Loop: Header=BB28_3 Depth=1
	s_wait_xcnt 0x0
	s_or_b32 exec_lo, exec_lo, s20
	s_set_vgpr_msb 0                        ;  msbs: dst=0 src0=0 src1=0 src2=0
	v_add_nc_u64_e32 v[146:147], 30, v[140:141]
	s_set_vgpr_msb 64                       ;  msbs: dst=1 src0=0 src1=0 src2=0
	v_mov_b64_e32 v[18:19] /*v[274:275]*/, 0
	s_delay_alu instid0(VALU_DEP_2) | instskip(SKIP_1) | instid1(SALU_CYCLE_1)
	v_cmp_gt_i64_e32 vcc_lo, s[4:5], v[146:147]
	s_and_b32 s34, s2, vcc_lo
	s_and_saveexec_b32 s20, s34
	s_set_vgpr_msb 0                        ;  msbs: dst=0 src0=0 src1=0 src2=0
	s_cbranch_execz .LBB28_68
; %bb.67:                               ;   in Loop: Header=BB28_3 Depth=1
	v_add_nc_u64_e32 v[146:147], v[18:19], v[8:9]
	v_add_nc_u64_e32 v[148:149], v[20:21], v[8:9]
	s_set_vgpr_msb 64                       ;  msbs: dst=1 src0=0 src1=0 src2=0
	global_load_b64 v[2:3] /*v[258:259]*/, v[146:147], off
	global_load_b64 v[18:19] /*v[274:275]*/, v[148:149], off
.LBB28_68:                              ;   in Loop: Header=BB28_3 Depth=1
	s_wait_xcnt 0x0
	s_or_b32 exec_lo, exec_lo, s20
	s_set_vgpr_msb 0                        ;  msbs: dst=0 src0=0 src1=0 src2=0
	v_add_nc_u64_e32 v[146:147], 31, v[140:141]
	v_mov_b64_e32 v[148:149], 0
	s_delay_alu instid0(VALU_DEP_2) | instskip(SKIP_2) | instid1(SALU_CYCLE_1)
	v_cmp_gt_i64_e32 vcc_lo, s[4:5], v[146:147]
	v_mov_b64_e32 v[146:147], 0
	s_and_b32 s34, s2, vcc_lo
	s_and_saveexec_b32 s20, s34
	s_cbranch_execz .LBB28_70
; %bb.69:                               ;   in Loop: Header=BB28_3 Depth=1
	s_set_vgpr_msb 64                       ;  msbs: dst=1 src0=0 src1=0 src2=0
	v_add_nc_u64_e32 v[8:9] /*v[264:265]*/, v[14:15], v[8:9]
	v_add_nc_u64_e32 v[22:23] /*v[278:279]*/, v[16:17], v[8:9]
	s_set_vgpr_msb 1                        ;  msbs: dst=0 src0=1 src1=0 src2=0
	global_load_b64 v[146:147], v[8:9] /*v[264:265]*/, off
	global_load_b64 v[148:149], v[22:23] /*v[278:279]*/, off
.LBB28_70:                              ;   in Loop: Header=BB28_3 Depth=1
	s_wait_xcnt 0x0
	s_or_b32 exec_lo, exec_lo, s20
	s_wait_loadcnt 0x1
	s_set_vgpr_msb 64                       ;  msbs: dst=1 src0=0 src1=0 src2=0
	ds_bpermute_b32 v8 /*v264*/, v5, v142
	ds_bpermute_b32 v9 /*v265*/, v5, v143
	s_wait_loadcnt 0x0
	ds_bpermute_b32 v22 /*v278*/, v5, v144
	ds_bpermute_b32 v23 /*v279*/, v5, v145
	s_mov_b32 s20, 0
	s_wait_dscnt 0x2
	s_set_vgpr_msb 4                        ;  msbs: dst=0 src0=0 src1=1 src2=0
	v_add_f64_e64 v[162:163], v[162:163], -v[8:9] /*v[264:265]*/
	s_set_vgpr_msb 64                       ;  msbs: dst=1 src0=0 src1=0 src2=0
	ds_bpermute_b32 v8 /*v264*/, v5, v142 offset:4
	ds_bpermute_b32 v9 /*v265*/, v5, v143 offset:4
	s_wait_dscnt 0x0
	s_set_vgpr_msb 4                        ;  msbs: dst=0 src0=0 src1=1 src2=0
	v_add_f64_e64 v[168:169], v[168:169], -v[8:9] /*v[264:265]*/
	s_set_vgpr_msb 64                       ;  msbs: dst=1 src0=0 src1=0 src2=0
	ds_bpermute_b32 v8 /*v264*/, v5, v142 offset:8
	ds_bpermute_b32 v9 /*v265*/, v5, v143 offset:8
	s_set_vgpr_msb 0                        ;  msbs: dst=0 src0=0 src1=0 src2=0
	v_mul_f64_e32 v[162:163], v[150:151], v[162:163]
	v_add_f64_e32 v[150:151], v[2:3], v[150:151]
	s_wait_dscnt 0x0
	s_set_vgpr_msb 4                        ;  msbs: dst=0 src0=0 src1=1 src2=0
	v_add_f64_e64 v[174:175], v[174:175], -v[8:9] /*v[264:265]*/
	s_set_vgpr_msb 0                        ;  msbs: dst=0 src0=0 src1=0 src2=0
	v_mul_f64_e32 v[168:169], v[156:157], v[168:169]
	s_set_vgpr_msb 0x44                     ;  msbs: dst=1 src0=0 src1=1 src2=0
	s_delay_alu instid0(VALU_DEP_4)
	v_fma_f64 v[8:9] /*v[264:265]*/, v[162:163], v[22:23] /*v[278:279]*/, v[138:139]
	s_set_vgpr_msb 0                        ;  msbs: dst=0 src0=0 src1=0 src2=0
	ds_bpermute_b32 v162, v5, v142 offset:12
	ds_bpermute_b32 v163, v5, v143 offset:12
	s_set_vgpr_msb 64                       ;  msbs: dst=1 src0=0 src1=0 src2=0
	ds_bpermute_b32 v22 /*v278*/, v5, v144 offset:4
	ds_bpermute_b32 v23 /*v279*/, v5, v145 offset:4
	s_set_vgpr_msb 0                        ;  msbs: dst=0 src0=0 src1=0 src2=0
	v_add_f64_e32 v[150:151], v[150:151], v[156:157]
	ds_bpermute_b32 v156, v5, v142 offset:16
	ds_bpermute_b32 v157, v5, v143 offset:16
	v_mul_f64_e32 v[174:175], v[152:153], v[174:175]
	s_wait_dscnt 0x4
	v_add_f64_e64 v[162:163], v[176:177], -v[162:163]
	s_wait_dscnt 0x0
	v_add_f64_e64 v[156:157], v[182:183], -v[156:157]
	s_set_vgpr_msb 0x44                     ;  msbs: dst=1 src0=0 src1=1 src2=0
	v_fmac_f64_e32 v[8:9] /*v[264:265]*/, v[168:169], v[22:23] /*v[278:279]*/
	s_set_vgpr_msb 0                        ;  msbs: dst=0 src0=0 src1=0 src2=0
	ds_bpermute_b32 v168, v5, v144 offset:8
	ds_bpermute_b32 v169, v5, v145 offset:8
	v_add_f64_e32 v[150:151], v[150:151], v[152:153]
	ds_bpermute_b32 v152, v5, v142 offset:20
	ds_bpermute_b32 v153, v5, v143 offset:20
	v_mul_f64_e32 v[162:163], v[160:161], v[162:163]
	s_wait_dscnt 0x0
	v_add_f64_e64 v[152:153], v[184:185], -v[152:153]
	v_mul_f64_e32 v[156:157], v[154:155], v[156:157]
	s_set_vgpr_msb 64                       ;  msbs: dst=1 src0=0 src1=0 src2=0
	v_fmac_f64_e32 v[8:9] /*v[264:265]*/, v[174:175], v[168:169]
	s_set_vgpr_msb 0                        ;  msbs: dst=0 src0=0 src1=0 src2=0
	ds_bpermute_b32 v168, v5, v144 offset:12
	ds_bpermute_b32 v169, v5, v145 offset:12
	v_add_f64_e32 v[150:151], v[150:151], v[160:161]
	ds_bpermute_b32 v160, v5, v142 offset:24
	ds_bpermute_b32 v161, v5, v143 offset:24
	s_wait_dscnt 0x0
	v_add_f64_e64 v[160:161], v[190:191], -v[160:161]
	v_mul_f64_e32 v[152:153], v[166:167], v[152:153]
	s_set_vgpr_msb 64                       ;  msbs: dst=1 src0=0 src1=0 src2=0
	v_fmac_f64_e32 v[8:9] /*v[264:265]*/, v[162:163], v[168:169]
	s_set_vgpr_msb 0                        ;  msbs: dst=0 src0=0 src1=0 src2=0
	ds_bpermute_b32 v162, v5, v144 offset:16
	ds_bpermute_b32 v163, v5, v145 offset:16
	v_add_f64_e32 v[150:151], v[150:151], v[154:155]
	ds_bpermute_b32 v154, v5, v142 offset:28
	ds_bpermute_b32 v155, v5, v143 offset:28
	s_wait_dscnt 0x0
	v_add_f64_e64 v[154:155], v[192:193], -v[154:155]
	v_mul_f64_e32 v[160:161], v[158:159], v[160:161]
	s_set_vgpr_msb 64                       ;  msbs: dst=1 src0=0 src1=0 src2=0
	v_fmac_f64_e32 v[8:9] /*v[264:265]*/, v[156:157], v[162:163]
	s_set_vgpr_msb 0                        ;  msbs: dst=0 src0=0 src1=0 src2=0
	ds_bpermute_b32 v156, v5, v144 offset:20
	ds_bpermute_b32 v157, v5, v145 offset:20
	v_add_f64_e32 v[150:151], v[150:151], v[166:167]
	v_mul_f64_e32 v[154:155], v[172:173], v[154:155]
	s_wait_dscnt 0x0
	s_set_vgpr_msb 64                       ;  msbs: dst=1 src0=0 src1=0 src2=0
	v_fmac_f64_e32 v[8:9] /*v[264:265]*/, v[152:153], v[156:157]
	s_set_vgpr_msb 0                        ;  msbs: dst=0 src0=0 src1=0 src2=0
	ds_bpermute_b32 v152, v5, v142 offset:32
	ds_bpermute_b32 v153, v5, v143 offset:32
	;; [unrolled: 1-line block ×4, first 2 shown]
	v_add_f64_e32 v[150:151], v[150:151], v[158:159]
	ds_bpermute_b32 v158, v5, v144 offset:28
	ds_bpermute_b32 v159, v5, v145 offset:28
	s_wait_dscnt 0x4
	v_add_f64_e64 v[152:153], v[198:199], -v[152:153]
	s_wait_dscnt 0x2
	s_set_vgpr_msb 64                       ;  msbs: dst=1 src0=0 src1=0 src2=0
	v_fmac_f64_e32 v[8:9] /*v[264:265]*/, v[160:161], v[156:157]
	s_set_vgpr_msb 0                        ;  msbs: dst=0 src0=0 src1=0 src2=0
	ds_bpermute_b32 v156, v5, v142 offset:36
	ds_bpermute_b32 v157, v5, v143 offset:36
	v_add_f64_e32 v[150:151], v[150:151], v[172:173]
	s_wait_dscnt 0x0
	v_add_f64_e64 v[156:157], v[200:201], -v[156:157]
	v_mul_f64_e32 v[152:153], v[164:165], v[152:153]
	s_set_vgpr_msb 64                       ;  msbs: dst=1 src0=0 src1=0 src2=0
	v_fmac_f64_e32 v[8:9] /*v[264:265]*/, v[154:155], v[158:159]
	s_set_vgpr_msb 0                        ;  msbs: dst=0 src0=0 src1=0 src2=0
	ds_bpermute_b32 v154, v5, v142 offset:40
	ds_bpermute_b32 v155, v5, v143 offset:40
	ds_bpermute_b32 v158, v5, v144 offset:32
	ds_bpermute_b32 v159, v5, v145 offset:32
	v_add_f64_e32 v[150:151], v[150:151], v[164:165]
	s_wait_dscnt 0x2
	v_add_f64_e64 v[154:155], v[206:207], -v[154:155]
	v_mul_f64_e32 v[156:157], v[180:181], v[156:157]
	s_wait_dscnt 0x0
	s_set_vgpr_msb 64                       ;  msbs: dst=1 src0=0 src1=0 src2=0
	v_fmac_f64_e32 v[8:9] /*v[264:265]*/, v[152:153], v[158:159]
	s_set_vgpr_msb 0                        ;  msbs: dst=0 src0=0 src1=0 src2=0
	ds_bpermute_b32 v152, v5, v142 offset:44
	ds_bpermute_b32 v153, v5, v143 offset:44
	ds_bpermute_b32 v158, v5, v144 offset:36
	ds_bpermute_b32 v159, v5, v145 offset:36
	v_add_f64_e32 v[150:151], v[150:151], v[180:181]
	s_wait_dscnt 0x2
	v_add_f64_e64 v[152:153], v[208:209], -v[152:153]
	v_mul_f64_e32 v[154:155], v[170:171], v[154:155]
	s_wait_dscnt 0x0
	;; [unrolled: 12-line block ×14, first 2 shown]
	s_set_vgpr_msb 64                       ;  msbs: dst=1 src0=0 src1=0 src2=0
	v_fmac_f64_e32 v[8:9] /*v[264:265]*/, v[156:157], v[158:159]
	s_set_vgpr_msb 0                        ;  msbs: dst=0 src0=0 src1=0 src2=0
	ds_bpermute_b32 v156, v5, v142 offset:96
	ds_bpermute_b32 v157, v5, v143 offset:96
	ds_bpermute_b32 v158, v5, v144 offset:88
	ds_bpermute_b32 v159, v5, v145 offset:88
	v_add_f64_e32 v[150:151], v[150:151], v[218:219]
	s_wait_dscnt 0x2
	s_set_vgpr_msb 1                        ;  msbs: dst=0 src0=1 src1=0 src2=0
	v_add_f64_e64 v[156:157], v[0:1] /*v[256:257]*/, -v[156:157]
	s_set_vgpr_msb 0                        ;  msbs: dst=0 src0=0 src1=0 src2=0
	v_mul_f64_e32 v[152:153], v[236:237], v[152:153]
	s_wait_dscnt 0x0
	s_set_vgpr_msb 64                       ;  msbs: dst=1 src0=0 src1=0 src2=0
	v_fmac_f64_e32 v[8:9] /*v[264:265]*/, v[154:155], v[158:159]
	s_set_vgpr_msb 0                        ;  msbs: dst=0 src0=0 src1=0 src2=0
	ds_bpermute_b32 v154, v5, v142 offset:100
	ds_bpermute_b32 v155, v5, v143 offset:100
	ds_bpermute_b32 v158, v5, v144 offset:92
	ds_bpermute_b32 v159, v5, v145 offset:92
	v_add_f64_e32 v[150:151], v[150:151], v[236:237]
	s_wait_dscnt 0x2
	s_set_vgpr_msb 1                        ;  msbs: dst=0 src0=1 src1=0 src2=0
	v_add_f64_e64 v[154:155], v[4:5] /*v[260:261]*/, -v[154:155]
	s_set_vgpr_msb 0                        ;  msbs: dst=0 src0=0 src1=0 src2=0
	v_mul_f64_e32 v[156:157], v[226:227], v[156:157]
	s_wait_dscnt 0x0
	;; [unrolled: 14-line block ×6, first 2 shown]
	s_set_vgpr_msb 64                       ;  msbs: dst=1 src0=0 src1=0 src2=0
	v_fmac_f64_e32 v[8:9] /*v[264:265]*/, v[156:157], v[158:159]
	s_set_vgpr_msb 0                        ;  msbs: dst=0 src0=0 src1=0 src2=0
	ds_bpermute_b32 v156, v5, v142 offset:120
	ds_bpermute_b32 v157, v5, v143 offset:120
	;; [unrolled: 1-line block ×4, first 2 shown]
	v_add_f64_e32 v[150:151], v[150:151], v[242:243]
	ds_bpermute_b32 v142, v5, v142 offset:124
	ds_bpermute_b32 v143, v5, v143 offset:124
	s_wait_dscnt 0x4
	s_set_vgpr_msb 1                        ;  msbs: dst=0 src0=1 src1=0 src2=0
	v_add_f64_e64 v[156:157], v[18:19] /*v[274:275]*/, -v[156:157]
	v_mul_f64_e32 v[152:153], v[6:7] /*v[262:263]*/, v[152:153]
	s_wait_dscnt 0x2
	s_set_vgpr_msb 64                       ;  msbs: dst=1 src0=0 src1=0 src2=0
	v_fmac_f64_e32 v[8:9] /*v[264:265]*/, v[154:155], v[158:159]
	s_set_vgpr_msb 0                        ;  msbs: dst=0 src0=0 src1=0 src2=0
	ds_bpermute_b32 v154, v5, v144 offset:116
	ds_bpermute_b32 v155, v5, v145 offset:116
	s_set_vgpr_msb 4                        ;  msbs: dst=0 src0=0 src1=1 src2=0
	v_add_f64_e32 v[150:151], v[150:151], v[6:7] /*v[262:263]*/
	s_set_vgpr_msb 1                        ;  msbs: dst=0 src0=1 src1=0 src2=0
	v_mul_f64_e32 v[156:157], v[2:3] /*v[258:259]*/, v[156:157]
	s_wait_dscnt 0x0
	s_set_vgpr_msb 64                       ;  msbs: dst=1 src0=0 src1=0 src2=0
	v_fmac_f64_e32 v[8:9] /*v[264:265]*/, v[152:153], v[154:155]
	s_set_vgpr_msb 0                        ;  msbs: dst=0 src0=0 src1=0 src2=0
	ds_bpermute_b32 v152, v5, v144 offset:120
	ds_bpermute_b32 v153, v5, v145 offset:120
	;; [unrolled: 1-line block ×4, first 2 shown]
	s_set_vgpr_msb 4                        ;  msbs: dst=0 src0=0 src1=1 src2=0
	v_add_f64_e32 v[150:151], v[150:151], v[2:3] /*v[258:259]*/
	s_wait_dscnt 0x2
	s_set_vgpr_msb 64                       ;  msbs: dst=1 src0=0 src1=0 src2=0
	v_fmac_f64_e32 v[8:9] /*v[264:265]*/, v[156:157], v[152:153]
.LBB28_71:                              ;   in Loop: Header=BB28_3 Depth=1
	s_and_b32 vcc_lo, exec_lo, s20
	s_set_vgpr_msb 0                        ;  msbs: dst=0 src0=0 src1=0 src2=0
	s_cbranch_vccz .LBB28_139
; %bb.72:                               ;   in Loop: Header=BB28_3 Depth=1
	s_load_b32 s20, s[24:25], 0x0
	s_wait_dscnt 0x0
	v_mov_b64_e32 v[144:145], 0
	v_mov_b64_e32 v[142:143], 0
	s_wait_kmcnt 0x0
	s_cmp_lt_u32 s16, s20
	s_cselect_b32 s20, 12, 18
	s_delay_alu instid0(SALU_CYCLE_1)
	s_add_nc_u64 s[34:35], s[24:25], s[20:21]
	s_load_u16 s20, s[34:35], 0x0
	s_wait_kmcnt 0x0
	s_set_vgpr_msb 16                       ;  msbs: dst=0 src0=0 src1=0 src2=1
	v_mad_u32_u24 v4, v1, s20, v20 /*v276*/
	s_mov_b32 s20, exec_lo
	s_delay_alu instid0(VALU_DEP_1) | instskip(NEXT) | instid1(VALU_DEP_1)
	v_and_b32_e32 v4, 31, v4
	v_add_nc_u64_e32 v[146:147], v[140:141], v[4:5]
	v_mov_b64_e32 v[140:141], 0
	s_delay_alu instid0(VALU_DEP_2)
	v_cmpx_gt_i64_e64 s[4:5], v[146:147]
	s_set_vgpr_msb 0                        ;  msbs: dst=0 src0=0 src1=0 src2=0
	s_cbranch_execz .LBB28_74
; %bb.73:                               ;   in Loop: Header=BB28_3 Depth=1
	v_lshlrev_b64_e32 v[140:141], 3, v[146:147]
	s_delay_alu instid0(VALU_DEP_1)
	v_add_nc_u64_e32 v[146:147], s[12:13], v[140:141]
	v_add_nc_u64_e32 v[148:149], s[14:15], v[140:141]
	global_load_b64 v[140:141], v[146:147], off
	global_load_b64 v[142:143], v[148:149], off
.LBB28_74:                              ;   in Loop: Header=BB28_3 Depth=1
	s_wait_xcnt 0x0
	s_or_b32 exec_lo, exec_lo, s20
	v_mov_b64_e32 v[174:175], 0
	s_and_saveexec_b32 s20, s2
	s_cbranch_execz .LBB28_76
; %bb.75:                               ;   in Loop: Header=BB28_3 Depth=1
	v_add_nc_u64_e32 v[146:147], v[10:11], v[8:9]
	v_add_nc_u64_e32 v[148:149], v[12:13], v[8:9]
	global_load_b64 v[144:145], v[146:147], off
	global_load_b64 v[174:175], v[148:149], off
.LBB28_76:                              ;   in Loop: Header=BB28_3 Depth=1
	s_wait_xcnt 0x0
	s_or_b32 exec_lo, exec_lo, s20
	v_mov_b64_e32 v[150:151], 0
	v_mov_b64_e32 v[156:157], 0
	v_mov_b64_e32 v[182:183], 0
	s_and_saveexec_b32 s20, s2
	s_cbranch_execz .LBB28_78
; %bb.77:                               ;   in Loop: Header=BB28_3 Depth=1
	v_add_nc_u64_e32 v[146:147], v[134:135], v[8:9]
	v_add_nc_u64_e32 v[148:149], v[136:137], v[8:9]
	global_load_b64 v[156:157], v[146:147], off
	global_load_b64 v[182:183], v[148:149], off
.LBB28_78:                              ;   in Loop: Header=BB28_3 Depth=1
	s_wait_xcnt 0x0
	s_or_b32 exec_lo, exec_lo, s20
	v_mov_b64_e32 v[186:187], 0
	s_and_saveexec_b32 s20, s2
	s_cbranch_execz .LBB28_80
; %bb.79:                               ;   in Loop: Header=BB28_3 Depth=1
	v_add_nc_u64_e32 v[146:147], v[130:131], v[8:9]
	v_add_nc_u64_e32 v[148:149], v[132:133], v[8:9]
	global_load_b64 v[150:151], v[146:147], off
	global_load_b64 v[186:187], v[148:149], off
.LBB28_80:                              ;   in Loop: Header=BB28_3 Depth=1
	s_wait_xcnt 0x0
	s_or_b32 exec_lo, exec_lo, s20
	v_mov_b64_e32 v[152:153], 0
	v_mov_b64_e32 v[160:161], 0
	v_mov_b64_e32 v[190:191], 0
	s_and_saveexec_b32 s20, s2
	s_cbranch_execz .LBB28_82
; %bb.81:                               ;   in Loop: Header=BB28_3 Depth=1
	v_add_nc_u64_e32 v[146:147], v[126:127], v[8:9]
	v_add_nc_u64_e32 v[148:149], v[128:129], v[8:9]
	global_load_b64 v[160:161], v[146:147], off
	global_load_b64 v[190:191], v[148:149], off
.LBB28_82:                              ;   in Loop: Header=BB28_3 Depth=1
	s_wait_xcnt 0x0
	s_or_b32 exec_lo, exec_lo, s20
	v_mov_b64_e32 v[194:195], 0
	s_and_saveexec_b32 s20, s2
	s_cbranch_execz .LBB28_84
; %bb.83:                               ;   in Loop: Header=BB28_3 Depth=1
	v_add_nc_u64_e32 v[146:147], v[122:123], v[8:9]
	v_add_nc_u64_e32 v[148:149], v[124:125], v[8:9]
	global_load_b64 v[152:153], v[146:147], off
	global_load_b64 v[194:195], v[148:149], off
.LBB28_84:                              ;   in Loop: Header=BB28_3 Depth=1
	s_wait_xcnt 0x0
	s_or_b32 exec_lo, exec_lo, s20
	v_mov_b64_e32 v[154:155], 0
	v_mov_b64_e32 v[164:165], 0
	v_mov_b64_e32 v[198:199], 0
	s_and_saveexec_b32 s20, s2
	s_cbranch_execz .LBB28_86
; %bb.85:                               ;   in Loop: Header=BB28_3 Depth=1
	v_add_nc_u64_e32 v[146:147], v[118:119], v[8:9]
	v_add_nc_u64_e32 v[148:149], v[120:121], v[8:9]
	global_load_b64 v[164:165], v[146:147], off
	global_load_b64 v[198:199], v[148:149], off
.LBB28_86:                              ;   in Loop: Header=BB28_3 Depth=1
	s_wait_xcnt 0x0
	s_or_b32 exec_lo, exec_lo, s20
	v_mov_b64_e32 v[202:203], 0
	s_and_saveexec_b32 s20, s2
	s_cbranch_execz .LBB28_88
; %bb.87:                               ;   in Loop: Header=BB28_3 Depth=1
	v_add_nc_u64_e32 v[146:147], v[114:115], v[8:9]
	v_add_nc_u64_e32 v[148:149], v[116:117], v[8:9]
	global_load_b64 v[154:155], v[146:147], off
	global_load_b64 v[202:203], v[148:149], off
.LBB28_88:                              ;   in Loop: Header=BB28_3 Depth=1
	s_wait_xcnt 0x0
	s_or_b32 exec_lo, exec_lo, s20
	v_mov_b64_e32 v[158:159], 0
	v_mov_b64_e32 v[168:169], 0
	v_mov_b64_e32 v[206:207], 0
	s_and_saveexec_b32 s20, s2
	s_cbranch_execz .LBB28_90
; %bb.89:                               ;   in Loop: Header=BB28_3 Depth=1
	v_add_nc_u64_e32 v[146:147], v[110:111], v[8:9]
	v_add_nc_u64_e32 v[148:149], v[112:113], v[8:9]
	global_load_b64 v[168:169], v[146:147], off
	global_load_b64 v[206:207], v[148:149], off
.LBB28_90:                              ;   in Loop: Header=BB28_3 Depth=1
	s_wait_xcnt 0x0
	s_or_b32 exec_lo, exec_lo, s20
	v_mov_b64_e32 v[210:211], 0
	s_and_saveexec_b32 s20, s2
	s_cbranch_execz .LBB28_92
; %bb.91:                               ;   in Loop: Header=BB28_3 Depth=1
	v_add_nc_u64_e32 v[146:147], v[106:107], v[8:9]
	v_add_nc_u64_e32 v[148:149], v[108:109], v[8:9]
	global_load_b64 v[158:159], v[146:147], off
	global_load_b64 v[210:211], v[148:149], off
.LBB28_92:                              ;   in Loop: Header=BB28_3 Depth=1
	s_wait_xcnt 0x0
	s_or_b32 exec_lo, exec_lo, s20
	v_mov_b64_e32 v[162:163], 0
	v_mov_b64_e32 v[172:173], 0
	v_mov_b64_e32 v[214:215], 0
	s_and_saveexec_b32 s20, s2
	s_cbranch_execz .LBB28_94
; %bb.93:                               ;   in Loop: Header=BB28_3 Depth=1
	v_add_nc_u64_e32 v[146:147], v[102:103], v[8:9]
	v_add_nc_u64_e32 v[148:149], v[104:105], v[8:9]
	global_load_b64 v[172:173], v[146:147], off
	global_load_b64 v[214:215], v[148:149], off
.LBB28_94:                              ;   in Loop: Header=BB28_3 Depth=1
	s_wait_xcnt 0x0
	s_or_b32 exec_lo, exec_lo, s20
	v_mov_b64_e32 v[218:219], 0
	s_and_saveexec_b32 s20, s2
	s_cbranch_execz .LBB28_96
; %bb.95:                               ;   in Loop: Header=BB28_3 Depth=1
	v_add_nc_u64_e32 v[146:147], v[98:99], v[8:9]
	v_add_nc_u64_e32 v[148:149], v[100:101], v[8:9]
	global_load_b64 v[162:163], v[146:147], off
	global_load_b64 v[218:219], v[148:149], off
.LBB28_96:                              ;   in Loop: Header=BB28_3 Depth=1
	s_wait_xcnt 0x0
	s_or_b32 exec_lo, exec_lo, s20
	v_mov_b64_e32 v[166:167], 0
	v_mov_b64_e32 v[178:179], 0
	v_mov_b64_e32 v[222:223], 0
	s_and_saveexec_b32 s20, s2
	s_cbranch_execz .LBB28_98
; %bb.97:                               ;   in Loop: Header=BB28_3 Depth=1
	v_add_nc_u64_e32 v[146:147], v[94:95], v[8:9]
	v_add_nc_u64_e32 v[148:149], v[96:97], v[8:9]
	global_load_b64 v[178:179], v[146:147], off
	global_load_b64 v[222:223], v[148:149], off
.LBB28_98:                              ;   in Loop: Header=BB28_3 Depth=1
	s_wait_xcnt 0x0
	s_or_b32 exec_lo, exec_lo, s20
	v_mov_b64_e32 v[226:227], 0
	s_and_saveexec_b32 s20, s2
	s_cbranch_execz .LBB28_100
; %bb.99:                               ;   in Loop: Header=BB28_3 Depth=1
	v_add_nc_u64_e32 v[146:147], v[90:91], v[8:9]
	v_add_nc_u64_e32 v[148:149], v[92:93], v[8:9]
	global_load_b64 v[166:167], v[146:147], off
	global_load_b64 v[226:227], v[148:149], off
.LBB28_100:                             ;   in Loop: Header=BB28_3 Depth=1
	s_wait_xcnt 0x0
	s_or_b32 exec_lo, exec_lo, s20
	v_mov_b64_e32 v[170:171], 0
	v_mov_b64_e32 v[184:185], 0
	v_mov_b64_e32 v[228:229], 0
	s_and_saveexec_b32 s20, s2
	s_cbranch_execz .LBB28_102
; %bb.101:                              ;   in Loop: Header=BB28_3 Depth=1
	v_add_nc_u64_e32 v[146:147], v[86:87], v[8:9]
	v_add_nc_u64_e32 v[148:149], v[88:89], v[8:9]
	global_load_b64 v[184:185], v[146:147], off
	global_load_b64 v[228:229], v[148:149], off
.LBB28_102:                             ;   in Loop: Header=BB28_3 Depth=1
	s_wait_xcnt 0x0
	s_or_b32 exec_lo, exec_lo, s20
	v_mov_b64_e32 v[232:233], 0
	s_and_saveexec_b32 s20, s2
	s_cbranch_execz .LBB28_104
; %bb.103:                              ;   in Loop: Header=BB28_3 Depth=1
	v_add_nc_u64_e32 v[146:147], v[82:83], v[8:9]
	v_add_nc_u64_e32 v[148:149], v[84:85], v[8:9]
	global_load_b64 v[170:171], v[146:147], off
	global_load_b64 v[232:233], v[148:149], off
.LBB28_104:                             ;   in Loop: Header=BB28_3 Depth=1
	s_wait_xcnt 0x0
	s_or_b32 exec_lo, exec_lo, s20
	v_mov_b64_e32 v[176:177], 0
	v_mov_b64_e32 v[192:193], 0
	v_mov_b64_e32 v[234:235], 0
	s_and_saveexec_b32 s20, s2
	s_cbranch_execz .LBB28_106
; %bb.105:                              ;   in Loop: Header=BB28_3 Depth=1
	v_add_nc_u64_e32 v[146:147], v[78:79], v[8:9]
	v_add_nc_u64_e32 v[148:149], v[80:81], v[8:9]
	global_load_b64 v[192:193], v[146:147], off
	global_load_b64 v[234:235], v[148:149], off
.LBB28_106:                             ;   in Loop: Header=BB28_3 Depth=1
	s_wait_xcnt 0x0
	s_or_b32 exec_lo, exec_lo, s20
	v_mov_b64_e32 v[238:239], 0
	s_and_saveexec_b32 s20, s2
	s_cbranch_execz .LBB28_108
; %bb.107:                              ;   in Loop: Header=BB28_3 Depth=1
	v_add_nc_u64_e32 v[146:147], v[74:75], v[8:9]
	v_add_nc_u64_e32 v[148:149], v[76:77], v[8:9]
	global_load_b64 v[176:177], v[146:147], off
	global_load_b64 v[238:239], v[148:149], off
.LBB28_108:                             ;   in Loop: Header=BB28_3 Depth=1
	;; [unrolled: 24-line block ×5, first 2 shown]
	s_wait_xcnt 0x0
	s_or_b32 exec_lo, exec_lo, s20
	v_mov_b64_e32 v[204:205], 0
	v_mov_b64_e32 v[224:225], 0
	s_set_vgpr_msb 64                       ;  msbs: dst=1 src0=0 src1=0 src2=0
	v_mov_b64_e32 v[0:1] /*v[256:257]*/, 0
	s_and_saveexec_b32 s20, s2
	s_set_vgpr_msb 0                        ;  msbs: dst=0 src0=0 src1=0 src2=0
	s_cbranch_execz .LBB28_122
; %bb.121:                              ;   in Loop: Header=BB28_3 Depth=1
	v_add_nc_u64_e32 v[146:147], v[46:47], v[8:9]
	v_add_nc_u64_e32 v[148:149], v[48:49], v[8:9]
	global_load_b64 v[224:225], v[146:147], off
	s_set_vgpr_msb 64                       ;  msbs: dst=1 src0=0 src1=0 src2=0
	global_load_b64 v[0:1] /*v[256:257]*/, v[148:149], off
.LBB28_122:                             ;   in Loop: Header=BB28_3 Depth=1
	s_wait_xcnt 0x0
	s_or_b32 exec_lo, exec_lo, s20
	s_set_vgpr_msb 64                       ;  msbs: dst=1 src0=0 src1=0 src2=0
	v_mov_b64_e32 v[2:3] /*v[258:259]*/, 0
	s_and_saveexec_b32 s20, s2
	s_set_vgpr_msb 0                        ;  msbs: dst=0 src0=0 src1=0 src2=0
	s_cbranch_execz .LBB28_124
; %bb.123:                              ;   in Loop: Header=BB28_3 Depth=1
	v_add_nc_u64_e32 v[146:147], v[42:43], v[8:9]
	v_add_nc_u64_e32 v[148:149], v[44:45], v[8:9]
	global_load_b64 v[204:205], v[146:147], off
	s_set_vgpr_msb 64                       ;  msbs: dst=1 src0=0 src1=0 src2=0
	global_load_b64 v[2:3] /*v[258:259]*/, v[148:149], off
.LBB28_124:                             ;   in Loop: Header=BB28_3 Depth=1
	s_wait_xcnt 0x0
	s_or_b32 exec_lo, exec_lo, s20
	s_set_vgpr_msb 0                        ;  msbs: dst=0 src0=0 src1=0 src2=0
	v_mov_b64_e32 v[212:213], 0
	v_mov_b64_e32 v[230:231], 0
	s_set_vgpr_msb 64                       ;  msbs: dst=1 src0=0 src1=0 src2=0
	v_mov_b64_e32 v[4:5] /*v[260:261]*/, 0
	s_and_saveexec_b32 s20, s2
	s_set_vgpr_msb 0                        ;  msbs: dst=0 src0=0 src1=0 src2=0
	s_cbranch_execz .LBB28_126
; %bb.125:                              ;   in Loop: Header=BB28_3 Depth=1
	v_add_nc_u64_e32 v[146:147], v[38:39], v[8:9]
	v_add_nc_u64_e32 v[148:149], v[40:41], v[8:9]
	global_load_b64 v[230:231], v[146:147], off
	s_set_vgpr_msb 64                       ;  msbs: dst=1 src0=0 src1=0 src2=0
	global_load_b64 v[4:5] /*v[260:261]*/, v[148:149], off
.LBB28_126:                             ;   in Loop: Header=BB28_3 Depth=1
	s_wait_xcnt 0x0
	s_or_b32 exec_lo, exec_lo, s20
	s_set_vgpr_msb 64                       ;  msbs: dst=1 src0=0 src1=0 src2=0
	v_mov_b64_e32 v[6:7] /*v[262:263]*/, 0
	s_and_saveexec_b32 s20, s2
	s_set_vgpr_msb 0                        ;  msbs: dst=0 src0=0 src1=0 src2=0
	s_cbranch_execz .LBB28_128
; %bb.127:                              ;   in Loop: Header=BB28_3 Depth=1
	v_add_nc_u64_e32 v[146:147], v[34:35], v[8:9]
	v_add_nc_u64_e32 v[148:149], v[36:37], v[8:9]
	global_load_b64 v[212:213], v[146:147], off
	s_set_vgpr_msb 64                       ;  msbs: dst=1 src0=0 src1=0 src2=0
	global_load_b64 v[6:7] /*v[262:263]*/, v[148:149], off
.LBB28_128:                             ;   in Loop: Header=BB28_3 Depth=1
	s_wait_xcnt 0x0
	s_or_b32 exec_lo, exec_lo, s20
	s_set_vgpr_msb 0                        ;  msbs: dst=0 src0=0 src1=0 src2=0
	;; [unrolled: 31-line block ×4, first 2 shown]
	v_mov_b64_e32 v[146:147], 0
	v_mov_b64_e32 v[148:149], 0
	s_and_saveexec_b32 s20, s2
	s_cbranch_execz .LBB28_138
; %bb.137:                              ;   in Loop: Header=BB28_3 Depth=1
	s_set_vgpr_msb 64                       ;  msbs: dst=1 src0=0 src1=0 src2=0
	v_add_nc_u64_e32 v[16:17] /*v[272:273]*/, v[14:15], v[8:9]
	v_add_nc_u64_e32 v[18:19] /*v[274:275]*/, v[16:17], v[8:9]
	s_set_vgpr_msb 1                        ;  msbs: dst=0 src0=1 src1=0 src2=0
	global_load_b64 v[146:147], v[16:17] /*v[272:273]*/, off
	global_load_b64 v[148:149], v[18:19] /*v[274:275]*/, off
.LBB28_138:                             ;   in Loop: Header=BB28_3 Depth=1
	s_wait_xcnt 0x0
	s_or_b32 exec_lo, exec_lo, s20
	s_wait_loadcnt 0x1
	s_set_vgpr_msb 64                       ;  msbs: dst=1 src0=0 src1=0 src2=0
	ds_bpermute_b32 v16 /*v272*/, v5, v140
	ds_bpermute_b32 v17 /*v273*/, v5, v141
	s_wait_loadcnt 0x0
	ds_bpermute_b32 v18 /*v274*/, v5, v142
	ds_bpermute_b32 v19 /*v275*/, v5, v143
	s_set_vgpr_msb 0                        ;  msbs: dst=0 src0=0 src1=0 src2=0
	v_add_f64_e32 v[2:3], v[2:3], v[144:145]
	s_wait_dscnt 0x2
	s_set_vgpr_msb 4                        ;  msbs: dst=0 src0=0 src1=1 src2=0
	v_add_f64_e64 v[174:175], v[174:175], -v[16:17] /*v[272:273]*/
	s_set_vgpr_msb 64                       ;  msbs: dst=1 src0=0 src1=0 src2=0
	ds_bpermute_b32 v16 /*v272*/, v5, v140 offset:4
	ds_bpermute_b32 v17 /*v273*/, v5, v141 offset:4
	s_set_vgpr_msb 0                        ;  msbs: dst=0 src0=0 src1=0 src2=0
	v_add_f64_e32 v[2:3], v[2:3], v[156:157]
	s_wait_dscnt 0x0
	s_set_vgpr_msb 4                        ;  msbs: dst=0 src0=0 src1=1 src2=0
	v_add_f64_e64 v[182:183], v[182:183], -v[16:17] /*v[272:273]*/
	s_set_vgpr_msb 64                       ;  msbs: dst=1 src0=0 src1=0 src2=0
	ds_bpermute_b32 v16 /*v272*/, v5, v140 offset:8
	ds_bpermute_b32 v17 /*v273*/, v5, v141 offset:8
	s_set_vgpr_msb 0                        ;  msbs: dst=0 src0=0 src1=0 src2=0
	v_mul_f64_e32 v[174:175], v[144:145], v[174:175]
	ds_bpermute_b32 v144, v5, v140 offset:12
	ds_bpermute_b32 v145, v5, v141 offset:12
	s_wait_dscnt 0x2
	s_set_vgpr_msb 4                        ;  msbs: dst=0 src0=0 src1=1 src2=0
	v_add_f64_e64 v[186:187], v[186:187], -v[16:17] /*v[272:273]*/
	s_set_vgpr_msb 0                        ;  msbs: dst=0 src0=0 src1=0 src2=0
	v_add_f64_e32 v[2:3], v[2:3], v[150:151]
	v_mul_f64_e32 v[182:183], v[156:157], v[182:183]
	s_wait_dscnt 0x0
	v_add_f64_e64 v[144:145], v[190:191], -v[144:145]
	ds_bpermute_b32 v156, v5, v140 offset:16
	ds_bpermute_b32 v157, v5, v141 offset:16
	s_set_vgpr_msb 4                        ;  msbs: dst=0 src0=0 src1=1 src2=0
	v_fmac_f64_e32 v[138:139], v[174:175], v[18:19] /*v[274:275]*/
	s_set_vgpr_msb 0                        ;  msbs: dst=0 src0=0 src1=0 src2=0
	ds_bpermute_b32 v174, v5, v142 offset:4
	ds_bpermute_b32 v175, v5, v143 offset:4
	v_mul_f64_e32 v[186:187], v[150:151], v[186:187]
	s_wait_dscnt 0x2
	v_add_f64_e64 v[156:157], v[194:195], -v[156:157]
	ds_bpermute_b32 v150, v5, v140 offset:20
	ds_bpermute_b32 v151, v5, v141 offset:20
	v_add_f64_e32 v[2:3], v[2:3], v[160:161]
	v_mul_f64_e32 v[144:145], v[160:161], v[144:145]
	ds_bpermute_b32 v160, v5, v142 offset:16
	ds_bpermute_b32 v161, v5, v143 offset:16
	s_wait_dscnt 0x4
	v_fmac_f64_e32 v[138:139], v[182:183], v[174:175]
	ds_bpermute_b32 v174, v5, v142 offset:8
	ds_bpermute_b32 v175, v5, v143 offset:8
	s_wait_dscnt 0x4
	v_add_f64_e64 v[150:151], v[198:199], -v[150:151]
	v_mul_f64_e32 v[156:157], v[152:153], v[156:157]
	v_add_f64_e32 v[2:3], v[2:3], v[152:153]
	ds_bpermute_b32 v152, v5, v140 offset:28
	ds_bpermute_b32 v153, v5, v141 offset:28
	s_wait_dscnt 0x2
	v_fmac_f64_e32 v[138:139], v[186:187], v[174:175]
	ds_bpermute_b32 v174, v5, v142 offset:12
	ds_bpermute_b32 v175, v5, v143 offset:12
	v_mul_f64_e32 v[150:151], v[164:165], v[150:151]
	s_wait_dscnt 0x2
	v_add_f64_e64 v[152:153], v[206:207], -v[152:153]
	v_add_f64_e32 v[2:3], v[2:3], v[164:165]
	s_wait_dscnt 0x0
	v_fmac_f64_e32 v[138:139], v[144:145], v[174:175]
	ds_bpermute_b32 v144, v5, v140 offset:24
	ds_bpermute_b32 v145, v5, v141 offset:24
	v_mul_f64_e32 v[152:153], v[168:169], v[152:153]
	v_add_f64_e32 v[2:3], v[2:3], v[154:155]
	s_wait_dscnt 0x0
	v_add_f64_e64 v[144:145], v[202:203], -v[144:145]
	v_fmac_f64_e32 v[138:139], v[156:157], v[160:161]
	ds_bpermute_b32 v156, v5, v142 offset:20
	ds_bpermute_b32 v157, v5, v143 offset:20
	v_add_f64_e32 v[2:3], v[2:3], v[168:169]
	v_mul_f64_e32 v[144:145], v[154:155], v[144:145]
	ds_bpermute_b32 v154, v5, v142 offset:28
	ds_bpermute_b32 v155, v5, v143 offset:28
	s_wait_dscnt 0x2
	v_fmac_f64_e32 v[138:139], v[150:151], v[156:157]
	ds_bpermute_b32 v150, v5, v140 offset:32
	ds_bpermute_b32 v151, v5, v141 offset:32
	;; [unrolled: 1-line block ×4, first 2 shown]
	v_add_f64_e32 v[2:3], v[2:3], v[158:159]
	s_wait_dscnt 0x2
	v_add_f64_e64 v[150:151], v[210:211], -v[150:151]
	s_wait_dscnt 0x0
	v_fmac_f64_e32 v[138:139], v[144:145], v[156:157]
	ds_bpermute_b32 v144, v5, v140 offset:36
	ds_bpermute_b32 v145, v5, v141 offset:36
	v_add_f64_e32 v[2:3], v[2:3], v[172:173]
	s_wait_dscnt 0x0
	v_add_f64_e64 v[144:145], v[214:215], -v[144:145]
	v_mul_f64_e32 v[150:151], v[158:159], v[150:151]
	v_fmac_f64_e32 v[138:139], v[152:153], v[154:155]
	ds_bpermute_b32 v152, v5, v140 offset:40
	ds_bpermute_b32 v153, v5, v141 offset:40
	ds_bpermute_b32 v154, v5, v142 offset:32
	ds_bpermute_b32 v155, v5, v143 offset:32
	v_add_f64_e32 v[2:3], v[2:3], v[162:163]
	s_wait_dscnt 0x2
	v_add_f64_e64 v[152:153], v[218:219], -v[152:153]
	v_mul_f64_e32 v[144:145], v[172:173], v[144:145]
	s_wait_dscnt 0x0
	v_fmac_f64_e32 v[138:139], v[150:151], v[154:155]
	ds_bpermute_b32 v150, v5, v140 offset:44
	ds_bpermute_b32 v151, v5, v141 offset:44
	ds_bpermute_b32 v154, v5, v142 offset:36
	ds_bpermute_b32 v155, v5, v143 offset:36
	v_add_f64_e32 v[2:3], v[2:3], v[178:179]
	s_wait_dscnt 0x2
	v_add_f64_e64 v[150:151], v[222:223], -v[150:151]
	v_mul_f64_e32 v[152:153], v[162:163], v[152:153]
	s_wait_dscnt 0x0
	;; [unrolled: 10-line block ×13, first 2 shown]
	v_fmac_f64_e32 v[138:139], v[150:151], v[154:155]
	ds_bpermute_b32 v150, v5, v140 offset:92
	ds_bpermute_b32 v151, v5, v141 offset:92
	ds_bpermute_b32 v154, v5, v142 offset:84
	ds_bpermute_b32 v155, v5, v143 offset:84
	v_add_f64_e32 v[2:3], v[2:3], v[224:225]
	s_wait_dscnt 0x2
	s_set_vgpr_msb 1                        ;  msbs: dst=0 src0=1 src1=0 src2=0
	v_add_f64_e64 v[150:151], v[0:1] /*v[256:257]*/, -v[150:151]
	s_set_vgpr_msb 0                        ;  msbs: dst=0 src0=0 src1=0 src2=0
	v_mul_f64_e32 v[152:153], v[196:197], v[152:153]
	s_wait_dscnt 0x0
	v_fmac_f64_e32 v[138:139], v[144:145], v[154:155]
	ds_bpermute_b32 v144, v5, v140 offset:96
	ds_bpermute_b32 v145, v5, v141 offset:96
	ds_bpermute_b32 v154, v5, v142 offset:88
	ds_bpermute_b32 v155, v5, v143 offset:88
	v_add_f64_e32 v[2:3], v[2:3], v[204:205]
	s_wait_dscnt 0x2
	s_set_vgpr_msb 1                        ;  msbs: dst=0 src0=1 src1=0 src2=0
	v_add_f64_e64 v[144:145], v[2:3] /*v[258:259]*/, -v[144:145]
	s_set_vgpr_msb 0                        ;  msbs: dst=0 src0=0 src1=0 src2=0
	v_mul_f64_e32 v[150:151], v[224:225], v[150:151]
	s_wait_dscnt 0x0
	;; [unrolled: 12-line block ×7, first 2 shown]
	v_fmac_f64_e32 v[138:139], v[144:145], v[154:155]
	ds_bpermute_b32 v144, v5, v142 offset:112
	ds_bpermute_b32 v145, v5, v143 offset:112
	;; [unrolled: 1-line block ×4, first 2 shown]
	v_mul_f64_e32 v[150:151], v[252:253], v[150:151]
	s_wait_dscnt 0x2
	v_fmac_f64_e32 v[138:139], v[152:153], v[144:145]
	s_wait_dscnt 0x0
	s_set_vgpr_msb 1                        ;  msbs: dst=0 src0=1 src1=0 src2=0
	v_add_f64_e64 v[144:145], v[14:15] /*v[270:271]*/, -v[154:155]
	s_set_vgpr_msb 0                        ;  msbs: dst=0 src0=0 src1=0 src2=0
	ds_bpermute_b32 v152, v5, v142 offset:116
	ds_bpermute_b32 v153, v5, v143 offset:116
	s_wait_dscnt 0x0
	v_fmac_f64_e32 v[138:139], v[150:151], v[152:153]
	v_mul_f64_e32 v[144:145], v[246:247], v[144:145]
	ds_bpermute_b32 v150, v5, v142 offset:120
	ds_bpermute_b32 v151, v5, v143 offset:120
	s_wait_dscnt 0x0
	v_fmac_f64_e32 v[138:139], v[144:145], v[150:151]
	v_add_f64_e32 v[150:151], v[2:3], v[246:247]
	ds_bpermute_b32 v144, v5, v142 offset:124
	ds_bpermute_b32 v145, v5, v143 offset:124
	;; [unrolled: 1-line block ×4, first 2 shown]
	s_set_vgpr_msb 64                       ;  msbs: dst=1 src0=0 src1=0 src2=0
	v_mov_b64_e32 v[8:9] /*v[264:265]*/, v[138:139]
.LBB28_139:                             ;   in Loop: Header=BB28_3 Depth=1
	s_wait_dscnt 0x0
	s_set_vgpr_msb 0                        ;  msbs: dst=0 src0=0 src1=0 src2=0
	v_add_f64_e64 v[138:139], v[148:149], -v[142:143]
	s_delay_alu instid0(VALU_DEP_3)
	v_add_f64_e32 v[2:3], v[150:151], v[146:147]
	s_add_nc_u64 s[30:31], s[30:31], s[22:23]
	v_add_nc_u64_e32 v[10:11], s[26:27], v[10:11]
	v_cmp_lt_i64_e64 s20, s[30:31], s[4:5]
	v_add_nc_u64_e32 v[12:13], s[26:27], v[12:13]
	v_add_nc_u64_e32 v[14:15], s[26:27], v[14:15]
	;; [unrolled: 1-line block ×27, first 2 shown]
	v_mul_f64_e32 v[138:139], v[146:147], v[138:139]
	v_add_nc_u64_e32 v[66:67], s[26:27], v[66:67]
	v_add_nc_u64_e32 v[68:69], s[26:27], v[68:69]
	;; [unrolled: 1-line block ×31, first 2 shown]
	s_set_vgpr_msb 64                       ;  msbs: dst=1 src0=0 src1=0 src2=0
	v_fmac_f64_e32 v[8:9] /*v[264:265]*/, v[138:139], v[144:145]
	s_set_vgpr_msb 0                        ;  msbs: dst=0 src0=0 src1=0 src2=0
	v_add_nc_u64_e32 v[128:129], s[26:27], v[128:129]
	v_add_nc_u64_e32 v[130:131], s[26:27], v[130:131]
	;; [unrolled: 1-line block ×6, first 2 shown]
	s_and_b32 vcc_lo, exec_lo, s20
	s_add_nc_u64 s[28:29], s[28:29], s[22:23]
	s_cbranch_vccz .LBB28_142
; %bb.140:                              ;   in Loop: Header=BB28_3 Depth=1
	s_set_vgpr_msb 1                        ;  msbs: dst=0 src0=1 src1=0 src2=0
	v_mov_b64_e32 v[138:139], v[8:9] /*v[264:265]*/
	s_set_vgpr_msb 0                        ;  msbs: dst=0 src0=0 src1=0 src2=0
	s_branch .LBB28_3
.LBB28_141:
                                        ; implicit-def: $vgpr2_vgpr3
                                        ; implicit-def: $vgpr264_vgpr265
	s_branch .LBB28_143
.LBB28_142:
	s_cbranch_execnz .LBB28_219
.LBB28_143:
	v_mov_b64_e32 v[2:3], 0
	s_set_vgpr_msb 64                       ;  msbs: dst=1 src0=0 src1=0 src2=0
	v_mov_b64_e32 v[8:9] /*v[264:265]*/, 0
	s_and_not1_b32 vcc_lo, exec_lo, s17
	s_set_vgpr_msb 0                        ;  msbs: dst=0 src0=0 src1=0 src2=0
	s_cbranch_vccnz .LBB28_219
; %bb.144:
	v_and_b32_e32 v1, 0x3ff, v0
	v_mov_b32_e32 v5, 0
	s_set_vgpr_msb 64                       ;  msbs: dst=1 src0=0 src1=0 src2=0
	v_bfe_u32 v142 /*v398*/, v0, 10, 10
	s_load_b32 s2, s[0:1], 0x44
	v_mov_b64_e32 v[6:7] /*v[262:263]*/, 0
	s_set_vgpr_msb 0                        ;  msbs: dst=0 src0=0 src1=0 src2=0
	v_add_nc_u32_e32 v4, s3, v1
	s_mov_b32 s3, 0
	s_mov_b64 s[22:23], 31
	s_mov_b32 s21, s3
	s_mov_b64 s[24:25], s[18:19]
	v_lshlrev_b64_e32 v[6:7], 3, v[4:5]
	s_set_vgpr_msb 4                        ;  msbs: dst=0 src0=0 src1=1 src2=0
	v_lshlrev_b32_e32 v4, 8, v142 /*v398*/
	s_delay_alu instid0(VALU_DEP_1) | instskip(SKIP_1) | instid1(VALU_DEP_1)
	v_lshl_add_u64 v[2:3], s[18:19], 3, v[4:5]
	s_set_vgpr_msb 0                        ;  msbs: dst=0 src0=0 src1=0 src2=0
	v_add_nc_u64_e32 v[24:25], 8, v[2:3]
	v_add_nc_u64_e32 v[28:29], 24, v[2:3]
	;; [unrolled: 1-line block ×7, first 2 shown]
	v_mad_nc_u64_u32 v[8:9], s6, v24, s[8:9]
	v_mul_lo_u32 v4, s6, v25
	v_mul_lo_u32 v32, s7, v24
	v_mad_nc_u64_u32 v[12:13], s6, v28, s[8:9]
	v_mul_lo_u32 v46, s6, v29
	v_mul_lo_u32 v47, s7, v28
	v_mad_nc_u64_u32 v[24:25], s6, v24, s[10:11]
	v_mad_nc_u64_u32 v[28:29], s6, v28, s[10:11]
	v_add_nc_u64_e32 v[34:35], 40, v[2:3]
	v_add_nc_u64_e32 v[36:37], 48, v[2:3]
	;; [unrolled: 1-line block ×3, first 2 shown]
	v_mad_nc_u64_u32 v[20:21], s6, v38, s[8:9]
	v_mul_lo_u32 v58, s6, v39
	v_mul_lo_u32 v59, s7, v38
	v_add3_u32 v9, v32, v9, v4
	v_mad_nc_u64_u32 v[38:39], s6, v38, s[10:11]
	v_add3_u32 v13, v47, v13, v46
	v_add3_u32 v25, v32, v25, v4
	v_mad_nc_u64_u32 v[32:33], s6, v44, s[8:9]
	v_mul_lo_u32 v4, s6, v45
	v_add3_u32 v29, v47, v29, v46
	v_mul_lo_u32 v62, s7, v44
	v_mad_nc_u64_u32 v[44:45], s6, v44, s[10:11]
	v_mad_nc_u64_u32 v[46:47], s6, v50, s[8:9]
	v_mul_lo_u32 v63, s6, v51
	v_mul_lo_u32 v64, s7, v50
	v_mad_nc_u64_u32 v[50:51], s6, v50, s[10:11]
	v_mad_nc_u64_u32 v[10:11], s6, v26, s[8:9]
	v_mul_lo_u32 v42, s6, v27
	v_mul_lo_u32 v43, s7, v26
	v_mad_nc_u64_u32 v[14:15], s6, v30, s[8:9]
	v_mul_lo_u32 v52, s6, v31
	v_mul_lo_u32 v53, s7, v30
	v_mad_nc_u64_u32 v[26:27], s6, v26, s[10:11]
	v_mad_nc_u64_u32 v[30:31], s6, v30, s[10:11]
	v_add_nc_u64_e32 v[66:67], 0x78, v[2:3]
	v_mad_nc_u64_u32 v[16:17], s6, v34, s[8:9]
	v_mul_lo_u32 v54, s6, v35
	v_mul_lo_u32 v55, s7, v34
	v_mad_nc_u64_u32 v[18:19], s6, v36, s[8:9]
	v_mul_lo_u32 v56, s6, v37
	v_mul_lo_u32 v57, s7, v36
	;; [unrolled: 3-line block ×3, first 2 shown]
	v_mad_nc_u64_u32 v[34:35], s6, v34, s[10:11]
	v_mad_nc_u64_u32 v[36:37], s6, v36, s[10:11]
	v_add_nc_u64_e32 v[48:49], 0x50, v[2:3]
	v_mad_nc_u64_u32 v[40:41], s6, v40, s[10:11]
	v_add3_u32 v21, v59, v21, v58
	v_add3_u32 v39, v59, v39, v58
	;; [unrolled: 1-line block ×5, first 2 shown]
	v_add_nc_u64_e32 v[58:59], 0x68, v[2:3]
	v_add3_u32 v51, v64, v51, v63
	v_add_nc_u64_e32 v[62:63], 0x70, v[2:3]
	v_mul_lo_u32 v78, s6, v67
	v_mul_lo_u32 v79, s7, v66
	v_mad_nc_u64_u32 v[64:65], s6, v66, s[8:9]
	v_mad_nc_u64_u32 v[66:67], s6, v66, s[10:11]
	v_add3_u32 v11, v43, v11, v42
	v_add3_u32 v15, v53, v15, v52
	;; [unrolled: 1-line block ×4, first 2 shown]
	v_mad_nc_u64_u32 v[42:43], s6, v48, s[8:9]
	v_mul_lo_u32 v52, s6, v49
	v_mul_lo_u32 v53, s7, v48
	v_mad_nc_u64_u32 v[48:49], s6, v48, s[10:11]
	v_add3_u32 v17, v55, v17, v54
	v_add3_u32 v19, v57, v19, v56
	;; [unrolled: 1-line block ×6, first 2 shown]
	v_add_nc_u64_e32 v[54:55], 0x60, v[2:3]
	v_mul_lo_u32 v73, s6, v59
	v_mul_lo_u32 v74, s7, v58
	v_mad_nc_u64_u32 v[56:57], s6, v58, s[8:9]
	v_mad_nc_u64_u32 v[58:59], s6, v58, s[10:11]
	v_mul_lo_u32 v76, s6, v63
	v_mul_lo_u32 v77, s7, v62
	v_add_nc_u64_e32 v[70:71], 0x80, v[2:3]
	v_mad_nc_u64_u32 v[60:61], s6, v62, s[8:9]
	v_mad_nc_u64_u32 v[62:63], s6, v62, s[10:11]
	v_add3_u32 v65, v79, v65, v78
	v_add3_u32 v67, v79, v67, v78
	v_add_nc_u64_e32 v[78:79], 0x90, v[2:3]
	v_add_nc_u64_e32 v[86:87], 0xa0, v[2:3]
	v_add3_u32 v43, v53, v43, v52
	v_add3_u32 v49, v53, v49, v52
	v_mad_nc_u64_u32 v[52:53], s6, v54, s[8:9]
	v_mul_lo_u32 v4, s6, v55
	v_mul_lo_u32 v72, s7, v54
	v_mad_nc_u64_u32 v[54:55], s6, v54, s[10:11]
	v_mul_lo_u32 v80, s6, v71
	v_mul_lo_u32 v81, s7, v70
	v_mad_nc_u64_u32 v[68:69], s6, v70, s[8:9]
	v_mad_nc_u64_u32 v[70:71], s6, v70, s[10:11]
	v_add3_u32 v57, v74, v57, v73
	v_add3_u32 v59, v74, v59, v73
	;; [unrolled: 1-line block ×3, first 2 shown]
	v_add_nc_u64_e32 v[74:75], 0x88, v[2:3]
	v_add3_u32 v63, v77, v63, v76
	v_add_nc_u64_e32 v[82:83], 0x98, v[2:3]
	v_mul_lo_u32 v93, s6, v79
	v_mul_lo_u32 v94, s7, v78
	v_mad_nc_u64_u32 v[76:77], s6, v78, s[8:9]
	v_mad_nc_u64_u32 v[78:79], s6, v78, s[10:11]
	v_mul_lo_u32 v98, s6, v87
	v_mul_lo_u32 v99, s7, v86
	v_mad_nc_u64_u32 v[84:85], s6, v86, s[8:9]
	v_mad_nc_u64_u32 v[86:87], s6, v86, s[10:11]
	v_add3_u32 v53, v72, v53, v4
	v_add3_u32 v55, v72, v55, v4
	;; [unrolled: 1-line block ×4, first 2 shown]
	v_mul_lo_u32 v4, s6, v75
	v_mul_lo_u32 v92, s7, v74
	v_mad_nc_u64_u32 v[72:73], s6, v74, s[8:9]
	v_mad_nc_u64_u32 v[74:75], s6, v74, s[10:11]
	v_mul_lo_u32 v96, s6, v83
	v_mul_lo_u32 v97, s7, v82
	v_mad_nc_u64_u32 v[80:81], s6, v82, s[8:9]
	v_mad_nc_u64_u32 v[82:83], s6, v82, s[10:11]
	v_add3_u32 v77, v94, v77, v93
	v_add3_u32 v79, v94, v79, v93
	v_add_nc_u64_e32 v[94:95], 0xb0, v[2:3]
	v_add3_u32 v85, v99, v85, v98
	v_add3_u32 v87, v99, v87, v98
	v_add_nc_u64_e32 v[98:99], 0xb8, v[2:3]
	;; [unrolled: 3-line block ×3, first 2 shown]
	v_add3_u32 v81, v97, v81, v96
	v_add3_u32 v83, v97, v83, v96
	v_mul_lo_u32 v4, s6, v95
	v_mul_lo_u32 v112, s7, v94
	v_mad_nc_u64_u32 v[92:93], s6, v94, s[8:9]
	v_mad_nc_u64_u32 v[94:95], s6, v94, s[10:11]
	v_mul_lo_u32 v113, s6, v99
	v_mul_lo_u32 v114, s7, v98
	v_mad_nc_u64_u32 v[96:97], s6, v98, s[8:9]
	v_mad_nc_u64_u32 v[98:99], s6, v98, s[10:11]
	v_mul_lo_u32 v100, s6, v91
	v_mul_lo_u32 v101, s7, v90
	v_mad_nc_u64_u32 v[88:89], s6, v90, s[8:9]
	v_mad_nc_u64_u32 v[90:91], s6, v90, s[10:11]
	v_add_nc_u64_e32 v[102:103], 0xc0, v[2:3]
	v_add3_u32 v93, v112, v93, v4
	v_add3_u32 v95, v112, v95, v4
	s_set_vgpr_msb 4                        ;  msbs: dst=0 src0=0 src1=1 src2=0
	v_lshlrev_b32_e32 v112, 5, v142 /*v398*/
	s_set_vgpr_msb 0                        ;  msbs: dst=0 src0=0 src1=0 src2=0
	v_add_nc_u64_e32 v[110:111], 0xd0, v[2:3]
	v_add3_u32 v97, v114, v97, v113
	v_add3_u32 v99, v114, v99, v113
	v_mov_b32_e32 v113, v5
	v_add_nc_u64_e32 v[106:107], 0xc8, v[2:3]
	v_add3_u32 v89, v101, v89, v100
	v_add3_u32 v91, v101, v91, v100
	v_mul_lo_u32 v115, s6, v103
	v_add_nc_u64_e32 v[198:199], s[18:19], v[112:113]
	v_mul_lo_u32 v116, s7, v102
	v_mad_nc_u64_u32 v[100:101], s6, v102, s[8:9]
	v_mad_nc_u64_u32 v[102:103], s6, v102, s[10:11]
	v_mul_lo_u32 v120, s6, v111
	v_mul_lo_u32 v121, s7, v110
	v_mad_nc_u64_u32 v[108:109], s6, v110, s[8:9]
	v_mad_nc_u64_u32 v[110:111], s6, v110, s[10:11]
	v_add_nc_u64_e32 v[126:127], 31, v[198:199]
	v_add_nc_u64_e32 v[130:131], 30, v[198:199]
	v_mul_u64_e32 v[238:239], s[6:7], v[198:199]
	v_mul_lo_u32 v118, s6, v107
	v_mul_lo_u32 v119, s7, v106
	v_mad_nc_u64_u32 v[104:105], s6, v106, s[8:9]
	v_mad_nc_u64_u32 v[106:107], s6, v106, s[10:11]
	v_add3_u32 v101, v116, v101, v115
	v_add3_u32 v103, v116, v103, v115
	v_add_nc_u64_e32 v[116:117], 0xd8, v[2:3]
	v_add3_u32 v109, v121, v109, v120
	v_add3_u32 v111, v121, v111, v120
	v_add_nc_u64_e32 v[120:121], 0xe0, v[2:3]
	v_mul_u64_e32 v[134:135], s[6:7], v[126:127]
	v_mul_u64_e32 v[136:137], s[6:7], v[130:131]
	v_add_nc_u64_e32 v[124:125], 0xe8, v[2:3]
	v_add3_u32 v105, v119, v105, v118
	v_add3_u32 v107, v119, v107, v118
	v_mul_lo_u32 v4, s6, v117
	v_mul_lo_u32 v142, s7, v116
	v_mad_nc_u64_u32 v[114:115], s6, v116, s[8:9]
	v_mad_nc_u64_u32 v[116:117], s6, v116, s[10:11]
	v_mul_lo_u32 v143, s6, v121
	v_mul_lo_u32 v144, s7, v120
	v_mad_nc_u64_u32 v[118:119], s6, v120, s[8:9]
	v_mad_nc_u64_u32 v[120:121], s6, v120, s[10:11]
	v_add_nc_u64_e32 v[128:129], 0xf0, v[2:3]
	v_add_nc_u64_e32 v[2:3], 0xf8, v[2:3]
	;; [unrolled: 1-line block ×4, first 2 shown]
	v_mul_lo_u32 v145, s6, v125
	v_mul_lo_u32 v146, s7, v124
	v_mad_nc_u64_u32 v[122:123], s6, v124, s[8:9]
	v_mad_nc_u64_u32 v[124:125], s6, v124, s[10:11]
	v_mul_lo_u32 v147, s6, v129
	v_mul_lo_u32 v148, s7, v128
	v_mad_nc_u64_u32 v[126:127], s6, v128, s[8:9]
	v_mad_nc_u64_u32 v[128:129], s6, v128, s[10:11]
	v_mul_lo_u32 v149, s6, v3
	v_mul_lo_u32 v150, s7, v2
	v_mad_nc_u64_u32 v[130:131], s6, v2, s[8:9]
	v_mul_u64_e32 v[140:141], s[6:7], v[132:133]
	v_mad_nc_u64_u32 v[132:133], s6, v2, s[10:11]
	v_mul_u64_e32 v[2:3], s[6:7], v[138:139]
	v_add3_u32 v115, v142, v115, v4
	v_add3_u32 v117, v142, v117, v4
	;; [unrolled: 1-line block ×4, first 2 shown]
	v_add_nc_u64_e32 v[138:139], 27, v[198:199]
	v_add_nc_u64_e32 v[142:143], 26, v[198:199]
	v_add3_u32 v123, v146, v123, v145
	v_add3_u32 v125, v146, v125, v145
	v_add3_u32 v127, v148, v127, v147
	v_add3_u32 v129, v148, v129, v147
	v_add3_u32 v131, v150, v131, v149
	v_add3_u32 v133, v150, v133, v149
	v_add_nc_u64_e32 v[144:145], 25, v[198:199]
	v_lshlrev_b64_e32 v[148:149], 3, v[238:239]
	v_mul_u64_e32 v[150:151], s[6:7], v[138:139]
	v_add_nc_u64_e32 v[138:139], 24, v[198:199]
	v_mul_u64_e32 v[154:155], s[6:7], v[142:143]
	v_add_nc_u64_e32 v[142:143], 23, v[198:199]
	v_lshlrev_b64_e32 v[146:147], 3, v[134:135]
	v_lshlrev_b64_e32 v[152:153], 3, v[136:137]
	v_mul_u64_e32 v[156:157], s[6:7], v[144:145]
	v_add_nc_u64_e32 v[134:135], s[8:9], v[148:149]
	v_add_nc_u64_e32 v[136:137], s[10:11], v[148:149]
	v_mul_u64_e32 v[158:159], s[6:7], v[138:139]
	v_add_nc_u64_e32 v[148:149], 21, v[198:199]
	v_mul_u64_e32 v[162:163], s[6:7], v[142:143]
	v_add_nc_u64_e32 v[142:143], 20, v[198:199]
	v_add_nc_u64_e32 v[164:165], 18, v[198:199]
	;; [unrolled: 1-line block ×4, first 2 shown]
	v_lshlrev_b64_e32 v[160:161], 3, v[140:141]
	v_mul_u64_e32 v[170:171], s[6:7], v[148:149]
	v_add_nc_u64_e32 v[148:149], 19, v[198:199]
	v_mul_u64_e32 v[174:175], s[6:7], v[142:143]
	v_mul_u64_e32 v[180:181], s[6:7], v[164:165]
	;; [unrolled: 1-line block ×3, first 2 shown]
	v_lshlrev_b64_e32 v[2:3], 3, v[2:3]
	v_add_nc_u64_e32 v[164:165], 15, v[198:199]
	v_mul_u64_e32 v[166:167], s[6:7], v[144:145]
	v_mul_u64_e32 v[178:179], s[6:7], v[148:149]
	v_add_nc_u64_e32 v[138:139], s[8:9], v[146:147]
	v_add_nc_u64_e32 v[140:141], s[10:11], v[146:147]
	;; [unrolled: 1-line block ×7, first 2 shown]
	v_lshlrev_b64_e32 v[168:169], 3, v[150:151]
	v_add_nc_u64_e32 v[150:151], s[8:9], v[2:3]
	v_add_nc_u64_e32 v[152:153], s[10:11], v[2:3]
	v_lshlrev_b64_e32 v[2:3], 3, v[154:155]
	v_mul_u64_e32 v[202:203], s[6:7], v[164:165]
	v_lshlrev_b64_e32 v[172:173], 3, v[156:157]
	v_mul_u64_e32 v[200:201], s[6:7], v[160:161]
	v_add_nc_u64_e32 v[154:155], s[8:9], v[168:169]
	v_add_nc_u64_e32 v[156:157], s[10:11], v[168:169]
	v_lshlrev_b64_e32 v[168:169], 3, v[158:159]
	v_add_nc_u64_e32 v[158:159], s[8:9], v[2:3]
	v_add_nc_u64_e32 v[160:161], s[10:11], v[2:3]
	v_lshlrev_b64_e32 v[2:3], 3, v[162:163]
	v_add_nc_u64_e32 v[162:163], s[8:9], v[172:173]
	v_add_nc_u64_e32 v[164:165], s[10:11], v[172:173]
	;; [unrolled: 1-line block ×3, first 2 shown]
	v_lshlrev_b64_e32 v[184:185], 3, v[170:171]
	v_add_nc_u64_e32 v[214:215], 7, v[198:199]
	v_add_nc_u64_e32 v[194:195], 12, v[198:199]
	v_add_nc_u64_e32 v[170:171], s[8:9], v[2:3]
	v_add_nc_u64_e32 v[172:173], s[10:11], v[2:3]
	v_lshlrev_b64_e32 v[2:3], 3, v[174:175]
	v_lshlrev_b64_e32 v[192:193], 3, v[180:181]
	v_add_nc_u64_e32 v[180:181], s[10:11], v[184:185]
	v_lshlrev_b64_e32 v[188:189], 3, v[178:179]
	v_add_nc_u64_e32 v[178:179], s[8:9], v[184:185]
	v_lshlrev_b64_e32 v[196:197], 3, v[182:183]
	v_mul_u64_e32 v[212:213], s[6:7], v[206:207]
	v_add_nc_u64_e32 v[182:183], s[8:9], v[2:3]
	v_add_nc_u64_e32 v[184:185], s[10:11], v[2:3]
	;; [unrolled: 1-line block ×4, first 2 shown]
	v_mul_u64_e32 v[224:225], s[6:7], v[214:215]
	v_add_nc_u64_e32 v[214:215], 5, v[198:199]
	v_add_nc_u64_e32 v[186:187], 14, v[198:199]
	;; [unrolled: 1-line block ×3, first 2 shown]
	v_mul_u64_e32 v[210:211], s[6:7], v[194:195]
	v_mul_u64_e32 v[2:3], s[6:7], v[2:3]
	;; [unrolled: 1-line block ×3, first 2 shown]
	v_add_nc_u64_e32 v[206:207], 6, v[198:199]
	v_add_nc_u64_e32 v[194:195], 9, v[198:199]
	;; [unrolled: 1-line block ×3, first 2 shown]
	v_mul_u64_e32 v[240:241], s[6:7], v[214:215]
	v_add_nc_u64_e32 v[214:215], 2, v[198:199]
	v_mul_u64_e32 v[204:205], s[6:7], v[186:187]
	v_mul_u64_e32 v[208:209], s[6:7], v[190:191]
	;; [unrolled: 1-line block ×3, first 2 shown]
	v_lshlrev_b64_e32 v[206:207], 3, v[202:203]
	v_add_nc_u64_e32 v[202:203], 3, v[198:199]
	v_mul_u64_e32 v[218:219], s[6:7], v[194:195]
	v_mul_u64_e32 v[242:243], s[6:7], v[216:217]
	v_mul_u64_e32 v[246:247], s[6:7], v[214:215]
	v_add_nc_u64_e32 v[252:253], s[6:7], v[238:239]
	v_lshlrev_b64_e32 v[176:177], 3, v[166:167]
	v_lshlrev_b64_e32 v[200:201], 3, v[200:201]
	v_mul_u64_e32 v[244:245], s[6:7], v[202:203]
	v_add_nc_u64_e32 v[166:167], s[8:9], v[168:169]
	v_add_nc_u64_e32 v[168:169], s[10:11], v[168:169]
	;; [unrolled: 1-line block ×3, first 2 shown]
	v_lshlrev_b64_e32 v[228:229], 3, v[212:213]
	s_set_vgpr_msb 64                       ;  msbs: dst=1 src0=0 src1=0 src2=0
	v_lshlrev_b64_e32 v[4:5] /*v[260:261]*/, 3, v[252:253]
	s_set_vgpr_msb 0                        ;  msbs: dst=0 src0=0 src1=0 src2=0
	v_add_nc_u64_e32 v[174:175], s[8:9], v[176:177]
	v_add_nc_u64_e32 v[176:177], s[10:11], v[176:177]
	;; [unrolled: 1-line block ×3, first 2 shown]
	v_lshlrev_b64_e32 v[236:237], 3, v[224:225]
	v_add_nc_u64_e32 v[190:191], s[8:9], v[192:193]
	v_add_nc_u64_e32 v[192:193], s[10:11], v[192:193]
	;; [unrolled: 1-line block ×3, first 2 shown]
	v_lshlrev_b64_e32 v[226:227], 3, v[210:211]
	v_lshlrev_b64_e32 v[2:3], 3, v[2:3]
	;; [unrolled: 1-line block ×3, first 2 shown]
	v_add_nc_u64_e32 v[196:197], s[10:11], v[196:197]
	v_add_nc_u64_e32 v[198:199], s[8:9], v[200:201]
	;; [unrolled: 1-line block ×3, first 2 shown]
	v_lshlrev_b64_e32 v[248:249], 3, v[240:241]
	v_add_nc_u64_e32 v[202:203], s[8:9], v[206:207]
	v_add_nc_u64_e32 v[222:223], s[8:9], v[2:3]
	;; [unrolled: 1-line block ×3, first 2 shown]
	v_lshlrev_b64_e32 v[2:3], 3, v[230:231]
	v_lshlrev_b64_e32 v[216:217], 3, v[204:205]
	;; [unrolled: 1-line block ×5, first 2 shown]
	s_set_vgpr_msb 64                       ;  msbs: dst=1 src0=0 src1=0 src2=0
	v_lshlrev_b64_e32 v[0:1] /*v[256:257]*/, 3, v[246:247]
	s_set_vgpr_msb 0                        ;  msbs: dst=0 src0=0 src1=0 src2=0
	v_add_nc_u64_e32 v[204:205], s[10:11], v[206:207]
	v_add_nc_u64_e32 v[238:239], s[8:9], v[2:3]
	;; [unrolled: 1-line block ×3, first 2 shown]
	v_lshlrev_b64_e32 v[2:3], 3, v[244:245]
	v_add_nc_u64_e32 v[206:207], s[8:9], v[216:217]
	v_add_nc_u64_e32 v[208:209], s[10:11], v[216:217]
	;; [unrolled: 1-line block ×20, first 2 shown]
	s_set_vgpr_msb 4                        ;  msbs: dst=0 src0=0 src1=1 src2=0
	v_add_nc_u64_e32 v[254:255], s[8:9], v[0:1] /*v[256:257]*/
	s_set_vgpr_msb 0x44                     ;  msbs: dst=1 src0=0 src1=1 src2=0
	v_add_nc_u64_e32 v[0:1] /*v[256:257]*/, s[10:11], v[0:1] /*v[256:257]*/
	v_add_nc_u64_e32 v[2:3] /*v[258:259]*/, s[8:9], v[4:5] /*v[260:261]*/
	;; [unrolled: 1-line block ×3, first 2 shown]
	s_set_vgpr_msb 0                        ;  msbs: dst=0 src0=0 src1=0 src2=0
	v_mov_b64_e32 v[2:3], 0
	s_wait_kmcnt 0x0
	s_lshl_b32 s20, s2, 5
	s_add_nc_u64 s[8:9], s[0:1], 64
	s_mul_u64 s[10:11], s[6:7], s[20:21]
	s_delay_alu instid0(SALU_CYCLE_1)
	s_lshl_b64 s[10:11], s[10:11], 3
.LBB28_145:                             ; =>This Inner Loop Header: Depth=1
	s_add_nc_u64 s[26:27], s[18:19], s[22:23]
	s_set_vgpr_msb 64                       ;  msbs: dst=1 src0=0 src1=0 src2=0
	v_add_nc_u64_e32 v[10:11] /*v[266:267]*/, s[18:19], v[112:113]
	v_cmp_ge_i64_e64 s2, s[26:27], s[4:5]
                                        ; implicit-def: $vgpr270_vgpr271
                                        ; implicit-def: $vgpr274_vgpr275
                                        ; implicit-def: $vgpr286_vgpr287
                                        ; implicit-def: $vgpr268
                                        ; implicit-def: $vgpr272_vgpr273
                                        ; implicit-def: $vgpr264_vgpr265
	s_and_b32 vcc_lo, exec_lo, s2
	s_mov_b32 s2, -1
	s_set_vgpr_msb 0                        ;  msbs: dst=0 src0=0 src1=0 src2=0
	s_cbranch_vccz .LBB28_213
; %bb.146:                              ;   in Loop: Header=BB28_145 Depth=1
	s_load_b32 s2, s[8:9], 0xc
	s_set_vgpr_msb 64                       ;  msbs: dst=1 src0=0 src1=0 src2=0
	v_mov_b64_e32 v[16:17] /*v[272:273]*/, 0
	v_mov_b64_e32 v[14:15] /*v[270:271]*/, 0
	;; [unrolled: 1-line block ×3, first 2 shown]
	s_wait_kmcnt 0x0
	s_and_b32 s2, s2, 0xffff
	s_set_vgpr_msb 1                        ;  msbs: dst=0 src0=1 src1=0 src2=0
	v_mad_u32_u24 v4, v142 /*v398*/, s2, v1
	s_mov_b32 s2, exec_lo
	s_delay_alu instid0(VALU_DEP_1) | instskip(SKIP_1) | instid1(VALU_DEP_1)
	v_and_b32_e32 v4, 31, v4
	s_set_vgpr_msb 0x41                     ;  msbs: dst=1 src0=1 src1=0 src2=0
	v_add_nc_u64_e32 v[8:9] /*v[264:265]*/, v[10:11] /*v[266:267]*/, v[4:5]
	s_set_vgpr_msb 4                        ;  msbs: dst=0 src0=0 src1=1 src2=0
	s_delay_alu instid0(VALU_DEP_1)
	v_cmpx_gt_i64_e64 s[4:5], v[8:9] /*v[264:265]*/
	s_set_vgpr_msb 0                        ;  msbs: dst=0 src0=0 src1=0 src2=0
	s_cbranch_execz .LBB28_148
; %bb.147:                              ;   in Loop: Header=BB28_145 Depth=1
	s_set_vgpr_msb 0x44                     ;  msbs: dst=1 src0=0 src1=1 src2=0
	v_lshlrev_b64_e32 v[8:9] /*v[264:265]*/, 3, v[8:9] /*v[264:265]*/
	s_delay_alu instid0(VALU_DEP_1)
	v_add_nc_u64_e32 v[18:19] /*v[274:275]*/, s[12:13], v[8:9] /*v[264:265]*/
	v_add_nc_u64_e32 v[8:9] /*v[264:265]*/, s[14:15], v[8:9] /*v[264:265]*/
	s_set_vgpr_msb 0x41                     ;  msbs: dst=1 src0=1 src1=0 src2=0
	global_load_b64 v[12:13] /*v[268:269]*/, v[18:19] /*v[274:275]*/, off
	global_load_b64 v[14:15] /*v[270:271]*/, v[8:9] /*v[264:265]*/, off
.LBB28_148:                             ;   in Loop: Header=BB28_145 Depth=1
	s_wait_xcnt 0x0
	s_or_b32 exec_lo, exec_lo, s2
	s_set_vgpr_msb 64                       ;  msbs: dst=1 src0=0 src1=0 src2=0
	v_mov_b64_e32 v[8:9] /*v[264:265]*/, 0
	s_mov_b32 s2, exec_lo
	s_set_vgpr_msb 4                        ;  msbs: dst=0 src0=0 src1=1 src2=0
	v_cmpx_gt_i64_e64 s[4:5], v[10:11] /*v[266:267]*/
	s_set_vgpr_msb 0                        ;  msbs: dst=0 src0=0 src1=0 src2=0
	s_cbranch_execz .LBB28_150
; %bb.149:                              ;   in Loop: Header=BB28_145 Depth=1
	s_set_vgpr_msb 64                       ;  msbs: dst=1 src0=0 src1=0 src2=0
	v_add_nc_u64_e32 v[18:19] /*v[274:275]*/, v[134:135], v[6:7]
	v_add_nc_u64_e32 v[20:21] /*v[276:277]*/, v[136:137], v[6:7]
	s_set_vgpr_msb 0x41                     ;  msbs: dst=1 src0=1 src1=0 src2=0
	global_load_b64 v[16:17] /*v[272:273]*/, v[18:19] /*v[274:275]*/, off
	global_load_b64 v[8:9] /*v[264:265]*/, v[20:21] /*v[276:277]*/, off
.LBB28_150:                             ;   in Loop: Header=BB28_145 Depth=1
	s_wait_xcnt 0x0
	s_or_b32 exec_lo, exec_lo, s2
	s_set_vgpr_msb 0x44                     ;  msbs: dst=1 src0=0 src1=1 src2=0
	v_add_nc_u64_e32 v[18:19] /*v[274:275]*/, 1, v[10:11] /*v[266:267]*/
	v_mov_b64_e32 v[20:21] /*v[276:277]*/, 0
	v_mov_b64_e32 v[24:25] /*v[280:281]*/, 0
	;; [unrolled: 1-line block ×3, first 2 shown]
	s_mov_b32 s2, exec_lo
	s_delay_alu instid0(VALU_DEP_4)
	v_cmpx_gt_i64_e64 s[4:5], v[18:19] /*v[274:275]*/
	s_set_vgpr_msb 0                        ;  msbs: dst=0 src0=0 src1=0 src2=0
	s_cbranch_execz .LBB28_152
; %bb.151:                              ;   in Loop: Header=BB28_145 Depth=1
	s_set_vgpr_msb 0x41                     ;  msbs: dst=1 src0=1 src1=0 src2=0
	v_add_nc_u64_e32 v[18:19] /*v[274:275]*/, v[2:3] /*v[258:259]*/, v[6:7]
	v_add_nc_u64_e32 v[22:23] /*v[278:279]*/, v[4:5] /*v[260:261]*/, v[6:7]
	global_load_b64 v[24:25] /*v[280:281]*/, v[18:19] /*v[274:275]*/, off
	global_load_b64 v[40:41] /*v[296:297]*/, v[22:23] /*v[278:279]*/, off
.LBB28_152:                             ;   in Loop: Header=BB28_145 Depth=1
	s_wait_xcnt 0x0
	s_or_b32 exec_lo, exec_lo, s2
	s_set_vgpr_msb 0x44                     ;  msbs: dst=1 src0=0 src1=1 src2=0
	v_add_nc_u64_e32 v[18:19] /*v[274:275]*/, 2, v[10:11] /*v[266:267]*/
	v_mov_b64_e32 v[44:45] /*v[300:301]*/, 0
	s_mov_b32 s2, exec_lo
	s_delay_alu instid0(VALU_DEP_2)
	v_cmpx_gt_i64_e64 s[4:5], v[18:19] /*v[274:275]*/
	s_set_vgpr_msb 0                        ;  msbs: dst=0 src0=0 src1=0 src2=0
	s_cbranch_execz .LBB28_154
; %bb.153:                              ;   in Loop: Header=BB28_145 Depth=1
	s_set_vgpr_msb 64                       ;  msbs: dst=1 src0=0 src1=0 src2=0
	v_add_nc_u64_e32 v[18:19] /*v[274:275]*/, v[254:255], v[6:7]
	s_set_vgpr_msb 0x41                     ;  msbs: dst=1 src0=1 src1=0 src2=0
	v_add_nc_u64_e32 v[22:23] /*v[278:279]*/, v[0:1] /*v[256:257]*/, v[6:7]
	global_load_b64 v[20:21] /*v[276:277]*/, v[18:19] /*v[274:275]*/, off
	global_load_b64 v[44:45] /*v[300:301]*/, v[22:23] /*v[278:279]*/, off
.LBB28_154:                             ;   in Loop: Header=BB28_145 Depth=1
	s_wait_xcnt 0x0
	s_or_b32 exec_lo, exec_lo, s2
	s_set_vgpr_msb 0x44                     ;  msbs: dst=1 src0=0 src1=1 src2=0
	v_add_nc_u64_e32 v[18:19] /*v[274:275]*/, 3, v[10:11] /*v[266:267]*/
	v_mov_b64_e32 v[22:23] /*v[278:279]*/, 0
	v_mov_b64_e32 v[28:29] /*v[284:285]*/, 0
	v_mov_b64_e32 v[50:51] /*v[306:307]*/, 0
	s_mov_b32 s2, exec_lo
	s_delay_alu instid0(VALU_DEP_4)
	v_cmpx_gt_i64_e64 s[4:5], v[18:19] /*v[274:275]*/
	s_set_vgpr_msb 0                        ;  msbs: dst=0 src0=0 src1=0 src2=0
	s_cbranch_execz .LBB28_156
; %bb.155:                              ;   in Loop: Header=BB28_145 Depth=1
	s_set_vgpr_msb 64                       ;  msbs: dst=1 src0=0 src1=0 src2=0
	v_add_nc_u64_e32 v[18:19] /*v[274:275]*/, v[250:251], v[6:7]
	v_add_nc_u64_e32 v[26:27] /*v[282:283]*/, v[252:253], v[6:7]
	s_set_vgpr_msb 0x41                     ;  msbs: dst=1 src0=1 src1=0 src2=0
	global_load_b64 v[28:29] /*v[284:285]*/, v[18:19] /*v[274:275]*/, off
	global_load_b64 v[50:51] /*v[306:307]*/, v[26:27] /*v[282:283]*/, off
.LBB28_156:                             ;   in Loop: Header=BB28_145 Depth=1
	s_wait_xcnt 0x0
	s_or_b32 exec_lo, exec_lo, s2
	s_set_vgpr_msb 0x44                     ;  msbs: dst=1 src0=0 src1=1 src2=0
	v_add_nc_u64_e32 v[18:19] /*v[274:275]*/, 4, v[10:11] /*v[266:267]*/
	v_mov_b64_e32 v[52:53] /*v[308:309]*/, 0
	s_mov_b32 s2, exec_lo
	s_delay_alu instid0(VALU_DEP_2)
	v_cmpx_gt_i64_e64 s[4:5], v[18:19] /*v[274:275]*/
	s_set_vgpr_msb 0                        ;  msbs: dst=0 src0=0 src1=0 src2=0
	s_cbranch_execz .LBB28_158
; %bb.157:                              ;   in Loop: Header=BB28_145 Depth=1
	s_set_vgpr_msb 64                       ;  msbs: dst=1 src0=0 src1=0 src2=0
	v_add_nc_u64_e32 v[18:19] /*v[274:275]*/, v[246:247], v[6:7]
	v_add_nc_u64_e32 v[26:27] /*v[282:283]*/, v[248:249], v[6:7]
	s_set_vgpr_msb 0x41                     ;  msbs: dst=1 src0=1 src1=0 src2=0
	global_load_b64 v[22:23] /*v[278:279]*/, v[18:19] /*v[274:275]*/, off
	global_load_b64 v[52:53] /*v[308:309]*/, v[26:27] /*v[282:283]*/, off
.LBB28_158:                             ;   in Loop: Header=BB28_145 Depth=1
	s_wait_xcnt 0x0
	s_or_b32 exec_lo, exec_lo, s2
	s_set_vgpr_msb 0x44                     ;  msbs: dst=1 src0=0 src1=1 src2=0
	v_add_nc_u64_e32 v[18:19] /*v[274:275]*/, 5, v[10:11] /*v[266:267]*/
	v_mov_b64_e32 v[26:27] /*v[282:283]*/, 0
	v_mov_b64_e32 v[34:35] /*v[290:291]*/, 0
	v_mov_b64_e32 v[58:59] /*v[314:315]*/, 0
	s_mov_b32 s2, exec_lo
	s_delay_alu instid0(VALU_DEP_4)
	v_cmpx_gt_i64_e64 s[4:5], v[18:19] /*v[274:275]*/
	s_set_vgpr_msb 0                        ;  msbs: dst=0 src0=0 src1=0 src2=0
	s_cbranch_execz .LBB28_160
; %bb.159:                              ;   in Loop: Header=BB28_145 Depth=1
	s_set_vgpr_msb 64                       ;  msbs: dst=1 src0=0 src1=0 src2=0
	v_add_nc_u64_e32 v[18:19] /*v[274:275]*/, v[242:243], v[6:7]
	v_add_nc_u64_e32 v[30:31] /*v[286:287]*/, v[244:245], v[6:7]
	s_set_vgpr_msb 0x41                     ;  msbs: dst=1 src0=1 src1=0 src2=0
	global_load_b64 v[34:35] /*v[290:291]*/, v[18:19] /*v[274:275]*/, off
	global_load_b64 v[58:59] /*v[314:315]*/, v[30:31] /*v[286:287]*/, off
.LBB28_160:                             ;   in Loop: Header=BB28_145 Depth=1
	s_wait_xcnt 0x0
	s_or_b32 exec_lo, exec_lo, s2
	s_set_vgpr_msb 0x44                     ;  msbs: dst=1 src0=0 src1=1 src2=0
	v_add_nc_u64_e32 v[18:19] /*v[274:275]*/, 6, v[10:11] /*v[266:267]*/
	v_mov_b64_e32 v[60:61] /*v[316:317]*/, 0
	s_mov_b32 s2, exec_lo
	s_delay_alu instid0(VALU_DEP_2)
	v_cmpx_gt_i64_e64 s[4:5], v[18:19] /*v[274:275]*/
	s_set_vgpr_msb 0                        ;  msbs: dst=0 src0=0 src1=0 src2=0
	s_cbranch_execz .LBB28_162
; %bb.161:                              ;   in Loop: Header=BB28_145 Depth=1
	s_set_vgpr_msb 64                       ;  msbs: dst=1 src0=0 src1=0 src2=0
	v_add_nc_u64_e32 v[18:19] /*v[274:275]*/, v[238:239], v[6:7]
	v_add_nc_u64_e32 v[30:31] /*v[286:287]*/, v[240:241], v[6:7]
	s_set_vgpr_msb 0x41                     ;  msbs: dst=1 src0=1 src1=0 src2=0
	global_load_b64 v[26:27] /*v[282:283]*/, v[18:19] /*v[274:275]*/, off
	global_load_b64 v[60:61] /*v[316:317]*/, v[30:31] /*v[286:287]*/, off
.LBB28_162:                             ;   in Loop: Header=BB28_145 Depth=1
	s_wait_xcnt 0x0
	s_or_b32 exec_lo, exec_lo, s2
	s_set_vgpr_msb 0x44                     ;  msbs: dst=1 src0=0 src1=1 src2=0
	v_add_nc_u64_e32 v[18:19] /*v[274:275]*/, 7, v[10:11] /*v[266:267]*/
	v_mov_b64_e32 v[32:33] /*v[288:289]*/, 0
	v_mov_b64_e32 v[38:39] /*v[294:295]*/, 0
	v_mov_b64_e32 v[66:67] /*v[322:323]*/, 0
	s_mov_b32 s2, exec_lo
	s_delay_alu instid0(VALU_DEP_4)
	v_cmpx_gt_i64_e64 s[4:5], v[18:19] /*v[274:275]*/
	s_set_vgpr_msb 0                        ;  msbs: dst=0 src0=0 src1=0 src2=0
	s_cbranch_execz .LBB28_164
; %bb.163:                              ;   in Loop: Header=BB28_145 Depth=1
	s_set_vgpr_msb 64                       ;  msbs: dst=1 src0=0 src1=0 src2=0
	v_add_nc_u64_e32 v[18:19] /*v[274:275]*/, v[234:235], v[6:7]
	v_add_nc_u64_e32 v[30:31] /*v[286:287]*/, v[236:237], v[6:7]
	s_set_vgpr_msb 0x41                     ;  msbs: dst=1 src0=1 src1=0 src2=0
	global_load_b64 v[38:39] /*v[294:295]*/, v[18:19] /*v[274:275]*/, off
	global_load_b64 v[66:67] /*v[322:323]*/, v[30:31] /*v[286:287]*/, off
.LBB28_164:                             ;   in Loop: Header=BB28_145 Depth=1
	s_wait_xcnt 0x0
	s_or_b32 exec_lo, exec_lo, s2
	s_set_vgpr_msb 0x44                     ;  msbs: dst=1 src0=0 src1=1 src2=0
	v_add_nc_u64_e32 v[18:19] /*v[274:275]*/, 8, v[10:11] /*v[266:267]*/
	v_mov_b64_e32 v[68:69] /*v[324:325]*/, 0
	s_mov_b32 s2, exec_lo
	s_delay_alu instid0(VALU_DEP_2)
	v_cmpx_gt_i64_e64 s[4:5], v[18:19] /*v[274:275]*/
	s_set_vgpr_msb 0                        ;  msbs: dst=0 src0=0 src1=0 src2=0
	s_cbranch_execz .LBB28_166
; %bb.165:                              ;   in Loop: Header=BB28_145 Depth=1
	s_set_vgpr_msb 64                       ;  msbs: dst=1 src0=0 src1=0 src2=0
	v_add_nc_u64_e32 v[18:19] /*v[274:275]*/, v[230:231], v[6:7]
	v_add_nc_u64_e32 v[30:31] /*v[286:287]*/, v[232:233], v[6:7]
	s_set_vgpr_msb 0x41                     ;  msbs: dst=1 src0=1 src1=0 src2=0
	global_load_b64 v[32:33] /*v[288:289]*/, v[18:19] /*v[274:275]*/, off
	global_load_b64 v[68:69] /*v[324:325]*/, v[30:31] /*v[286:287]*/, off
.LBB28_166:                             ;   in Loop: Header=BB28_145 Depth=1
	s_wait_xcnt 0x0
	s_or_b32 exec_lo, exec_lo, s2
	s_set_vgpr_msb 0x44                     ;  msbs: dst=1 src0=0 src1=1 src2=0
	v_add_nc_u64_e32 v[18:19] /*v[274:275]*/, 9, v[10:11] /*v[266:267]*/
	v_mov_b64_e32 v[36:37] /*v[292:293]*/, 0
	v_mov_b64_e32 v[46:47] /*v[302:303]*/, 0
	v_mov_b64_e32 v[74:75] /*v[330:331]*/, 0
	s_mov_b32 s2, exec_lo
	s_delay_alu instid0(VALU_DEP_4)
	v_cmpx_gt_i64_e64 s[4:5], v[18:19] /*v[274:275]*/
	s_set_vgpr_msb 0                        ;  msbs: dst=0 src0=0 src1=0 src2=0
	s_cbranch_execz .LBB28_168
; %bb.167:                              ;   in Loop: Header=BB28_145 Depth=1
	s_set_vgpr_msb 64                       ;  msbs: dst=1 src0=0 src1=0 src2=0
	v_add_nc_u64_e32 v[18:19] /*v[274:275]*/, v[226:227], v[6:7]
	v_add_nc_u64_e32 v[30:31] /*v[286:287]*/, v[228:229], v[6:7]
	s_set_vgpr_msb 0x41                     ;  msbs: dst=1 src0=1 src1=0 src2=0
	global_load_b64 v[46:47] /*v[302:303]*/, v[18:19] /*v[274:275]*/, off
	global_load_b64 v[74:75] /*v[330:331]*/, v[30:31] /*v[286:287]*/, off
.LBB28_168:                             ;   in Loop: Header=BB28_145 Depth=1
	s_wait_xcnt 0x0
	s_or_b32 exec_lo, exec_lo, s2
	s_set_vgpr_msb 0x44                     ;  msbs: dst=1 src0=0 src1=1 src2=0
	v_add_nc_u64_e32 v[18:19] /*v[274:275]*/, 10, v[10:11] /*v[266:267]*/
	v_mov_b64_e32 v[76:77] /*v[332:333]*/, 0
	s_mov_b32 s2, exec_lo
	s_delay_alu instid0(VALU_DEP_2)
	v_cmpx_gt_i64_e64 s[4:5], v[18:19] /*v[274:275]*/
	s_set_vgpr_msb 0                        ;  msbs: dst=0 src0=0 src1=0 src2=0
	s_cbranch_execz .LBB28_170
; %bb.169:                              ;   in Loop: Header=BB28_145 Depth=1
	s_set_vgpr_msb 64                       ;  msbs: dst=1 src0=0 src1=0 src2=0
	v_add_nc_u64_e32 v[18:19] /*v[274:275]*/, v[222:223], v[6:7]
	v_add_nc_u64_e32 v[30:31] /*v[286:287]*/, v[224:225], v[6:7]
	s_set_vgpr_msb 0x41                     ;  msbs: dst=1 src0=1 src1=0 src2=0
	global_load_b64 v[36:37] /*v[292:293]*/, v[18:19] /*v[274:275]*/, off
	global_load_b64 v[76:77] /*v[332:333]*/, v[30:31] /*v[286:287]*/, off
.LBB28_170:                             ;   in Loop: Header=BB28_145 Depth=1
	s_wait_xcnt 0x0
	s_or_b32 exec_lo, exec_lo, s2
	s_set_vgpr_msb 0x44                     ;  msbs: dst=1 src0=0 src1=1 src2=0
	v_add_nc_u64_e32 v[18:19] /*v[274:275]*/, 11, v[10:11] /*v[266:267]*/
	v_mov_b64_e32 v[42:43] /*v[298:299]*/, 0
	v_mov_b64_e32 v[54:55] /*v[310:311]*/, 0
	v_mov_b64_e32 v[82:83] /*v[338:339]*/, 0
	s_mov_b32 s2, exec_lo
	s_delay_alu instid0(VALU_DEP_4)
	v_cmpx_gt_i64_e64 s[4:5], v[18:19] /*v[274:275]*/
	s_set_vgpr_msb 0                        ;  msbs: dst=0 src0=0 src1=0 src2=0
	s_cbranch_execz .LBB28_172
; %bb.171:                              ;   in Loop: Header=BB28_145 Depth=1
	s_set_vgpr_msb 64                       ;  msbs: dst=1 src0=0 src1=0 src2=0
	v_add_nc_u64_e32 v[18:19] /*v[274:275]*/, v[218:219], v[6:7]
	v_add_nc_u64_e32 v[30:31] /*v[286:287]*/, v[220:221], v[6:7]
	s_set_vgpr_msb 0x41                     ;  msbs: dst=1 src0=1 src1=0 src2=0
	global_load_b64 v[54:55] /*v[310:311]*/, v[18:19] /*v[274:275]*/, off
	global_load_b64 v[82:83] /*v[338:339]*/, v[30:31] /*v[286:287]*/, off
.LBB28_172:                             ;   in Loop: Header=BB28_145 Depth=1
	s_wait_xcnt 0x0
	s_or_b32 exec_lo, exec_lo, s2
	s_set_vgpr_msb 0x44                     ;  msbs: dst=1 src0=0 src1=1 src2=0
	v_add_nc_u64_e32 v[18:19] /*v[274:275]*/, 12, v[10:11] /*v[266:267]*/
	v_mov_b64_e32 v[84:85] /*v[340:341]*/, 0
	s_mov_b32 s2, exec_lo
	s_delay_alu instid0(VALU_DEP_2)
	v_cmpx_gt_i64_e64 s[4:5], v[18:19] /*v[274:275]*/
	s_set_vgpr_msb 0                        ;  msbs: dst=0 src0=0 src1=0 src2=0
	s_cbranch_execz .LBB28_174
; %bb.173:                              ;   in Loop: Header=BB28_145 Depth=1
	s_set_vgpr_msb 64                       ;  msbs: dst=1 src0=0 src1=0 src2=0
	v_add_nc_u64_e32 v[18:19] /*v[274:275]*/, v[214:215], v[6:7]
	v_add_nc_u64_e32 v[30:31] /*v[286:287]*/, v[216:217], v[6:7]
	s_set_vgpr_msb 0x41                     ;  msbs: dst=1 src0=1 src1=0 src2=0
	global_load_b64 v[42:43] /*v[298:299]*/, v[18:19] /*v[274:275]*/, off
	global_load_b64 v[84:85] /*v[340:341]*/, v[30:31] /*v[286:287]*/, off
.LBB28_174:                             ;   in Loop: Header=BB28_145 Depth=1
	s_wait_xcnt 0x0
	s_or_b32 exec_lo, exec_lo, s2
	s_set_vgpr_msb 0x44                     ;  msbs: dst=1 src0=0 src1=1 src2=0
	v_add_nc_u64_e32 v[18:19] /*v[274:275]*/, 13, v[10:11] /*v[266:267]*/
	v_mov_b64_e32 v[48:49] /*v[304:305]*/, 0
	v_mov_b64_e32 v[62:63] /*v[318:319]*/, 0
	v_mov_b64_e32 v[90:91] /*v[346:347]*/, 0
	s_mov_b32 s2, exec_lo
	s_delay_alu instid0(VALU_DEP_4)
	v_cmpx_gt_i64_e64 s[4:5], v[18:19] /*v[274:275]*/
	s_set_vgpr_msb 0                        ;  msbs: dst=0 src0=0 src1=0 src2=0
	s_cbranch_execz .LBB28_176
; %bb.175:                              ;   in Loop: Header=BB28_145 Depth=1
	s_set_vgpr_msb 64                       ;  msbs: dst=1 src0=0 src1=0 src2=0
	v_add_nc_u64_e32 v[18:19] /*v[274:275]*/, v[210:211], v[6:7]
	v_add_nc_u64_e32 v[30:31] /*v[286:287]*/, v[212:213], v[6:7]
	s_set_vgpr_msb 0x41                     ;  msbs: dst=1 src0=1 src1=0 src2=0
	global_load_b64 v[62:63] /*v[318:319]*/, v[18:19] /*v[274:275]*/, off
	global_load_b64 v[90:91] /*v[346:347]*/, v[30:31] /*v[286:287]*/, off
.LBB28_176:                             ;   in Loop: Header=BB28_145 Depth=1
	s_wait_xcnt 0x0
	s_or_b32 exec_lo, exec_lo, s2
	s_set_vgpr_msb 0x44                     ;  msbs: dst=1 src0=0 src1=1 src2=0
	v_add_nc_u64_e32 v[18:19] /*v[274:275]*/, 14, v[10:11] /*v[266:267]*/
	v_mov_b64_e32 v[92:93] /*v[348:349]*/, 0
	s_mov_b32 s2, exec_lo
	s_delay_alu instid0(VALU_DEP_2)
	v_cmpx_gt_i64_e64 s[4:5], v[18:19] /*v[274:275]*/
	s_set_vgpr_msb 0                        ;  msbs: dst=0 src0=0 src1=0 src2=0
	s_cbranch_execz .LBB28_178
; %bb.177:                              ;   in Loop: Header=BB28_145 Depth=1
	s_set_vgpr_msb 64                       ;  msbs: dst=1 src0=0 src1=0 src2=0
	v_add_nc_u64_e32 v[18:19] /*v[274:275]*/, v[206:207], v[6:7]
	v_add_nc_u64_e32 v[30:31] /*v[286:287]*/, v[208:209], v[6:7]
	s_set_vgpr_msb 0x41                     ;  msbs: dst=1 src0=1 src1=0 src2=0
	global_load_b64 v[48:49] /*v[304:305]*/, v[18:19] /*v[274:275]*/, off
	global_load_b64 v[92:93] /*v[348:349]*/, v[30:31] /*v[286:287]*/, off
.LBB28_178:                             ;   in Loop: Header=BB28_145 Depth=1
	s_wait_xcnt 0x0
	s_or_b32 exec_lo, exec_lo, s2
	s_set_vgpr_msb 0x44                     ;  msbs: dst=1 src0=0 src1=1 src2=0
	v_add_nc_u64_e32 v[18:19] /*v[274:275]*/, 15, v[10:11] /*v[266:267]*/
	v_mov_b64_e32 v[56:57] /*v[312:313]*/, 0
	v_mov_b64_e32 v[70:71] /*v[326:327]*/, 0
	v_mov_b64_e32 v[98:99] /*v[354:355]*/, 0
	s_mov_b32 s2, exec_lo
	s_delay_alu instid0(VALU_DEP_4)
	v_cmpx_gt_i64_e64 s[4:5], v[18:19] /*v[274:275]*/
	s_set_vgpr_msb 0                        ;  msbs: dst=0 src0=0 src1=0 src2=0
	s_cbranch_execz .LBB28_180
; %bb.179:                              ;   in Loop: Header=BB28_145 Depth=1
	s_set_vgpr_msb 64                       ;  msbs: dst=1 src0=0 src1=0 src2=0
	v_add_nc_u64_e32 v[18:19] /*v[274:275]*/, v[202:203], v[6:7]
	v_add_nc_u64_e32 v[30:31] /*v[286:287]*/, v[204:205], v[6:7]
	s_set_vgpr_msb 0x41                     ;  msbs: dst=1 src0=1 src1=0 src2=0
	global_load_b64 v[70:71] /*v[326:327]*/, v[18:19] /*v[274:275]*/, off
	global_load_b64 v[98:99] /*v[354:355]*/, v[30:31] /*v[286:287]*/, off
.LBB28_180:                             ;   in Loop: Header=BB28_145 Depth=1
	s_wait_xcnt 0x0
	s_or_b32 exec_lo, exec_lo, s2
	s_set_vgpr_msb 0x44                     ;  msbs: dst=1 src0=0 src1=1 src2=0
	v_add_nc_u64_e32 v[18:19] /*v[274:275]*/, 16, v[10:11] /*v[266:267]*/
	v_mov_b64_e32 v[100:101] /*v[356:357]*/, 0
	s_mov_b32 s2, exec_lo
	s_delay_alu instid0(VALU_DEP_2)
	v_cmpx_gt_i64_e64 s[4:5], v[18:19] /*v[274:275]*/
	s_set_vgpr_msb 0                        ;  msbs: dst=0 src0=0 src1=0 src2=0
	s_cbranch_execz .LBB28_182
; %bb.181:                              ;   in Loop: Header=BB28_145 Depth=1
	s_set_vgpr_msb 64                       ;  msbs: dst=1 src0=0 src1=0 src2=0
	v_add_nc_u64_e32 v[18:19] /*v[274:275]*/, v[198:199], v[6:7]
	v_add_nc_u64_e32 v[30:31] /*v[286:287]*/, v[200:201], v[6:7]
	s_set_vgpr_msb 0x41                     ;  msbs: dst=1 src0=1 src1=0 src2=0
	global_load_b64 v[56:57] /*v[312:313]*/, v[18:19] /*v[274:275]*/, off
	global_load_b64 v[100:101] /*v[356:357]*/, v[30:31] /*v[286:287]*/, off
.LBB28_182:                             ;   in Loop: Header=BB28_145 Depth=1
	s_wait_xcnt 0x0
	s_or_b32 exec_lo, exec_lo, s2
	s_set_vgpr_msb 0x44                     ;  msbs: dst=1 src0=0 src1=1 src2=0
	v_add_nc_u64_e32 v[18:19] /*v[274:275]*/, 17, v[10:11] /*v[266:267]*/
	v_mov_b64_e32 v[64:65] /*v[320:321]*/, 0
	v_mov_b64_e32 v[78:79] /*v[334:335]*/, 0
	v_mov_b64_e32 v[106:107] /*v[362:363]*/, 0
	s_mov_b32 s2, exec_lo
	s_delay_alu instid0(VALU_DEP_4)
	v_cmpx_gt_i64_e64 s[4:5], v[18:19] /*v[274:275]*/
	s_set_vgpr_msb 0                        ;  msbs: dst=0 src0=0 src1=0 src2=0
	s_cbranch_execz .LBB28_184
; %bb.183:                              ;   in Loop: Header=BB28_145 Depth=1
	s_set_vgpr_msb 64                       ;  msbs: dst=1 src0=0 src1=0 src2=0
	v_add_nc_u64_e32 v[18:19] /*v[274:275]*/, v[194:195], v[6:7]
	v_add_nc_u64_e32 v[30:31] /*v[286:287]*/, v[196:197], v[6:7]
	s_set_vgpr_msb 0x41                     ;  msbs: dst=1 src0=1 src1=0 src2=0
	global_load_b64 v[78:79] /*v[334:335]*/, v[18:19] /*v[274:275]*/, off
	global_load_b64 v[106:107] /*v[362:363]*/, v[30:31] /*v[286:287]*/, off
.LBB28_184:                             ;   in Loop: Header=BB28_145 Depth=1
	s_wait_xcnt 0x0
	s_or_b32 exec_lo, exec_lo, s2
	s_set_vgpr_msb 0x44                     ;  msbs: dst=1 src0=0 src1=1 src2=0
	v_add_nc_u64_e32 v[18:19] /*v[274:275]*/, 18, v[10:11] /*v[266:267]*/
	v_mov_b64_e32 v[108:109] /*v[364:365]*/, 0
	s_mov_b32 s2, exec_lo
	s_delay_alu instid0(VALU_DEP_2)
	v_cmpx_gt_i64_e64 s[4:5], v[18:19] /*v[274:275]*/
	s_set_vgpr_msb 0                        ;  msbs: dst=0 src0=0 src1=0 src2=0
	s_cbranch_execz .LBB28_186
; %bb.185:                              ;   in Loop: Header=BB28_145 Depth=1
	s_set_vgpr_msb 64                       ;  msbs: dst=1 src0=0 src1=0 src2=0
	v_add_nc_u64_e32 v[18:19] /*v[274:275]*/, v[190:191], v[6:7]
	v_add_nc_u64_e32 v[30:31] /*v[286:287]*/, v[192:193], v[6:7]
	s_set_vgpr_msb 0x41                     ;  msbs: dst=1 src0=1 src1=0 src2=0
	global_load_b64 v[64:65] /*v[320:321]*/, v[18:19] /*v[274:275]*/, off
	global_load_b64 v[108:109] /*v[364:365]*/, v[30:31] /*v[286:287]*/, off
.LBB28_186:                             ;   in Loop: Header=BB28_145 Depth=1
	s_wait_xcnt 0x0
	s_or_b32 exec_lo, exec_lo, s2
	s_set_vgpr_msb 0x44                     ;  msbs: dst=1 src0=0 src1=1 src2=0
	v_add_nc_u64_e32 v[18:19] /*v[274:275]*/, 19, v[10:11] /*v[266:267]*/
	v_mov_b64_e32 v[72:73] /*v[328:329]*/, 0
	v_mov_b64_e32 v[86:87] /*v[342:343]*/, 0
	v_mov_b64_e32 v[112:113] /*v[368:369]*/, 0
	s_mov_b32 s2, exec_lo
	s_delay_alu instid0(VALU_DEP_4)
	v_cmpx_gt_i64_e64 s[4:5], v[18:19] /*v[274:275]*/
	s_set_vgpr_msb 0                        ;  msbs: dst=0 src0=0 src1=0 src2=0
	s_cbranch_execz .LBB28_188
; %bb.187:                              ;   in Loop: Header=BB28_145 Depth=1
	s_set_vgpr_msb 64                       ;  msbs: dst=1 src0=0 src1=0 src2=0
	v_add_nc_u64_e32 v[18:19] /*v[274:275]*/, v[186:187], v[6:7]
	v_add_nc_u64_e32 v[30:31] /*v[286:287]*/, v[188:189], v[6:7]
	s_set_vgpr_msb 0x41                     ;  msbs: dst=1 src0=1 src1=0 src2=0
	global_load_b64 v[86:87] /*v[342:343]*/, v[18:19] /*v[274:275]*/, off
	global_load_b64 v[112:113] /*v[368:369]*/, v[30:31] /*v[286:287]*/, off
.LBB28_188:                             ;   in Loop: Header=BB28_145 Depth=1
	s_wait_xcnt 0x0
	s_or_b32 exec_lo, exec_lo, s2
	s_set_vgpr_msb 0x44                     ;  msbs: dst=1 src0=0 src1=1 src2=0
	v_add_nc_u64_e32 v[18:19] /*v[274:275]*/, 20, v[10:11] /*v[266:267]*/
	v_mov_b64_e32 v[114:115] /*v[370:371]*/, 0
	s_mov_b32 s2, exec_lo
	s_delay_alu instid0(VALU_DEP_2)
	v_cmpx_gt_i64_e64 s[4:5], v[18:19] /*v[274:275]*/
	s_set_vgpr_msb 0                        ;  msbs: dst=0 src0=0 src1=0 src2=0
	s_cbranch_execz .LBB28_190
; %bb.189:                              ;   in Loop: Header=BB28_145 Depth=1
	s_set_vgpr_msb 64                       ;  msbs: dst=1 src0=0 src1=0 src2=0
	v_add_nc_u64_e32 v[18:19] /*v[274:275]*/, v[182:183], v[6:7]
	v_add_nc_u64_e32 v[30:31] /*v[286:287]*/, v[184:185], v[6:7]
	s_set_vgpr_msb 0x41                     ;  msbs: dst=1 src0=1 src1=0 src2=0
	global_load_b64 v[72:73] /*v[328:329]*/, v[18:19] /*v[274:275]*/, off
	global_load_b64 v[114:115] /*v[370:371]*/, v[30:31] /*v[286:287]*/, off
.LBB28_190:                             ;   in Loop: Header=BB28_145 Depth=1
	s_wait_xcnt 0x0
	s_or_b32 exec_lo, exec_lo, s2
	s_set_vgpr_msb 0x44                     ;  msbs: dst=1 src0=0 src1=1 src2=0
	v_add_nc_u64_e32 v[18:19] /*v[274:275]*/, 21, v[10:11] /*v[266:267]*/
	v_mov_b64_e32 v[80:81] /*v[336:337]*/, 0
	v_mov_b64_e32 v[94:95] /*v[350:351]*/, 0
	v_mov_b64_e32 v[118:119] /*v[374:375]*/, 0
	s_mov_b32 s2, exec_lo
	s_delay_alu instid0(VALU_DEP_4)
	v_cmpx_gt_i64_e64 s[4:5], v[18:19] /*v[274:275]*/
	s_set_vgpr_msb 0                        ;  msbs: dst=0 src0=0 src1=0 src2=0
	s_cbranch_execz .LBB28_192
; %bb.191:                              ;   in Loop: Header=BB28_145 Depth=1
	s_set_vgpr_msb 64                       ;  msbs: dst=1 src0=0 src1=0 src2=0
	v_add_nc_u64_e32 v[18:19] /*v[274:275]*/, v[178:179], v[6:7]
	v_add_nc_u64_e32 v[30:31] /*v[286:287]*/, v[180:181], v[6:7]
	s_set_vgpr_msb 0x41                     ;  msbs: dst=1 src0=1 src1=0 src2=0
	global_load_b64 v[94:95] /*v[350:351]*/, v[18:19] /*v[274:275]*/, off
	global_load_b64 v[118:119] /*v[374:375]*/, v[30:31] /*v[286:287]*/, off
.LBB28_192:                             ;   in Loop: Header=BB28_145 Depth=1
	s_wait_xcnt 0x0
	s_or_b32 exec_lo, exec_lo, s2
	s_set_vgpr_msb 0x44                     ;  msbs: dst=1 src0=0 src1=1 src2=0
	v_add_nc_u64_e32 v[18:19] /*v[274:275]*/, 22, v[10:11] /*v[266:267]*/
	v_mov_b64_e32 v[120:121] /*v[376:377]*/, 0
	s_mov_b32 s2, exec_lo
	s_delay_alu instid0(VALU_DEP_2)
	v_cmpx_gt_i64_e64 s[4:5], v[18:19] /*v[274:275]*/
	s_set_vgpr_msb 0                        ;  msbs: dst=0 src0=0 src1=0 src2=0
	s_cbranch_execz .LBB28_194
; %bb.193:                              ;   in Loop: Header=BB28_145 Depth=1
	s_set_vgpr_msb 64                       ;  msbs: dst=1 src0=0 src1=0 src2=0
	v_add_nc_u64_e32 v[18:19] /*v[274:275]*/, v[174:175], v[6:7]
	v_add_nc_u64_e32 v[30:31] /*v[286:287]*/, v[176:177], v[6:7]
	s_set_vgpr_msb 0x41                     ;  msbs: dst=1 src0=1 src1=0 src2=0
	global_load_b64 v[80:81] /*v[336:337]*/, v[18:19] /*v[274:275]*/, off
	global_load_b64 v[120:121] /*v[376:377]*/, v[30:31] /*v[286:287]*/, off
.LBB28_194:                             ;   in Loop: Header=BB28_145 Depth=1
	s_wait_xcnt 0x0
	s_or_b32 exec_lo, exec_lo, s2
	s_set_vgpr_msb 0x44                     ;  msbs: dst=1 src0=0 src1=1 src2=0
	v_add_nc_u64_e32 v[18:19] /*v[274:275]*/, 23, v[10:11] /*v[266:267]*/
	v_mov_b64_e32 v[88:89] /*v[344:345]*/, 0
	v_mov_b64_e32 v[102:103] /*v[358:359]*/, 0
	v_mov_b64_e32 v[122:123] /*v[378:379]*/, 0
	s_mov_b32 s2, exec_lo
	s_delay_alu instid0(VALU_DEP_4)
	v_cmpx_gt_i64_e64 s[4:5], v[18:19] /*v[274:275]*/
	s_set_vgpr_msb 0                        ;  msbs: dst=0 src0=0 src1=0 src2=0
	s_cbranch_execz .LBB28_196
; %bb.195:                              ;   in Loop: Header=BB28_145 Depth=1
	s_set_vgpr_msb 64                       ;  msbs: dst=1 src0=0 src1=0 src2=0
	v_add_nc_u64_e32 v[18:19] /*v[274:275]*/, v[170:171], v[6:7]
	v_add_nc_u64_e32 v[30:31] /*v[286:287]*/, v[172:173], v[6:7]
	s_set_vgpr_msb 0x41                     ;  msbs: dst=1 src0=1 src1=0 src2=0
	global_load_b64 v[102:103] /*v[358:359]*/, v[18:19] /*v[274:275]*/, off
	global_load_b64 v[122:123] /*v[378:379]*/, v[30:31] /*v[286:287]*/, off
.LBB28_196:                             ;   in Loop: Header=BB28_145 Depth=1
	s_wait_xcnt 0x0
	s_or_b32 exec_lo, exec_lo, s2
	s_set_vgpr_msb 0x44                     ;  msbs: dst=1 src0=0 src1=1 src2=0
	v_add_nc_u64_e32 v[18:19] /*v[274:275]*/, 24, v[10:11] /*v[266:267]*/
	v_mov_b64_e32 v[126:127] /*v[382:383]*/, 0
	s_mov_b32 s2, exec_lo
	s_delay_alu instid0(VALU_DEP_2)
	v_cmpx_gt_i64_e64 s[4:5], v[18:19] /*v[274:275]*/
	s_set_vgpr_msb 0                        ;  msbs: dst=0 src0=0 src1=0 src2=0
	s_cbranch_execz .LBB28_198
; %bb.197:                              ;   in Loop: Header=BB28_145 Depth=1
	s_set_vgpr_msb 64                       ;  msbs: dst=1 src0=0 src1=0 src2=0
	v_add_nc_u64_e32 v[18:19] /*v[274:275]*/, v[166:167], v[6:7]
	v_add_nc_u64_e32 v[30:31] /*v[286:287]*/, v[168:169], v[6:7]
	s_set_vgpr_msb 0x41                     ;  msbs: dst=1 src0=1 src1=0 src2=0
	global_load_b64 v[88:89] /*v[344:345]*/, v[18:19] /*v[274:275]*/, off
	global_load_b64 v[126:127] /*v[382:383]*/, v[30:31] /*v[286:287]*/, off
.LBB28_198:                             ;   in Loop: Header=BB28_145 Depth=1
	s_wait_xcnt 0x0
	s_or_b32 exec_lo, exec_lo, s2
	s_set_vgpr_msb 0x44                     ;  msbs: dst=1 src0=0 src1=1 src2=0
	v_add_nc_u64_e32 v[18:19] /*v[274:275]*/, 25, v[10:11] /*v[266:267]*/
	v_mov_b64_e32 v[96:97] /*v[352:353]*/, 0
	v_mov_b64_e32 v[110:111] /*v[366:367]*/, 0
	v_mov_b64_e32 v[130:131] /*v[386:387]*/, 0
	s_mov_b32 s2, exec_lo
	s_delay_alu instid0(VALU_DEP_4)
	v_cmpx_gt_i64_e64 s[4:5], v[18:19] /*v[274:275]*/
	s_set_vgpr_msb 0                        ;  msbs: dst=0 src0=0 src1=0 src2=0
	s_cbranch_execz .LBB28_200
; %bb.199:                              ;   in Loop: Header=BB28_145 Depth=1
	s_set_vgpr_msb 64                       ;  msbs: dst=1 src0=0 src1=0 src2=0
	v_add_nc_u64_e32 v[18:19] /*v[274:275]*/, v[162:163], v[6:7]
	v_add_nc_u64_e32 v[30:31] /*v[286:287]*/, v[164:165], v[6:7]
	s_set_vgpr_msb 0x41                     ;  msbs: dst=1 src0=1 src1=0 src2=0
	global_load_b64 v[110:111] /*v[366:367]*/, v[18:19] /*v[274:275]*/, off
	global_load_b64 v[130:131] /*v[386:387]*/, v[30:31] /*v[286:287]*/, off
.LBB28_200:                             ;   in Loop: Header=BB28_145 Depth=1
	s_wait_xcnt 0x0
	s_or_b32 exec_lo, exec_lo, s2
	s_set_vgpr_msb 0x44                     ;  msbs: dst=1 src0=0 src1=1 src2=0
	v_add_nc_u64_e32 v[18:19] /*v[274:275]*/, 26, v[10:11] /*v[266:267]*/
	v_mov_b64_e32 v[132:133] /*v[388:389]*/, 0
	s_mov_b32 s2, exec_lo
	s_delay_alu instid0(VALU_DEP_2)
	v_cmpx_gt_i64_e64 s[4:5], v[18:19] /*v[274:275]*/
	s_set_vgpr_msb 0                        ;  msbs: dst=0 src0=0 src1=0 src2=0
	s_cbranch_execz .LBB28_202
; %bb.201:                              ;   in Loop: Header=BB28_145 Depth=1
	s_set_vgpr_msb 64                       ;  msbs: dst=1 src0=0 src1=0 src2=0
	v_add_nc_u64_e32 v[18:19] /*v[274:275]*/, v[158:159], v[6:7]
	v_add_nc_u64_e32 v[30:31] /*v[286:287]*/, v[160:161], v[6:7]
	s_set_vgpr_msb 0x41                     ;  msbs: dst=1 src0=1 src1=0 src2=0
	global_load_b64 v[96:97] /*v[352:353]*/, v[18:19] /*v[274:275]*/, off
	global_load_b64 v[132:133] /*v[388:389]*/, v[30:31] /*v[286:287]*/, off
.LBB28_202:                             ;   in Loop: Header=BB28_145 Depth=1
	s_wait_xcnt 0x0
	s_or_b32 exec_lo, exec_lo, s2
	s_set_vgpr_msb 0x44                     ;  msbs: dst=1 src0=0 src1=1 src2=0
	v_add_nc_u64_e32 v[18:19] /*v[274:275]*/, 27, v[10:11] /*v[266:267]*/
	v_mov_b64_e32 v[104:105] /*v[360:361]*/, 0
	v_mov_b64_e32 v[116:117] /*v[372:373]*/, 0
	v_mov_b64_e32 v[134:135] /*v[390:391]*/, 0
	s_mov_b32 s2, exec_lo
	s_delay_alu instid0(VALU_DEP_4)
	v_cmpx_gt_i64_e64 s[4:5], v[18:19] /*v[274:275]*/
	s_set_vgpr_msb 0                        ;  msbs: dst=0 src0=0 src1=0 src2=0
	s_cbranch_execz .LBB28_204
; %bb.203:                              ;   in Loop: Header=BB28_145 Depth=1
	s_set_vgpr_msb 64                       ;  msbs: dst=1 src0=0 src1=0 src2=0
	v_add_nc_u64_e32 v[18:19] /*v[274:275]*/, v[154:155], v[6:7]
	v_add_nc_u64_e32 v[30:31] /*v[286:287]*/, v[156:157], v[6:7]
	s_set_vgpr_msb 0x41                     ;  msbs: dst=1 src0=1 src1=0 src2=0
	global_load_b64 v[116:117] /*v[372:373]*/, v[18:19] /*v[274:275]*/, off
	global_load_b64 v[134:135] /*v[390:391]*/, v[30:31] /*v[286:287]*/, off
.LBB28_204:                             ;   in Loop: Header=BB28_145 Depth=1
	s_wait_xcnt 0x0
	s_or_b32 exec_lo, exec_lo, s2
	s_set_vgpr_msb 0x44                     ;  msbs: dst=1 src0=0 src1=1 src2=0
	v_add_nc_u64_e32 v[18:19] /*v[274:275]*/, 28, v[10:11] /*v[266:267]*/
	v_mov_b64_e32 v[136:137] /*v[392:393]*/, 0
	s_mov_b32 s2, exec_lo
	s_delay_alu instid0(VALU_DEP_2)
	v_cmpx_gt_i64_e64 s[4:5], v[18:19] /*v[274:275]*/
	s_set_vgpr_msb 0                        ;  msbs: dst=0 src0=0 src1=0 src2=0
	s_cbranch_execz .LBB28_206
; %bb.205:                              ;   in Loop: Header=BB28_145 Depth=1
	s_set_vgpr_msb 64                       ;  msbs: dst=1 src0=0 src1=0 src2=0
	v_add_nc_u64_e32 v[18:19] /*v[274:275]*/, v[150:151], v[6:7]
	v_add_nc_u64_e32 v[30:31] /*v[286:287]*/, v[152:153], v[6:7]
	s_set_vgpr_msb 0x41                     ;  msbs: dst=1 src0=1 src1=0 src2=0
	global_load_b64 v[104:105] /*v[360:361]*/, v[18:19] /*v[274:275]*/, off
	global_load_b64 v[136:137] /*v[392:393]*/, v[30:31] /*v[286:287]*/, off
.LBB28_206:                             ;   in Loop: Header=BB28_145 Depth=1
	s_wait_xcnt 0x0
	s_or_b32 exec_lo, exec_lo, s2
	s_set_vgpr_msb 0x44                     ;  msbs: dst=1 src0=0 src1=1 src2=0
	v_add_nc_u64_e32 v[18:19] /*v[274:275]*/, 29, v[10:11] /*v[266:267]*/
	v_mov_b64_e32 v[124:125] /*v[380:381]*/, 0
	v_mov_b64_e32 v[128:129] /*v[384:385]*/, 0
	v_mov_b64_e32 v[138:139] /*v[394:395]*/, 0
	s_mov_b32 s2, exec_lo
	s_delay_alu instid0(VALU_DEP_4)
	v_cmpx_gt_i64_e64 s[4:5], v[18:19] /*v[274:275]*/
	s_set_vgpr_msb 0                        ;  msbs: dst=0 src0=0 src1=0 src2=0
	s_cbranch_execz .LBB28_208
; %bb.207:                              ;   in Loop: Header=BB28_145 Depth=1
	s_set_vgpr_msb 64                       ;  msbs: dst=1 src0=0 src1=0 src2=0
	v_add_nc_u64_e32 v[18:19] /*v[274:275]*/, v[146:147], v[6:7]
	v_add_nc_u64_e32 v[30:31] /*v[286:287]*/, v[148:149], v[6:7]
	s_set_vgpr_msb 0x41                     ;  msbs: dst=1 src0=1 src1=0 src2=0
	global_load_b64 v[128:129] /*v[384:385]*/, v[18:19] /*v[274:275]*/, off
	global_load_b64 v[138:139] /*v[394:395]*/, v[30:31] /*v[286:287]*/, off
.LBB28_208:                             ;   in Loop: Header=BB28_145 Depth=1
	s_wait_xcnt 0x0
	s_or_b32 exec_lo, exec_lo, s2
	s_set_vgpr_msb 0x44                     ;  msbs: dst=1 src0=0 src1=1 src2=0
	v_add_nc_u64_e32 v[18:19] /*v[274:275]*/, 30, v[10:11] /*v[266:267]*/
	v_mov_b64_e32 v[140:141] /*v[396:397]*/, 0
	s_mov_b32 s2, exec_lo
	s_delay_alu instid0(VALU_DEP_2)
	v_cmpx_gt_i64_e64 s[4:5], v[18:19] /*v[274:275]*/
	s_set_vgpr_msb 0                        ;  msbs: dst=0 src0=0 src1=0 src2=0
	s_cbranch_execz .LBB28_210
; %bb.209:                              ;   in Loop: Header=BB28_145 Depth=1
	s_set_vgpr_msb 64                       ;  msbs: dst=1 src0=0 src1=0 src2=0
	v_add_nc_u64_e32 v[18:19] /*v[274:275]*/, v[142:143], v[6:7]
	v_add_nc_u64_e32 v[30:31] /*v[286:287]*/, v[144:145], v[6:7]
	s_set_vgpr_msb 0x41                     ;  msbs: dst=1 src0=1 src1=0 src2=0
	global_load_b64 v[124:125] /*v[380:381]*/, v[18:19] /*v[274:275]*/, off
	global_load_b64 v[140:141] /*v[396:397]*/, v[30:31] /*v[286:287]*/, off
.LBB28_210:                             ;   in Loop: Header=BB28_145 Depth=1
	s_wait_xcnt 0x0
	s_or_b32 exec_lo, exec_lo, s2
	s_set_vgpr_msb 0x44                     ;  msbs: dst=1 src0=0 src1=1 src2=0
	v_add_nc_u64_e32 v[30:31] /*v[286:287]*/, 31, v[10:11] /*v[266:267]*/
	v_mov_b64_e32 v[18:19] /*v[274:275]*/, 0
	s_delay_alu instid0(VALU_DEP_2)
	v_cmp_gt_i64_e32 vcc_lo, s[4:5], v[30:31] /*v[286:287]*/
	v_mov_b64_e32 v[30:31] /*v[286:287]*/, 0
	s_and_saveexec_b32 s2, vcc_lo
	s_set_vgpr_msb 0                        ;  msbs: dst=0 src0=0 src1=0 src2=0
	s_cbranch_execz .LBB28_212
; %bb.211:                              ;   in Loop: Header=BB28_145 Depth=1
	s_set_vgpr_msb 64                       ;  msbs: dst=1 src0=0 src1=0 src2=0
	v_add_nc_u64_e32 v[144:145] /*v[400:401]*/, v[138:139], v[6:7]
	v_add_nc_u64_e32 v[146:147] /*v[402:403]*/, v[140:141], v[6:7]
	s_set_vgpr_msb 0x41                     ;  msbs: dst=1 src0=1 src1=0 src2=0
	global_load_b64 v[18:19] /*v[274:275]*/, v[144:145] /*v[400:401]*/, off
	global_load_b64 v[30:31] /*v[286:287]*/, v[146:147] /*v[402:403]*/, off
.LBB28_212:                             ;   in Loop: Header=BB28_145 Depth=1
	s_wait_xcnt 0x0
	s_or_b32 exec_lo, exec_lo, s2
	s_wait_loadcnt 0x1
	s_set_vgpr_msb 0x44                     ;  msbs: dst=1 src0=0 src1=1 src2=0
	ds_bpermute_b32 v144 /*v400*/, v5, v12 /*v268*/
	ds_bpermute_b32 v145 /*v401*/, v5, v13 /*v269*/
	s_wait_loadcnt 0x0
	ds_bpermute_b32 v146 /*v402*/, v5, v14 /*v270*/
	ds_bpermute_b32 v147 /*v403*/, v5, v15 /*v271*/
	s_mov_b32 s2, 0
	s_wait_dscnt 0x2
	s_set_vgpr_msb 0x45                     ;  msbs: dst=1 src0=1 src1=1 src2=0
	v_add_f64_e64 v[8:9] /*v[264:265]*/, v[8:9] /*v[264:265]*/, -v[144:145] /*v[400:401]*/
	s_set_vgpr_msb 0x44                     ;  msbs: dst=1 src0=0 src1=1 src2=0
	ds_bpermute_b32 v144 /*v400*/, v5, v12 /*v268*/ offset:4
	ds_bpermute_b32 v145 /*v401*/, v5, v13 /*v269*/ offset:4
	s_wait_dscnt 0x0
	s_set_vgpr_msb 0x45                     ;  msbs: dst=1 src0=1 src1=1 src2=0
	v_add_f64_e64 v[40:41] /*v[296:297]*/, v[40:41] /*v[296:297]*/, -v[144:145] /*v[400:401]*/
	s_set_vgpr_msb 0x44                     ;  msbs: dst=1 src0=0 src1=1 src2=0
	ds_bpermute_b32 v144 /*v400*/, v5, v12 /*v268*/ offset:8
	ds_bpermute_b32 v145 /*v401*/, v5, v13 /*v269*/ offset:8
	s_set_vgpr_msb 0x45                     ;  msbs: dst=1 src0=1 src1=1 src2=0
	v_mul_f64_e32 v[8:9] /*v[264:265]*/, v[16:17] /*v[272:273]*/, v[8:9] /*v[264:265]*/
	s_set_vgpr_msb 0x44                     ;  msbs: dst=1 src0=0 src1=1 src2=0
	v_add_f64_e32 v[16:17] /*v[272:273]*/, v[2:3], v[16:17] /*v[272:273]*/
	s_wait_dscnt 0x0
	s_set_vgpr_msb 0x45                     ;  msbs: dst=1 src0=1 src1=1 src2=0
	v_add_f64_e64 v[44:45] /*v[300:301]*/, v[44:45] /*v[300:301]*/, -v[144:145] /*v[400:401]*/
	s_set_vgpr_msb 0x44                     ;  msbs: dst=1 src0=0 src1=1 src2=0
	ds_bpermute_b32 v144 /*v400*/, v5, v12 /*v268*/ offset:12
	ds_bpermute_b32 v145 /*v401*/, v5, v13 /*v269*/ offset:12
	s_set_vgpr_msb 0x55                     ;  msbs: dst=1 src0=1 src1=1 src2=1
	v_mul_f64_e32 v[40:41] /*v[296:297]*/, v[24:25] /*v[280:281]*/, v[40:41] /*v[296:297]*/
	v_fma_f64 v[8:9] /*v[264:265]*/, v[8:9] /*v[264:265]*/, v[146:147] /*v[402:403]*/, v[6:7] /*v[262:263]*/
	s_set_vgpr_msb 0x44                     ;  msbs: dst=1 src0=0 src1=1 src2=0
	ds_bpermute_b32 v146 /*v402*/, v5, v14 /*v270*/ offset:4
	ds_bpermute_b32 v147 /*v403*/, v5, v15 /*v271*/ offset:4
	s_wait_dscnt 0x2
	s_set_vgpr_msb 0x45                     ;  msbs: dst=1 src0=1 src1=1 src2=0
	v_add_f64_e64 v[50:51] /*v[306:307]*/, v[50:51] /*v[306:307]*/, -v[144:145] /*v[400:401]*/
	v_add_f64_e32 v[16:17] /*v[272:273]*/, v[16:17] /*v[272:273]*/, v[24:25] /*v[280:281]*/
	s_set_vgpr_msb 0x44                     ;  msbs: dst=1 src0=0 src1=1 src2=0
	ds_bpermute_b32 v24 /*v280*/, v5, v12 /*v268*/ offset:16
	ds_bpermute_b32 v25 /*v281*/, v5, v13 /*v269*/ offset:16
	s_set_vgpr_msb 0x45                     ;  msbs: dst=1 src0=1 src1=1 src2=0
	v_mul_f64_e32 v[44:45] /*v[300:301]*/, v[20:21] /*v[276:277]*/, v[44:45] /*v[300:301]*/
	s_wait_dscnt 0x0
	v_add_f64_e64 v[24:25] /*v[280:281]*/, v[52:53] /*v[308:309]*/, -v[24:25] /*v[280:281]*/
	v_fmac_f64_e32 v[8:9] /*v[264:265]*/, v[40:41] /*v[296:297]*/, v[146:147] /*v[402:403]*/
	s_set_vgpr_msb 0x44                     ;  msbs: dst=1 src0=0 src1=1 src2=0
	ds_bpermute_b32 v40 /*v296*/, v5, v14 /*v270*/ offset:8
	ds_bpermute_b32 v41 /*v297*/, v5, v15 /*v271*/ offset:8
	s_set_vgpr_msb 0x45                     ;  msbs: dst=1 src0=1 src1=1 src2=0
	v_mul_f64_e32 v[50:51] /*v[306:307]*/, v[28:29] /*v[284:285]*/, v[50:51] /*v[306:307]*/
	v_add_f64_e32 v[16:17] /*v[272:273]*/, v[16:17] /*v[272:273]*/, v[20:21] /*v[276:277]*/
	s_set_vgpr_msb 0x44                     ;  msbs: dst=1 src0=0 src1=1 src2=0
	ds_bpermute_b32 v20 /*v276*/, v5, v12 /*v268*/ offset:20
	ds_bpermute_b32 v21 /*v277*/, v5, v13 /*v269*/ offset:20
	s_wait_dscnt 0x0
	s_set_vgpr_msb 0x45                     ;  msbs: dst=1 src0=1 src1=1 src2=0
	v_add_f64_e64 v[20:21] /*v[276:277]*/, v[58:59] /*v[314:315]*/, -v[20:21] /*v[276:277]*/
	v_mul_f64_e32 v[24:25] /*v[280:281]*/, v[22:23] /*v[278:279]*/, v[24:25] /*v[280:281]*/
	v_fmac_f64_e32 v[8:9] /*v[264:265]*/, v[44:45] /*v[300:301]*/, v[40:41] /*v[296:297]*/
	s_set_vgpr_msb 0x44                     ;  msbs: dst=1 src0=0 src1=1 src2=0
	ds_bpermute_b32 v40 /*v296*/, v5, v14 /*v270*/ offset:12
	ds_bpermute_b32 v41 /*v297*/, v5, v15 /*v271*/ offset:12
	s_set_vgpr_msb 0x45                     ;  msbs: dst=1 src0=1 src1=1 src2=0
	v_add_f64_e32 v[16:17] /*v[272:273]*/, v[16:17] /*v[272:273]*/, v[28:29] /*v[284:285]*/
	s_set_vgpr_msb 0x44                     ;  msbs: dst=1 src0=0 src1=1 src2=0
	ds_bpermute_b32 v28 /*v284*/, v5, v12 /*v268*/ offset:24
	ds_bpermute_b32 v29 /*v285*/, v5, v13 /*v269*/ offset:24
	s_wait_dscnt 0x0
	s_set_vgpr_msb 0x45                     ;  msbs: dst=1 src0=1 src1=1 src2=0
	v_add_f64_e64 v[28:29] /*v[284:285]*/, v[60:61] /*v[316:317]*/, -v[28:29] /*v[284:285]*/
	v_mul_f64_e32 v[20:21] /*v[276:277]*/, v[34:35] /*v[290:291]*/, v[20:21] /*v[276:277]*/
	v_fmac_f64_e32 v[8:9] /*v[264:265]*/, v[50:51] /*v[306:307]*/, v[40:41] /*v[296:297]*/
	s_set_vgpr_msb 0x44                     ;  msbs: dst=1 src0=0 src1=1 src2=0
	ds_bpermute_b32 v40 /*v296*/, v5, v14 /*v270*/ offset:16
	ds_bpermute_b32 v41 /*v297*/, v5, v15 /*v271*/ offset:16
	s_set_vgpr_msb 0x45                     ;  msbs: dst=1 src0=1 src1=1 src2=0
	;; [unrolled: 13-line block ×3, first 2 shown]
	v_add_f64_e32 v[16:17] /*v[272:273]*/, v[16:17] /*v[272:273]*/, v[34:35] /*v[290:291]*/
	v_mul_f64_e32 v[22:23] /*v[278:279]*/, v[38:39] /*v[294:295]*/, v[22:23] /*v[278:279]*/
	s_wait_dscnt 0x0
	v_fmac_f64_e32 v[8:9] /*v[264:265]*/, v[20:21] /*v[276:277]*/, v[24:25] /*v[280:281]*/
	s_set_vgpr_msb 0x44                     ;  msbs: dst=1 src0=0 src1=1 src2=0
	ds_bpermute_b32 v20 /*v276*/, v5, v12 /*v268*/ offset:32
	ds_bpermute_b32 v21 /*v277*/, v5, v13 /*v269*/ offset:32
	ds_bpermute_b32 v24 /*v280*/, v5, v14 /*v270*/ offset:24
	ds_bpermute_b32 v25 /*v281*/, v5, v15 /*v271*/ offset:24
	s_set_vgpr_msb 0x45                     ;  msbs: dst=1 src0=1 src1=1 src2=0
	v_add_f64_e32 v[16:17] /*v[272:273]*/, v[16:17] /*v[272:273]*/, v[26:27] /*v[282:283]*/
	s_set_vgpr_msb 0x44                     ;  msbs: dst=1 src0=0 src1=1 src2=0
	ds_bpermute_b32 v26 /*v282*/, v5, v14 /*v270*/ offset:28
	ds_bpermute_b32 v27 /*v283*/, v5, v15 /*v271*/ offset:28
	s_wait_dscnt 0x4
	s_set_vgpr_msb 0x45                     ;  msbs: dst=1 src0=1 src1=1 src2=0
	v_add_f64_e64 v[20:21] /*v[276:277]*/, v[68:69] /*v[324:325]*/, -v[20:21] /*v[276:277]*/
	s_wait_dscnt 0x2
	v_fmac_f64_e32 v[8:9] /*v[264:265]*/, v[28:29] /*v[284:285]*/, v[24:25] /*v[280:281]*/
	s_set_vgpr_msb 0x44                     ;  msbs: dst=1 src0=0 src1=1 src2=0
	ds_bpermute_b32 v24 /*v280*/, v5, v12 /*v268*/ offset:36
	ds_bpermute_b32 v25 /*v281*/, v5, v13 /*v269*/ offset:36
	s_set_vgpr_msb 0x45                     ;  msbs: dst=1 src0=1 src1=1 src2=0
	v_add_f64_e32 v[16:17] /*v[272:273]*/, v[16:17] /*v[272:273]*/, v[38:39] /*v[294:295]*/
	s_wait_dscnt 0x0
	v_add_f64_e64 v[24:25] /*v[280:281]*/, v[74:75] /*v[330:331]*/, -v[24:25] /*v[280:281]*/
	v_mul_f64_e32 v[20:21] /*v[276:277]*/, v[32:33] /*v[288:289]*/, v[20:21] /*v[276:277]*/
	v_fmac_f64_e32 v[8:9] /*v[264:265]*/, v[22:23] /*v[278:279]*/, v[26:27] /*v[282:283]*/
	s_set_vgpr_msb 0x44                     ;  msbs: dst=1 src0=0 src1=1 src2=0
	ds_bpermute_b32 v22 /*v278*/, v5, v12 /*v268*/ offset:40
	ds_bpermute_b32 v23 /*v279*/, v5, v13 /*v269*/ offset:40
	ds_bpermute_b32 v26 /*v282*/, v5, v14 /*v270*/ offset:32
	ds_bpermute_b32 v27 /*v283*/, v5, v15 /*v271*/ offset:32
	s_set_vgpr_msb 0x45                     ;  msbs: dst=1 src0=1 src1=1 src2=0
	v_add_f64_e32 v[16:17] /*v[272:273]*/, v[16:17] /*v[272:273]*/, v[32:33] /*v[288:289]*/
	s_wait_dscnt 0x2
	v_add_f64_e64 v[22:23] /*v[278:279]*/, v[76:77] /*v[332:333]*/, -v[22:23] /*v[278:279]*/
	v_mul_f64_e32 v[24:25] /*v[280:281]*/, v[46:47] /*v[302:303]*/, v[24:25] /*v[280:281]*/
	s_wait_dscnt 0x0
	v_fmac_f64_e32 v[8:9] /*v[264:265]*/, v[20:21] /*v[276:277]*/, v[26:27] /*v[282:283]*/
	s_set_vgpr_msb 0x44                     ;  msbs: dst=1 src0=0 src1=1 src2=0
	ds_bpermute_b32 v20 /*v276*/, v5, v12 /*v268*/ offset:44
	ds_bpermute_b32 v21 /*v277*/, v5, v13 /*v269*/ offset:44
	ds_bpermute_b32 v26 /*v282*/, v5, v14 /*v270*/ offset:36
	ds_bpermute_b32 v27 /*v283*/, v5, v15 /*v271*/ offset:36
	s_set_vgpr_msb 0x45                     ;  msbs: dst=1 src0=1 src1=1 src2=0
	v_add_f64_e32 v[16:17] /*v[272:273]*/, v[16:17] /*v[272:273]*/, v[46:47] /*v[302:303]*/
	s_wait_dscnt 0x2
	v_add_f64_e64 v[20:21] /*v[276:277]*/, v[82:83] /*v[338:339]*/, -v[20:21] /*v[276:277]*/
	v_mul_f64_e32 v[22:23] /*v[278:279]*/, v[36:37] /*v[292:293]*/, v[22:23] /*v[278:279]*/
	s_wait_dscnt 0x0
	;; [unrolled: 12-line block ×20, first 2 shown]
	v_fmac_f64_e32 v[8:9] /*v[264:265]*/, v[24:25] /*v[280:281]*/, v[26:27] /*v[282:283]*/
	s_set_vgpr_msb 0x44                     ;  msbs: dst=1 src0=0 src1=1 src2=0
	ds_bpermute_b32 v24 /*v280*/, v5, v12 /*v268*/ offset:120
	ds_bpermute_b32 v25 /*v281*/, v5, v13 /*v269*/ offset:120
	;; [unrolled: 1-line block ×4, first 2 shown]
	s_set_vgpr_msb 0x45                     ;  msbs: dst=1 src0=1 src1=1 src2=0
	v_add_f64_e32 v[16:17] /*v[272:273]*/, v[16:17] /*v[272:273]*/, v[104:105] /*v[360:361]*/
	s_set_vgpr_msb 0x44                     ;  msbs: dst=1 src0=0 src1=1 src2=0
	ds_bpermute_b32 v12 /*v268*/, v5, v12 /*v268*/ offset:124
	ds_bpermute_b32 v13 /*v269*/, v5, v13 /*v269*/ offset:124
	s_wait_dscnt 0x4
	s_set_vgpr_msb 0x45                     ;  msbs: dst=1 src0=1 src1=1 src2=0
	v_add_f64_e64 v[24:25] /*v[280:281]*/, v[140:141] /*v[396:397]*/, -v[24:25] /*v[280:281]*/
	v_mul_f64_e32 v[20:21] /*v[276:277]*/, v[128:129] /*v[384:385]*/, v[20:21] /*v[276:277]*/
	s_wait_dscnt 0x2
	v_fmac_f64_e32 v[8:9] /*v[264:265]*/, v[22:23] /*v[278:279]*/, v[26:27] /*v[282:283]*/
	s_set_vgpr_msb 0x44                     ;  msbs: dst=1 src0=0 src1=1 src2=0
	ds_bpermute_b32 v22 /*v278*/, v5, v14 /*v270*/ offset:116
	ds_bpermute_b32 v23 /*v279*/, v5, v15 /*v271*/ offset:116
	s_set_vgpr_msb 0x45                     ;  msbs: dst=1 src0=1 src1=1 src2=0
	v_add_f64_e32 v[16:17] /*v[272:273]*/, v[16:17] /*v[272:273]*/, v[128:129] /*v[384:385]*/
	v_mul_f64_e32 v[24:25] /*v[280:281]*/, v[124:125] /*v[380:381]*/, v[24:25] /*v[280:281]*/
	s_wait_dscnt 0x0
	v_fmac_f64_e32 v[8:9] /*v[264:265]*/, v[20:21] /*v[276:277]*/, v[22:23] /*v[278:279]*/
	s_set_vgpr_msb 0x44                     ;  msbs: dst=1 src0=0 src1=1 src2=0
	ds_bpermute_b32 v20 /*v276*/, v5, v14 /*v270*/ offset:120
	ds_bpermute_b32 v21 /*v277*/, v5, v15 /*v271*/ offset:120
	ds_bpermute_b32 v14 /*v270*/, v5, v14 /*v270*/ offset:124
	ds_bpermute_b32 v15 /*v271*/, v5, v15 /*v271*/ offset:124
	s_set_vgpr_msb 0x45                     ;  msbs: dst=1 src0=1 src1=1 src2=0
	v_add_f64_e32 v[16:17] /*v[272:273]*/, v[16:17] /*v[272:273]*/, v[124:125] /*v[380:381]*/
	s_wait_dscnt 0x2
	v_fmac_f64_e32 v[8:9] /*v[264:265]*/, v[24:25] /*v[280:281]*/, v[20:21] /*v[276:277]*/
.LBB28_213:                             ;   in Loop: Header=BB28_145 Depth=1
	s_and_b32 vcc_lo, exec_lo, s2
	s_set_vgpr_msb 0                        ;  msbs: dst=0 src0=0 src1=0 src2=0
	s_cbranch_vccz .LBB28_217
; %bb.214:                              ;   in Loop: Header=BB28_145 Depth=1
	s_load_b32 s2, s[8:9], 0x0
	s_set_vgpr_msb 64                       ;  msbs: dst=1 src0=0 src1=0 src2=0
	v_mov_b64_e32 v[8:9] /*v[264:265]*/, 0
	s_wait_kmcnt 0x0
	s_cmp_lt_u32 s16, s2
	s_cselect_b32 s2, 12, 18
	s_delay_alu instid0(SALU_CYCLE_1)
	s_add_nc_u64 s[26:27], s[8:9], s[2:3]
	s_load_u16 s2, s[26:27], 0x0
	s_wait_kmcnt 0x0
	s_set_vgpr_msb 1                        ;  msbs: dst=0 src0=1 src1=0 src2=0
	v_mad_u32_u24 v4, v142 /*v398*/, s2, v1
	s_mov_b32 s2, exec_lo
	s_delay_alu instid0(VALU_DEP_1) | instskip(SKIP_1) | instid1(VALU_DEP_1)
	v_and_b32_e32 v4, 31, v4
	s_set_vgpr_msb 0x41                     ;  msbs: dst=1 src0=1 src1=0 src2=0
	v_add_nc_u64_e32 v[12:13] /*v[268:269]*/, v[10:11] /*v[266:267]*/, v[4:5]
	v_mov_b64_e32 v[10:11] /*v[266:267]*/, 0
	s_set_vgpr_msb 4                        ;  msbs: dst=0 src0=0 src1=1 src2=0
	s_delay_alu instid0(VALU_DEP_2)
	v_cmpx_gt_i64_e64 s[4:5], v[12:13] /*v[268:269]*/
	s_set_vgpr_msb 0                        ;  msbs: dst=0 src0=0 src1=0 src2=0
	s_cbranch_execz .LBB28_216
; %bb.215:                              ;   in Loop: Header=BB28_145 Depth=1
	s_set_vgpr_msb 0x44                     ;  msbs: dst=1 src0=0 src1=1 src2=0
	v_lshlrev_b64_e32 v[8:9] /*v[264:265]*/, 3, v[12:13] /*v[268:269]*/
	s_delay_alu instid0(VALU_DEP_1)
	v_add_nc_u64_e32 v[12:13] /*v[268:269]*/, s[12:13], v[8:9] /*v[264:265]*/
	s_wait_dscnt 0x0
	v_add_nc_u64_e32 v[14:15] /*v[270:271]*/, s[14:15], v[8:9] /*v[264:265]*/
	s_set_vgpr_msb 0x41                     ;  msbs: dst=1 src0=1 src1=0 src2=0
	global_load_b64 v[8:9] /*v[264:265]*/, v[12:13] /*v[268:269]*/, off
	global_load_b64 v[10:11] /*v[266:267]*/, v[14:15] /*v[270:271]*/, off
.LBB28_216:                             ;   in Loop: Header=BB28_145 Depth=1
	s_wait_xcnt 0x0
	s_or_b32 exec_lo, exec_lo, s2
	s_set_vgpr_msb 64                       ;  msbs: dst=1 src0=0 src1=0 src2=0
	v_add_nc_u64_e32 v[12:13] /*v[268:269]*/, v[136:137], v[6:7]
	s_wait_dscnt 0x0
	v_add_nc_u64_e32 v[14:15] /*v[270:271]*/, v[24:25], v[6:7]
	v_add_nc_u64_e32 v[16:17] /*v[272:273]*/, v[134:135], v[6:7]
	v_add_nc_u64_e32 v[54:55] /*v[310:311]*/, v[32:33], v[6:7]
	v_add_nc_u64_e32 v[64:65] /*v[320:321]*/, v[54:55], v[6:7]
	s_set_vgpr_msb 0x41                     ;  msbs: dst=1 src0=1 src1=0 src2=0
	global_load_b64 v[12:13] /*v[268:269]*/, v[12:13] /*v[268:269]*/, off
	global_load_b64 v[18:19] /*v[274:275]*/, v[14:15] /*v[270:271]*/, off
	global_load_b64 v[20:21] /*v[276:277]*/, v[16:17] /*v[272:273]*/, off
	s_wait_xcnt 0x1
	s_set_vgpr_msb 64                       ;  msbs: dst=1 src0=0 src1=0 src2=0
	v_add_nc_u64_e32 v[14:15] /*v[270:271]*/, v[26:27], v[6:7]
	s_wait_xcnt 0x0
	v_add_nc_u64_e32 v[16:17] /*v[272:273]*/, v[8:9], v[6:7]
	s_set_vgpr_msb 0x41                     ;  msbs: dst=1 src0=1 src1=0 src2=0
	global_load_b64 v[22:23] /*v[278:279]*/, v[14:15] /*v[270:271]*/, off
	global_load_b64 v[24:25] /*v[280:281]*/, v[16:17] /*v[272:273]*/, off
	s_wait_xcnt 0x1
	s_set_vgpr_msb 64                       ;  msbs: dst=1 src0=0 src1=0 src2=0
	v_add_nc_u64_e32 v[14:15] /*v[270:271]*/, v[28:29], v[6:7]
	s_wait_xcnt 0x0
	v_add_nc_u64_e32 v[16:17] /*v[272:273]*/, v[10:11], v[6:7]
	s_set_vgpr_msb 0x41                     ;  msbs: dst=1 src0=1 src1=0 src2=0
	global_load_b64 v[26:27] /*v[282:283]*/, v[14:15] /*v[270:271]*/, off
	global_load_b64 v[28:29] /*v[284:285]*/, v[16:17] /*v[272:273]*/, off
	;; [unrolled: 8-line block ×8, first 2 shown]
	s_wait_loadcnt 0x14
	s_wait_xcnt 0x1
	s_set_vgpr_msb 0x44                     ;  msbs: dst=1 src0=0 src1=1 src2=0
	ds_bpermute_b32 v14 /*v270*/, v5, v8 /*v264*/
	ds_bpermute_b32 v15 /*v271*/, v5, v9 /*v265*/
	s_wait_xcnt 0x0
	s_set_vgpr_msb 64                       ;  msbs: dst=1 src0=0 src1=0 src2=0
	v_add_nc_u64_e32 v[16:17] /*v[272:273]*/, v[48:49], v[6:7]
	s_set_vgpr_msb 0x41                     ;  msbs: dst=1 src0=1 src1=0 src2=0
	global_load_b64 v[56:57] /*v[312:313]*/, v[16:17] /*v[272:273]*/, off
	global_load_b64 v[58:59] /*v[314:315]*/, v[54:55] /*v[310:311]*/, off
	s_wait_xcnt 0x1
	s_set_vgpr_msb 64                       ;  msbs: dst=1 src0=0 src1=0 src2=0
	v_add_nc_u64_e32 v[16:17] /*v[272:273]*/, v[42:43], v[6:7]
	s_wait_xcnt 0x0
	v_add_nc_u64_e32 v[54:55] /*v[310:311]*/, v[50:51], v[6:7]
	s_set_vgpr_msb 0x41                     ;  msbs: dst=1 src0=1 src1=0 src2=0
	global_load_b64 v[60:61] /*v[316:317]*/, v[16:17] /*v[272:273]*/, off
	global_load_b64 v[62:63] /*v[318:319]*/, v[54:55] /*v[310:311]*/, off
	s_wait_xcnt 0x1
	s_set_vgpr_msb 0x44                     ;  msbs: dst=1 src0=0 src1=1 src2=0
	ds_bpermute_b32 v16 /*v272*/, v5, v8 /*v264*/ offset:8
	ds_bpermute_b32 v17 /*v273*/, v5, v9 /*v265*/ offset:8
	s_wait_xcnt 0x0
	s_set_vgpr_msb 64                       ;  msbs: dst=1 src0=0 src1=0 src2=0
	v_add_nc_u64_e32 v[54:55] /*v[310:311]*/, v[46:47], v[6:7]
	s_set_vgpr_msb 0x45                     ;  msbs: dst=1 src0=1 src1=1 src2=0
	global_load_b64 v[66:67] /*v[322:323]*/, v[54:55] /*v[310:311]*/, off
	global_load_b64 v[68:69] /*v[324:325]*/, v[64:65] /*v[320:321]*/, off
	s_wait_loadcnt_dscnt 0x1802
	v_add_f64_e64 v[12:13] /*v[268:269]*/, v[12:13] /*v[268:269]*/, -v[14:15] /*v[270:271]*/
	s_set_vgpr_msb 0x44                     ;  msbs: dst=1 src0=0 src1=1 src2=0
	ds_bpermute_b32 v14 /*v270*/, v5, v8 /*v264*/ offset:4
	ds_bpermute_b32 v15 /*v271*/, v5, v9 /*v265*/ offset:4
	s_wait_loadcnt 0x16
	s_set_vgpr_msb 4                        ;  msbs: dst=0 src0=0 src1=1 src2=0
	v_add_f64_e32 v[2:3], v[2:3], v[20:21] /*v[276:277]*/
	s_wait_loadcnt_dscnt 0x1502
	s_set_vgpr_msb 0x45                     ;  msbs: dst=1 src0=1 src1=1 src2=0
	v_add_f64_e64 v[16:17] /*v[272:273]*/, v[22:23] /*v[278:279]*/, -v[16:17] /*v[272:273]*/
	s_set_vgpr_msb 64                       ;  msbs: dst=1 src0=0 src1=0 src2=0
	v_add_nc_u64_e32 v[22:23] /*v[278:279]*/, v[58:59], v[6:7]
	s_wait_dscnt 0x0
	s_set_vgpr_msb 0x45                     ;  msbs: dst=1 src0=1 src1=1 src2=0
	v_add_f64_e64 v[14:15] /*v[270:271]*/, v[18:19] /*v[274:275]*/, -v[14:15] /*v[270:271]*/
	s_set_vgpr_msb 0x44                     ;  msbs: dst=1 src0=0 src1=1 src2=0
	ds_bpermute_b32 v18 /*v274*/, v5, v10 /*v266*/
	ds_bpermute_b32 v19 /*v275*/, v5, v11 /*v267*/
	s_set_vgpr_msb 0x45                     ;  msbs: dst=1 src0=1 src1=1 src2=0
	v_mul_f64_e32 v[12:13] /*v[268:269]*/, v[20:21] /*v[276:277]*/, v[12:13] /*v[268:269]*/
	s_set_vgpr_msb 64                       ;  msbs: dst=1 src0=0 src1=0 src2=0
	v_add_nc_u64_e32 v[20:21] /*v[276:277]*/, v[52:53], v[6:7]
	s_set_vgpr_msb 0x45                     ;  msbs: dst=1 src0=1 src1=1 src2=0
	global_load_b64 v[54:55] /*v[310:311]*/, v[20:21] /*v[276:277]*/, off
	global_load_b64 v[64:65] /*v[320:321]*/, v[22:23] /*v[278:279]*/, off
	s_wait_loadcnt 0x14
	v_mul_f64_e32 v[16:17] /*v[272:273]*/, v[28:29] /*v[284:285]*/, v[16:17] /*v[272:273]*/
	s_set_vgpr_msb 4                        ;  msbs: dst=0 src0=0 src1=1 src2=0
	v_add_f64_e32 v[2:3], v[2:3], v[24:25] /*v[280:281]*/
	s_wait_xcnt 0x1
	s_set_vgpr_msb 64                       ;  msbs: dst=1 src0=0 src1=0 src2=0
	v_add_nc_u64_e32 v[20:21] /*v[276:277]*/, v[56:57], v[6:7]
	s_wait_xcnt 0x0
	v_add_nc_u64_e32 v[22:23] /*v[278:279]*/, v[62:63], v[6:7]
	s_set_vgpr_msb 0x45                     ;  msbs: dst=1 src0=1 src1=1 src2=0
	v_mul_f64_e32 v[14:15] /*v[270:271]*/, v[24:25] /*v[280:281]*/, v[14:15] /*v[270:271]*/
	s_wait_dscnt 0x0
	v_fmac_f64_e32 v[6:7] /*v[262:263]*/, v[12:13] /*v[268:269]*/, v[18:19] /*v[274:275]*/
	s_set_vgpr_msb 0x44                     ;  msbs: dst=1 src0=0 src1=1 src2=0
	ds_bpermute_b32 v12 /*v268*/, v5, v8 /*v264*/ offset:12
	ds_bpermute_b32 v13 /*v269*/, v5, v9 /*v265*/ offset:12
	;; [unrolled: 1-line block ×4, first 2 shown]
	s_set_vgpr_msb 4                        ;  msbs: dst=0 src0=0 src1=1 src2=0
	v_add_f64_e32 v[2:3], v[2:3], v[28:29] /*v[284:285]*/
	s_wait_dscnt 0x2
	s_set_vgpr_msb 0x45                     ;  msbs: dst=1 src0=1 src1=1 src2=0
	v_add_f64_e64 v[12:13] /*v[268:269]*/, v[26:27] /*v[282:283]*/, -v[12:13] /*v[268:269]*/
	global_load_b64 v[24:25] /*v[280:281]*/, v[20:21] /*v[276:277]*/, off
	global_load_b64 v[26:27] /*v[282:283]*/, v[22:23] /*v[278:279]*/, off
	s_wait_xcnt 0x1
	s_set_vgpr_msb 64                       ;  msbs: dst=1 src0=0 src1=0 src2=0
	v_add_nc_u64_e32 v[20:21] /*v[276:277]*/, v[60:61], v[6:7]
	s_wait_xcnt 0x0
	v_add_nc_u64_e32 v[22:23] /*v[278:279]*/, v[66:67], v[6:7]
	s_wait_dscnt 0x0
	s_set_vgpr_msb 0x45                     ;  msbs: dst=1 src0=1 src1=1 src2=0
	v_fmac_f64_e32 v[6:7] /*v[262:263]*/, v[14:15] /*v[270:271]*/, v[18:19] /*v[274:275]*/
	s_set_vgpr_msb 0x44                     ;  msbs: dst=1 src0=0 src1=1 src2=0
	ds_bpermute_b32 v14 /*v270*/, v5, v8 /*v264*/ offset:16
	ds_bpermute_b32 v15 /*v271*/, v5, v9 /*v265*/ offset:16
	ds_bpermute_b32 v18 /*v274*/, v5, v10 /*v266*/ offset:8
	ds_bpermute_b32 v19 /*v275*/, v5, v11 /*v267*/ offset:8
	s_wait_loadcnt 0x14
	s_set_vgpr_msb 4                        ;  msbs: dst=0 src0=0 src1=1 src2=0
	v_add_f64_e32 v[2:3], v[2:3], v[32:33] /*v[288:289]*/
	s_wait_dscnt 0x2
	s_set_vgpr_msb 0x45                     ;  msbs: dst=1 src0=1 src1=1 src2=0
	v_add_f64_e64 v[14:15] /*v[270:271]*/, v[30:31] /*v[286:287]*/, -v[14:15] /*v[270:271]*/
	v_mul_f64_e32 v[12:13] /*v[268:269]*/, v[32:33] /*v[288:289]*/, v[12:13] /*v[268:269]*/
	global_load_b64 v[28:29] /*v[284:285]*/, v[20:21] /*v[276:277]*/, off
	global_load_b64 v[30:31] /*v[286:287]*/, v[22:23] /*v[278:279]*/, off
	s_wait_xcnt 0x1
	s_set_vgpr_msb 64                       ;  msbs: dst=1 src0=0 src1=0 src2=0
	v_add_nc_u64_e32 v[20:21] /*v[276:277]*/, v[64:65], v[6:7]
	s_wait_xcnt 0x0
	v_add_nc_u64_e32 v[22:23] /*v[278:279]*/, v[70:71], v[6:7]
	s_wait_dscnt 0x0
	s_set_vgpr_msb 0x45                     ;  msbs: dst=1 src0=1 src1=1 src2=0
	v_fmac_f64_e32 v[6:7] /*v[262:263]*/, v[16:17] /*v[272:273]*/, v[18:19] /*v[274:275]*/
	s_set_vgpr_msb 0x44                     ;  msbs: dst=1 src0=0 src1=1 src2=0
	ds_bpermute_b32 v16 /*v272*/, v5, v8 /*v264*/ offset:20
	ds_bpermute_b32 v17 /*v273*/, v5, v9 /*v265*/ offset:20
	ds_bpermute_b32 v18 /*v274*/, v5, v10 /*v266*/ offset:12
	ds_bpermute_b32 v19 /*v275*/, v5, v11 /*v267*/ offset:12
	s_wait_loadcnt 0x14
	s_set_vgpr_msb 4                        ;  msbs: dst=0 src0=0 src1=1 src2=0
	v_add_f64_e32 v[2:3], v[2:3], v[36:37] /*v[292:293]*/
	s_wait_dscnt 0x2
	s_set_vgpr_msb 0x45                     ;  msbs: dst=1 src0=1 src1=1 src2=0
	v_add_f64_e64 v[16:17] /*v[272:273]*/, v[34:35] /*v[290:291]*/, -v[16:17] /*v[272:273]*/
	v_mul_f64_e32 v[14:15] /*v[270:271]*/, v[36:37] /*v[292:293]*/, v[14:15] /*v[270:271]*/
	;; [unrolled: 22-line block ×7, first 2 shown]
	global_load_b64 v[52:53] /*v[308:309]*/, v[20:21] /*v[276:277]*/, off
	global_load_b64 v[56:57] /*v[312:313]*/, v[22:23] /*v[278:279]*/, off
	s_wait_xcnt 0x1
	s_set_vgpr_msb 64                       ;  msbs: dst=1 src0=0 src1=0 src2=0
	v_add_nc_u64_e32 v[20:21] /*v[276:277]*/, v[88:89], v[6:7]
	s_wait_xcnt 0x0
	v_add_nc_u64_e32 v[22:23] /*v[278:279]*/, v[94:95], v[6:7]
	s_wait_dscnt 0x0
	s_set_vgpr_msb 0x45                     ;  msbs: dst=1 src0=1 src1=1 src2=0
	v_fmac_f64_e32 v[6:7] /*v[262:263]*/, v[16:17] /*v[272:273]*/, v[18:19] /*v[274:275]*/
	s_set_vgpr_msb 0x44                     ;  msbs: dst=1 src0=0 src1=1 src2=0
	ds_bpermute_b32 v16 /*v272*/, v5, v8 /*v264*/ offset:44
	ds_bpermute_b32 v17 /*v273*/, v5, v9 /*v265*/ offset:44
	ds_bpermute_b32 v18 /*v274*/, v5, v10 /*v266*/ offset:36
	ds_bpermute_b32 v19 /*v275*/, v5, v11 /*v267*/ offset:36
	s_wait_loadcnt 0x15
	s_set_vgpr_msb 4                        ;  msbs: dst=0 src0=0 src1=1 src2=0
	v_add_f64_e32 v[2:3], v[2:3], v[60:61] /*v[316:317]*/
	s_wait_loadcnt_dscnt 0x1402
	s_set_vgpr_msb 0x45                     ;  msbs: dst=1 src0=1 src1=1 src2=0
	v_add_f64_e64 v[16:17] /*v[272:273]*/, v[62:63] /*v[318:319]*/, -v[16:17] /*v[272:273]*/
	v_mul_f64_e32 v[14:15] /*v[270:271]*/, v[60:61] /*v[316:317]*/, v[14:15] /*v[270:271]*/
	global_load_b64 v[58:59] /*v[314:315]*/, v[20:21] /*v[276:277]*/, off
	global_load_b64 v[62:63] /*v[318:319]*/, v[22:23] /*v[278:279]*/, off
	s_wait_xcnt 0x1
	s_set_vgpr_msb 64                       ;  msbs: dst=1 src0=0 src1=0 src2=0
	v_add_nc_u64_e32 v[20:21] /*v[276:277]*/, v[92:93], v[6:7]
	s_wait_xcnt 0x0
	v_add_nc_u64_e32 v[22:23] /*v[278:279]*/, v[98:99], v[6:7]
	s_wait_dscnt 0x0
	s_set_vgpr_msb 0x45                     ;  msbs: dst=1 src0=1 src1=1 src2=0
	v_fmac_f64_e32 v[6:7] /*v[262:263]*/, v[12:13] /*v[268:269]*/, v[18:19] /*v[274:275]*/
	s_set_vgpr_msb 0x44                     ;  msbs: dst=1 src0=0 src1=1 src2=0
	ds_bpermute_b32 v12 /*v268*/, v5, v8 /*v264*/ offset:48
	ds_bpermute_b32 v13 /*v269*/, v5, v9 /*v265*/ offset:48
	ds_bpermute_b32 v18 /*v274*/, v5, v10 /*v266*/ offset:40
	ds_bpermute_b32 v19 /*v275*/, v5, v11 /*v267*/ offset:40
	s_wait_loadcnt 0x15
	s_set_vgpr_msb 4                        ;  msbs: dst=0 src0=0 src1=1 src2=0
	v_add_f64_e32 v[2:3], v[2:3], v[66:67] /*v[322:323]*/
	s_wait_loadcnt_dscnt 0x1402
	s_set_vgpr_msb 0x45                     ;  msbs: dst=1 src0=1 src1=1 src2=0
	v_add_f64_e64 v[12:13] /*v[268:269]*/, v[68:69] /*v[324:325]*/, -v[12:13] /*v[268:269]*/
	v_mul_f64_e32 v[16:17] /*v[272:273]*/, v[66:67] /*v[322:323]*/, v[16:17] /*v[272:273]*/
	;; [unrolled: 22-line block ×4, first 2 shown]
	global_load_b64 v[26:27] /*v[282:283]*/, v[20:21] /*v[276:277]*/, off
	global_load_b64 v[54:55] /*v[310:311]*/, v[22:23] /*v[278:279]*/, off
	s_wait_xcnt 0x1
	s_set_vgpr_msb 64                       ;  msbs: dst=1 src0=0 src1=0 src2=0
	v_add_nc_u64_e32 v[20:21] /*v[276:277]*/, v[104:105], v[6:7]
	s_wait_xcnt 0x0
	v_add_nc_u64_e32 v[22:23] /*v[278:279]*/, v[110:111], v[6:7]
	s_set_vgpr_msb 0x45                     ;  msbs: dst=1 src0=1 src1=1 src2=0
	global_load_b64 v[24:25] /*v[280:281]*/, v[20:21] /*v[276:277]*/, off
	global_load_b64 v[70:71] /*v[326:327]*/, v[22:23] /*v[278:279]*/, off
	s_wait_dscnt 0x0
	v_fmac_f64_e32 v[6:7] /*v[262:263]*/, v[12:13] /*v[268:269]*/, v[18:19] /*v[274:275]*/
	s_set_vgpr_msb 0x44                     ;  msbs: dst=1 src0=0 src1=1 src2=0
	ds_bpermute_b32 v12 /*v268*/, v5, v8 /*v264*/ offset:60
	ds_bpermute_b32 v13 /*v269*/, v5, v9 /*v265*/ offset:60
	;; [unrolled: 1-line block ×4, first 2 shown]
	s_wait_xcnt 0x1
	s_set_vgpr_msb 64                       ;  msbs: dst=1 src0=0 src1=0 src2=0
	v_add_nc_u64_e32 v[20:21] /*v[276:277]*/, v[108:109], v[6:7]
	s_wait_xcnt 0x0
	v_add_nc_u64_e32 v[22:23] /*v[278:279]*/, v[116:117], v[6:7]
	s_wait_loadcnt 0x17
	s_set_vgpr_msb 4                        ;  msbs: dst=0 src0=0 src1=1 src2=0
	v_add_f64_e32 v[2:3], v[2:3], v[28:29] /*v[284:285]*/
	s_set_vgpr_msb 0x45                     ;  msbs: dst=1 src0=1 src1=1 src2=0
	v_mul_f64_e32 v[16:17] /*v[272:273]*/, v[28:29] /*v[284:285]*/, v[16:17] /*v[272:273]*/
	s_wait_loadcnt_dscnt 0x1602
	v_add_f64_e64 v[12:13] /*v[268:269]*/, v[30:31] /*v[286:287]*/, -v[12:13] /*v[268:269]*/
	s_set_vgpr_msb 64                       ;  msbs: dst=1 src0=0 src1=0 src2=0
	v_add_nc_u64_e32 v[30:31] /*v[286:287]*/, v[126:127], v[6:7]
	s_wait_dscnt 0x0
	s_set_vgpr_msb 0x45                     ;  msbs: dst=1 src0=1 src1=1 src2=0
	v_fmac_f64_e32 v[6:7] /*v[262:263]*/, v[14:15] /*v[270:271]*/, v[18:19] /*v[274:275]*/
	s_set_vgpr_msb 0x44                     ;  msbs: dst=1 src0=0 src1=1 src2=0
	ds_bpermute_b32 v14 /*v270*/, v5, v8 /*v264*/ offset:64
	ds_bpermute_b32 v15 /*v271*/, v5, v9 /*v265*/ offset:64
	ds_bpermute_b32 v18 /*v274*/, v5, v10 /*v266*/ offset:56
	ds_bpermute_b32 v19 /*v275*/, v5, v11 /*v267*/ offset:56
	s_wait_loadcnt 0x15
	s_set_vgpr_msb 4                        ;  msbs: dst=0 src0=0 src1=1 src2=0
	v_add_f64_e32 v[2:3], v[2:3], v[32:33] /*v[288:289]*/
	s_wait_loadcnt_dscnt 0x1402
	s_set_vgpr_msb 0x45                     ;  msbs: dst=1 src0=1 src1=1 src2=0
	v_add_f64_e64 v[14:15] /*v[270:271]*/, v[34:35] /*v[290:291]*/, -v[14:15] /*v[270:271]*/
	v_mul_f64_e32 v[12:13] /*v[268:269]*/, v[32:33] /*v[288:289]*/, v[12:13] /*v[268:269]*/
	global_load_b64 v[28:29] /*v[284:285]*/, v[20:21] /*v[276:277]*/, off
	global_load_b64 v[34:35] /*v[290:291]*/, v[22:23] /*v[278:279]*/, off
	s_wait_xcnt 0x1
	s_set_vgpr_msb 64                       ;  msbs: dst=1 src0=0 src1=0 src2=0
	v_add_nc_u64_e32 v[20:21] /*v[276:277]*/, v[114:115], v[6:7]
	s_wait_xcnt 0x0
	v_add_nc_u64_e32 v[22:23] /*v[278:279]*/, v[120:121], v[6:7]
	s_wait_dscnt 0x0
	s_set_vgpr_msb 0x45                     ;  msbs: dst=1 src0=1 src1=1 src2=0
	v_fmac_f64_e32 v[6:7] /*v[262:263]*/, v[16:17] /*v[272:273]*/, v[18:19] /*v[274:275]*/
	s_set_vgpr_msb 0x44                     ;  msbs: dst=1 src0=0 src1=1 src2=0
	ds_bpermute_b32 v16 /*v272*/, v5, v8 /*v264*/ offset:68
	ds_bpermute_b32 v17 /*v273*/, v5, v9 /*v265*/ offset:68
	ds_bpermute_b32 v18 /*v274*/, v5, v10 /*v266*/ offset:60
	ds_bpermute_b32 v19 /*v275*/, v5, v11 /*v267*/ offset:60
	s_wait_loadcnt 0x15
	s_set_vgpr_msb 4                        ;  msbs: dst=0 src0=0 src1=1 src2=0
	v_add_f64_e32 v[2:3], v[2:3], v[36:37] /*v[292:293]*/
	s_wait_loadcnt_dscnt 0x1402
	s_set_vgpr_msb 0x45                     ;  msbs: dst=1 src0=1 src1=1 src2=0
	v_add_f64_e64 v[16:17] /*v[272:273]*/, v[38:39] /*v[294:295]*/, -v[16:17] /*v[272:273]*/
	v_mul_f64_e32 v[14:15] /*v[270:271]*/, v[36:37] /*v[292:293]*/, v[14:15] /*v[270:271]*/
	global_load_b64 v[32:33] /*v[288:289]*/, v[20:21] /*v[276:277]*/, off
	global_load_b64 v[38:39] /*v[294:295]*/, v[22:23] /*v[278:279]*/, off
	s_wait_xcnt 0x1
	s_set_vgpr_msb 64                       ;  msbs: dst=1 src0=0 src1=0 src2=0
	v_add_nc_u64_e32 v[20:21] /*v[276:277]*/, v[118:119], v[6:7]
	s_wait_xcnt 0x0
	v_add_nc_u64_e32 v[22:23] /*v[278:279]*/, v[124:125], v[6:7]
	s_wait_dscnt 0x0
	s_set_vgpr_msb 0x45                     ;  msbs: dst=1 src0=1 src1=1 src2=0
	v_fmac_f64_e32 v[6:7] /*v[262:263]*/, v[12:13] /*v[268:269]*/, v[18:19] /*v[274:275]*/
	s_set_vgpr_msb 0x44                     ;  msbs: dst=1 src0=0 src1=1 src2=0
	ds_bpermute_b32 v12 /*v268*/, v5, v8 /*v264*/ offset:72
	ds_bpermute_b32 v13 /*v269*/, v5, v9 /*v265*/ offset:72
	ds_bpermute_b32 v18 /*v274*/, v5, v10 /*v266*/ offset:64
	ds_bpermute_b32 v19 /*v275*/, v5, v11 /*v267*/ offset:64
	s_wait_loadcnt 0x15
	s_set_vgpr_msb 4                        ;  msbs: dst=0 src0=0 src1=1 src2=0
	v_add_f64_e32 v[2:3], v[2:3], v[40:41] /*v[296:297]*/
	s_wait_loadcnt_dscnt 0x1402
	s_set_vgpr_msb 0x45                     ;  msbs: dst=1 src0=1 src1=1 src2=0
	v_add_f64_e64 v[12:13] /*v[268:269]*/, v[42:43] /*v[298:299]*/, -v[12:13] /*v[268:269]*/
	v_mul_f64_e32 v[16:17] /*v[272:273]*/, v[40:41] /*v[296:297]*/, v[16:17] /*v[272:273]*/
	global_load_b64 v[36:37] /*v[292:293]*/, v[20:21] /*v[276:277]*/, off
	global_load_b64 v[42:43] /*v[298:299]*/, v[22:23] /*v[278:279]*/, off
	s_wait_xcnt 0x1
	s_set_vgpr_msb 64                       ;  msbs: dst=1 src0=0 src1=0 src2=0
	v_add_nc_u64_e32 v[20:21] /*v[276:277]*/, v[122:123], v[6:7]
	s_wait_xcnt 0x0
	v_add_nc_u64_e32 v[22:23] /*v[278:279]*/, v[128:129], v[6:7]
	v_add_nc_u64_e32 v[40:41] /*v[296:297]*/, v[130:131], v[6:7]
	s_set_vgpr_msb 0x45                     ;  msbs: dst=1 src0=1 src1=1 src2=0
	global_load_b64 v[20:21] /*v[276:277]*/, v[20:21] /*v[276:277]*/, off
	s_wait_dscnt 0x0
	v_fmac_f64_e32 v[6:7] /*v[262:263]*/, v[14:15] /*v[270:271]*/, v[18:19] /*v[274:275]*/
	s_set_vgpr_msb 0x44                     ;  msbs: dst=1 src0=0 src1=1 src2=0
	ds_bpermute_b32 v14 /*v270*/, v5, v8 /*v264*/ offset:76
	ds_bpermute_b32 v15 /*v271*/, v5, v9 /*v265*/ offset:76
	;; [unrolled: 1-line block ×4, first 2 shown]
	s_wait_loadcnt 0x16
	s_set_vgpr_msb 4                        ;  msbs: dst=0 src0=0 src1=1 src2=0
	v_add_f64_e32 v[2:3], v[2:3], v[44:45] /*v[300:301]*/
	s_set_vgpr_msb 0x45                     ;  msbs: dst=1 src0=1 src1=1 src2=0
	v_mul_f64_e32 v[12:13] /*v[268:269]*/, v[44:45] /*v[300:301]*/, v[12:13] /*v[268:269]*/
	s_wait_loadcnt_dscnt 0x1502
	v_add_f64_e64 v[14:15] /*v[270:271]*/, v[46:47] /*v[302:303]*/, -v[14:15] /*v[270:271]*/
	s_set_vgpr_msb 64                       ;  msbs: dst=1 src0=0 src1=0 src2=0
	v_add_nc_u64_e32 v[44:45] /*v[300:301]*/, v[132:133], v[6:7]
	s_wait_dscnt 0x0
	s_set_vgpr_msb 0x45                     ;  msbs: dst=1 src0=1 src1=1 src2=0
	v_fmac_f64_e32 v[6:7] /*v[262:263]*/, v[16:17] /*v[272:273]*/, v[18:19] /*v[274:275]*/
	s_set_vgpr_msb 0x44                     ;  msbs: dst=1 src0=0 src1=1 src2=0
	ds_bpermute_b32 v16 /*v272*/, v5, v8 /*v264*/ offset:80
	ds_bpermute_b32 v17 /*v273*/, v5, v9 /*v265*/ offset:80
	;; [unrolled: 1-line block ×4, first 2 shown]
	s_wait_loadcnt 0x14
	s_set_vgpr_msb 4                        ;  msbs: dst=0 src0=0 src1=1 src2=0
	v_add_f64_e32 v[2:3], v[2:3], v[48:49] /*v[304:305]*/
	s_wait_loadcnt_dscnt 0x1302
	s_set_vgpr_msb 0x45                     ;  msbs: dst=1 src0=1 src1=1 src2=0
	v_add_f64_e64 v[16:17] /*v[272:273]*/, v[50:51] /*v[306:307]*/, -v[16:17] /*v[272:273]*/
	v_mul_f64_e32 v[14:15] /*v[270:271]*/, v[48:49] /*v[304:305]*/, v[14:15] /*v[270:271]*/
	s_wait_dscnt 0x0
	v_fmac_f64_e32 v[6:7] /*v[262:263]*/, v[12:13] /*v[268:269]*/, v[18:19] /*v[274:275]*/
	global_load_b64 v[12:13] /*v[268:269]*/, v[22:23] /*v[278:279]*/, off
	s_set_vgpr_msb 0x44                     ;  msbs: dst=1 src0=0 src1=1 src2=0
	ds_bpermute_b32 v18 /*v274*/, v5, v8 /*v264*/ offset:84
	ds_bpermute_b32 v19 /*v275*/, v5, v9 /*v265*/ offset:84
	s_wait_xcnt 0x0
	ds_bpermute_b32 v22 /*v278*/, v5, v10 /*v266*/ offset:76
	ds_bpermute_b32 v23 /*v279*/, v5, v11 /*v267*/ offset:76
	s_wait_loadcnt 0x13
	s_set_vgpr_msb 4                        ;  msbs: dst=0 src0=0 src1=1 src2=0
	v_add_f64_e32 v[2:3], v[2:3], v[52:53] /*v[308:309]*/
	s_set_vgpr_msb 0x45                     ;  msbs: dst=1 src0=1 src1=1 src2=0
	v_mul_f64_e32 v[16:17] /*v[272:273]*/, v[52:53] /*v[308:309]*/, v[16:17] /*v[272:273]*/
	s_wait_loadcnt_dscnt 0x1202
	v_add_f64_e64 v[18:19] /*v[274:275]*/, v[56:57] /*v[312:313]*/, -v[18:19] /*v[274:275]*/
	s_wait_dscnt 0x0
	v_fmac_f64_e32 v[6:7] /*v[262:263]*/, v[14:15] /*v[270:271]*/, v[22:23] /*v[278:279]*/
	global_load_b64 v[14:15] /*v[270:271]*/, v[30:31] /*v[286:287]*/, off
	s_set_vgpr_msb 0x44                     ;  msbs: dst=1 src0=0 src1=1 src2=0
	ds_bpermute_b32 v22 /*v278*/, v5, v8 /*v264*/ offset:88
	ds_bpermute_b32 v23 /*v279*/, v5, v9 /*v265*/ offset:88
	s_wait_xcnt 0x0
	ds_bpermute_b32 v30 /*v286*/, v5, v10 /*v266*/ offset:80
	ds_bpermute_b32 v31 /*v287*/, v5, v11 /*v267*/ offset:80
	s_wait_loadcnt 0x12
	s_set_vgpr_msb 4                        ;  msbs: dst=0 src0=0 src1=1 src2=0
	v_add_f64_e32 v[2:3], v[2:3], v[58:59] /*v[314:315]*/
	s_wait_loadcnt_dscnt 0x1102
	s_set_vgpr_msb 0x45                     ;  msbs: dst=1 src0=1 src1=1 src2=0
	v_add_f64_e64 v[22:23] /*v[278:279]*/, v[62:63] /*v[318:319]*/, -v[22:23] /*v[278:279]*/
	v_mul_f64_e32 v[18:19] /*v[274:275]*/, v[58:59] /*v[314:315]*/, v[18:19] /*v[274:275]*/
	s_wait_dscnt 0x0
	v_fmac_f64_e32 v[6:7] /*v[262:263]*/, v[16:17] /*v[272:273]*/, v[30:31] /*v[286:287]*/
	s_set_vgpr_msb 0x44                     ;  msbs: dst=1 src0=0 src1=1 src2=0
	ds_bpermute_b32 v16 /*v272*/, v5, v8 /*v264*/ offset:92
	ds_bpermute_b32 v17 /*v273*/, v5, v9 /*v265*/ offset:92
	;; [unrolled: 1-line block ×4, first 2 shown]
	s_wait_loadcnt 0x10
	s_set_vgpr_msb 4                        ;  msbs: dst=0 src0=0 src1=1 src2=0
	v_add_f64_e32 v[2:3], v[2:3], v[60:61] /*v[316:317]*/
	s_wait_loadcnt_dscnt 0xf02
	s_set_vgpr_msb 0x45                     ;  msbs: dst=1 src0=1 src1=1 src2=0
	v_add_f64_e64 v[16:17] /*v[272:273]*/, v[68:69] /*v[324:325]*/, -v[16:17] /*v[272:273]*/
	v_mul_f64_e32 v[22:23] /*v[278:279]*/, v[60:61] /*v[316:317]*/, v[22:23] /*v[278:279]*/
	s_wait_dscnt 0x0
	v_fmac_f64_e32 v[6:7] /*v[262:263]*/, v[18:19] /*v[274:275]*/, v[30:31] /*v[286:287]*/
	global_load_b64 v[18:19] /*v[274:275]*/, v[40:41] /*v[296:297]*/, off
	global_load_b64 v[30:31] /*v[286:287]*/, v[44:45] /*v[300:301]*/, off
	s_wait_xcnt 0x1
	s_set_vgpr_msb 0x44                     ;  msbs: dst=1 src0=0 src1=1 src2=0
	ds_bpermute_b32 v40 /*v296*/, v5, v8 /*v264*/ offset:96
	ds_bpermute_b32 v41 /*v297*/, v5, v9 /*v265*/ offset:96
	s_wait_xcnt 0x0
	ds_bpermute_b32 v44 /*v300*/, v5, v10 /*v266*/ offset:88
	ds_bpermute_b32 v45 /*v301*/, v5, v11 /*v267*/ offset:88
	s_wait_loadcnt 0x10
	s_set_vgpr_msb 4                        ;  msbs: dst=0 src0=0 src1=1 src2=0
	v_add_f64_e32 v[2:3], v[2:3], v[64:65] /*v[320:321]*/
	s_set_vgpr_msb 0x45                     ;  msbs: dst=1 src0=1 src1=1 src2=0
	v_mul_f64_e32 v[16:17] /*v[272:273]*/, v[64:65] /*v[320:321]*/, v[16:17] /*v[272:273]*/
	s_wait_loadcnt_dscnt 0xf02
	v_add_f64_e64 v[40:41] /*v[296:297]*/, v[66:67] /*v[322:323]*/, -v[40:41] /*v[296:297]*/
	s_wait_dscnt 0x0
	v_fmac_f64_e32 v[6:7] /*v[262:263]*/, v[22:23] /*v[278:279]*/, v[44:45] /*v[300:301]*/
	s_set_vgpr_msb 0x44                     ;  msbs: dst=1 src0=0 src1=1 src2=0
	ds_bpermute_b32 v22 /*v278*/, v5, v8 /*v264*/ offset:100
	ds_bpermute_b32 v23 /*v279*/, v5, v9 /*v265*/ offset:100
	;; [unrolled: 1-line block ×4, first 2 shown]
	s_wait_loadcnt 0xe
	s_set_vgpr_msb 4                        ;  msbs: dst=0 src0=0 src1=1 src2=0
	v_add_f64_e32 v[2:3], v[2:3], v[26:27] /*v[282:283]*/
	s_wait_loadcnt_dscnt 0xd02
	s_set_vgpr_msb 0x45                     ;  msbs: dst=1 src0=1 src1=1 src2=0
	v_add_f64_e64 v[22:23] /*v[278:279]*/, v[54:55] /*v[310:311]*/, -v[22:23] /*v[278:279]*/
	v_mul_f64_e32 v[40:41] /*v[296:297]*/, v[26:27] /*v[282:283]*/, v[40:41] /*v[296:297]*/
	s_set_vgpr_msb 0x44                     ;  msbs: dst=1 src0=0 src1=1 src2=0
	ds_bpermute_b32 v26 /*v282*/, v5, v8 /*v264*/ offset:108
	ds_bpermute_b32 v27 /*v283*/, v5, v9 /*v265*/ offset:108
	s_wait_dscnt 0x2
	s_set_vgpr_msb 0x45                     ;  msbs: dst=1 src0=1 src1=1 src2=0
	v_fmac_f64_e32 v[6:7] /*v[262:263]*/, v[16:17] /*v[272:273]*/, v[44:45] /*v[300:301]*/
	s_set_vgpr_msb 0x44                     ;  msbs: dst=1 src0=0 src1=1 src2=0
	ds_bpermute_b32 v16 /*v272*/, v5, v8 /*v264*/ offset:104
	ds_bpermute_b32 v17 /*v273*/, v5, v9 /*v265*/ offset:104
	ds_bpermute_b32 v44 /*v300*/, v5, v10 /*v266*/ offset:96
	ds_bpermute_b32 v45 /*v301*/, v5, v11 /*v267*/ offset:96
	s_wait_loadcnt 0xc
	s_set_vgpr_msb 4                        ;  msbs: dst=0 src0=0 src1=1 src2=0
	v_add_f64_e32 v[2:3], v[2:3], v[24:25] /*v[280:281]*/
	s_wait_loadcnt_dscnt 0xb02
	s_set_vgpr_msb 0x45                     ;  msbs: dst=1 src0=1 src1=1 src2=0
	v_add_f64_e64 v[16:17] /*v[272:273]*/, v[70:71] /*v[326:327]*/, -v[16:17] /*v[272:273]*/
	v_mul_f64_e32 v[22:23] /*v[278:279]*/, v[24:25] /*v[280:281]*/, v[22:23] /*v[278:279]*/
	s_wait_loadcnt 0x9
	v_add_f64_e64 v[26:27] /*v[282:283]*/, v[34:35] /*v[290:291]*/, -v[26:27] /*v[282:283]*/
	s_set_vgpr_msb 0x44                     ;  msbs: dst=1 src0=0 src1=1 src2=0
	ds_bpermute_b32 v24 /*v280*/, v5, v10 /*v266*/ offset:104
	ds_bpermute_b32 v25 /*v281*/, v5, v11 /*v267*/ offset:104
	s_wait_dscnt 0x2
	s_set_vgpr_msb 0x45                     ;  msbs: dst=1 src0=1 src1=1 src2=0
	v_fmac_f64_e32 v[6:7] /*v[262:263]*/, v[40:41] /*v[296:297]*/, v[44:45] /*v[300:301]*/
	s_set_vgpr_msb 0x44                     ;  msbs: dst=1 src0=0 src1=1 src2=0
	ds_bpermute_b32 v40 /*v296*/, v5, v10 /*v266*/ offset:100
	ds_bpermute_b32 v41 /*v297*/, v5, v11 /*v267*/ offset:100
	s_set_vgpr_msb 4                        ;  msbs: dst=0 src0=0 src1=1 src2=0
	v_add_f64_e32 v[2:3], v[2:3], v[28:29] /*v[284:285]*/
	s_set_vgpr_msb 0x45                     ;  msbs: dst=1 src0=1 src1=1 src2=0
	v_mul_f64_e32 v[16:17] /*v[272:273]*/, v[28:29] /*v[284:285]*/, v[16:17] /*v[272:273]*/
	s_wait_loadcnt 0x8
	v_mul_f64_e32 v[26:27] /*v[282:283]*/, v[32:33] /*v[288:289]*/, v[26:27] /*v[282:283]*/
	s_wait_dscnt 0x0
	v_fmac_f64_e32 v[6:7] /*v[262:263]*/, v[22:23] /*v[278:279]*/, v[40:41] /*v[296:297]*/
	s_set_vgpr_msb 0x44                     ;  msbs: dst=1 src0=0 src1=1 src2=0
	ds_bpermute_b32 v22 /*v278*/, v5, v8 /*v264*/ offset:112
	ds_bpermute_b32 v23 /*v279*/, v5, v9 /*v265*/ offset:112
	s_set_vgpr_msb 4                        ;  msbs: dst=0 src0=0 src1=1 src2=0
	v_add_f64_e32 v[2:3], v[2:3], v[32:33] /*v[288:289]*/
	s_wait_loadcnt_dscnt 0x700
	s_set_vgpr_msb 0x45                     ;  msbs: dst=1 src0=1 src1=1 src2=0
	v_add_f64_e64 v[22:23] /*v[278:279]*/, v[38:39] /*v[294:295]*/, -v[22:23] /*v[278:279]*/
	v_fmac_f64_e32 v[6:7] /*v[262:263]*/, v[16:17] /*v[272:273]*/, v[24:25] /*v[280:281]*/
	s_set_vgpr_msb 0x44                     ;  msbs: dst=1 src0=0 src1=1 src2=0
	ds_bpermute_b32 v16 /*v272*/, v5, v8 /*v264*/ offset:116
	ds_bpermute_b32 v17 /*v273*/, v5, v9 /*v265*/ offset:116
	;; [unrolled: 1-line block ×4, first 2 shown]
	s_wait_loadcnt 0x6
	s_set_vgpr_msb 4                        ;  msbs: dst=0 src0=0 src1=1 src2=0
	v_add_f64_e32 v[2:3], v[2:3], v[36:37] /*v[292:293]*/
	s_wait_loadcnt_dscnt 0x502
	s_set_vgpr_msb 0x45                     ;  msbs: dst=1 src0=1 src1=1 src2=0
	v_add_f64_e64 v[16:17] /*v[272:273]*/, v[42:43] /*v[298:299]*/, -v[16:17] /*v[272:273]*/
	v_mul_f64_e32 v[22:23] /*v[278:279]*/, v[36:37] /*v[292:293]*/, v[22:23] /*v[278:279]*/
	s_wait_dscnt 0x0
	v_fmac_f64_e32 v[6:7] /*v[262:263]*/, v[26:27] /*v[282:283]*/, v[24:25] /*v[280:281]*/
	s_set_vgpr_msb 0x44                     ;  msbs: dst=1 src0=0 src1=1 src2=0
	ds_bpermute_b32 v24 /*v280*/, v5, v10 /*v266*/ offset:112
	ds_bpermute_b32 v25 /*v281*/, v5, v11 /*v267*/ offset:112
	;; [unrolled: 1-line block ×4, first 2 shown]
	s_wait_loadcnt 0x4
	s_set_vgpr_msb 4                        ;  msbs: dst=0 src0=0 src1=1 src2=0
	v_add_f64_e32 v[2:3], v[2:3], v[20:21] /*v[276:277]*/
	s_set_vgpr_msb 0x45                     ;  msbs: dst=1 src0=1 src1=1 src2=0
	v_mul_f64_e32 v[16:17] /*v[272:273]*/, v[20:21] /*v[276:277]*/, v[16:17] /*v[272:273]*/
	s_wait_dscnt 0x2
	v_fmac_f64_e32 v[6:7] /*v[262:263]*/, v[22:23] /*v[278:279]*/, v[24:25] /*v[280:281]*/
	s_wait_loadcnt_dscnt 0x300
	v_add_f64_e64 v[12:13] /*v[268:269]*/, v[12:13] /*v[268:269]*/, -v[26:27] /*v[282:283]*/
	s_set_vgpr_msb 0x44                     ;  msbs: dst=1 src0=0 src1=1 src2=0
	ds_bpermute_b32 v22 /*v278*/, v5, v10 /*v266*/ offset:116
	ds_bpermute_b32 v23 /*v279*/, v5, v11 /*v267*/ offset:116
	s_wait_dscnt 0x0
	s_set_vgpr_msb 0x45                     ;  msbs: dst=1 src0=1 src1=1 src2=0
	v_fmac_f64_e32 v[6:7] /*v[262:263]*/, v[16:17] /*v[272:273]*/, v[22:23] /*v[278:279]*/
	s_wait_loadcnt 0x2
	v_mul_f64_e32 v[12:13] /*v[268:269]*/, v[14:15] /*v[270:271]*/, v[12:13] /*v[268:269]*/
	s_set_vgpr_msb 0x44                     ;  msbs: dst=1 src0=0 src1=1 src2=0
	ds_bpermute_b32 v16 /*v272*/, v5, v10 /*v266*/ offset:120
	ds_bpermute_b32 v17 /*v273*/, v5, v11 /*v267*/ offset:120
	s_wait_dscnt 0x0
	s_set_vgpr_msb 0x45                     ;  msbs: dst=1 src0=1 src1=1 src2=0
	v_fmac_f64_e32 v[6:7] /*v[262:263]*/, v[12:13] /*v[268:269]*/, v[16:17] /*v[272:273]*/
	s_set_vgpr_msb 0x44                     ;  msbs: dst=1 src0=0 src1=1 src2=0
	v_add_f64_e32 v[16:17] /*v[272:273]*/, v[2:3], v[14:15] /*v[270:271]*/
	ds_bpermute_b32 v14 /*v270*/, v5, v10 /*v266*/ offset:124
	ds_bpermute_b32 v15 /*v271*/, v5, v11 /*v267*/ offset:124
	;; [unrolled: 1-line block ×4, first 2 shown]
	s_set_vgpr_msb 0x41                     ;  msbs: dst=1 src0=1 src1=0 src2=0
	v_mov_b64_e32 v[8:9] /*v[264:265]*/, v[6:7] /*v[262:263]*/
.LBB28_217:                             ;   in Loop: Header=BB28_145 Depth=1
	s_wait_loadcnt_dscnt 0x0
	s_set_vgpr_msb 0x45                     ;  msbs: dst=1 src0=1 src1=1 src2=0
	v_add_f64_e64 v[6:7] /*v[262:263]*/, v[30:31] /*v[286:287]*/, -v[12:13] /*v[268:269]*/
	s_set_vgpr_msb 5                        ;  msbs: dst=0 src0=1 src1=1 src2=0
	s_delay_alu instid0(VALU_DEP_3)
	v_add_f64_e32 v[2:3], v[16:17] /*v[272:273]*/, v[18:19] /*v[274:275]*/
	s_add_nc_u64 s[24:25], s[24:25], s[20:21]
	s_set_vgpr_msb 0                        ;  msbs: dst=0 src0=0 src1=0 src2=0
	v_add_nc_u64_e32 v[134:135], s[10:11], v[134:135]
	v_cmp_ge_i64_e64 s2, s[24:25], s[4:5]
	v_add_nc_u64_e32 v[136:137], s[10:11], v[136:137]
	v_add_nc_u64_e32 v[8:9], s[10:11], v[8:9]
	v_add_nc_u64_e32 v[10:11], s[10:11], v[10:11]
	v_add_nc_u64_e32 v[12:13], s[10:11], v[12:13]
	v_add_nc_u64_e32 v[14:15], s[10:11], v[14:15]
	v_add_nc_u64_e32 v[16:17], s[10:11], v[16:17]
	v_add_nc_u64_e32 v[18:19], s[10:11], v[18:19]
	v_add_nc_u64_e32 v[20:21], s[10:11], v[20:21]
	v_add_nc_u64_e32 v[22:23], s[10:11], v[22:23]
	v_add_nc_u64_e32 v[32:33], s[10:11], v[32:33]
	v_add_nc_u64_e32 v[42:43], s[10:11], v[42:43]
	v_add_nc_u64_e32 v[46:47], s[10:11], v[46:47]
	v_add_nc_u64_e32 v[52:53], s[10:11], v[52:53]
	v_add_nc_u64_e32 v[56:57], s[10:11], v[56:57]
	v_add_nc_u64_e32 v[60:61], s[10:11], v[60:61]
	v_add_nc_u64_e32 v[64:65], s[10:11], v[64:65]
	v_add_nc_u64_e32 v[68:69], s[10:11], v[68:69]
	v_add_nc_u64_e32 v[72:73], s[10:11], v[72:73]
	v_add_nc_u64_e32 v[76:77], s[10:11], v[76:77]
	v_add_nc_u64_e32 v[80:81], s[10:11], v[80:81]
	v_add_nc_u64_e32 v[84:85], s[10:11], v[84:85]
	v_add_nc_u64_e32 v[88:89], s[10:11], v[88:89]
	v_add_nc_u64_e32 v[92:93], s[10:11], v[92:93]
	v_add_nc_u64_e32 v[96:97], s[10:11], v[96:97]
	v_add_nc_u64_e32 v[100:101], s[10:11], v[100:101]
	v_add_nc_u64_e32 v[104:105], s[10:11], v[104:105]
	v_add_nc_u64_e32 v[108:109], s[10:11], v[108:109]
	s_set_vgpr_msb 0x45                     ;  msbs: dst=1 src0=1 src1=1 src2=0
	v_mul_f64_e32 v[6:7] /*v[262:263]*/, v[18:19] /*v[274:275]*/, v[6:7] /*v[262:263]*/
	s_set_vgpr_msb 0                        ;  msbs: dst=0 src0=0 src1=0 src2=0
	v_add_nc_u64_e32 v[114:115], s[10:11], v[114:115]
	v_add_nc_u64_e32 v[118:119], s[10:11], v[118:119]
	v_add_nc_u64_e32 v[122:123], s[10:11], v[122:123]
	v_add_nc_u64_e32 v[126:127], s[10:11], v[126:127]
	v_add_nc_u64_e32 v[130:131], s[10:11], v[130:131]
	v_add_nc_u64_e32 v[24:25], s[10:11], v[24:25]
	v_add_nc_u64_e32 v[26:27], s[10:11], v[26:27]
	v_add_nc_u64_e32 v[28:29], s[10:11], v[28:29]
	v_add_nc_u64_e32 v[30:31], s[10:11], v[30:31]
	v_add_nc_u64_e32 v[34:35], s[10:11], v[34:35]
	v_add_nc_u64_e32 v[36:37], s[10:11], v[36:37]
	v_add_nc_u64_e32 v[38:39], s[10:11], v[38:39]
	v_add_nc_u64_e32 v[40:41], s[10:11], v[40:41]
	v_add_nc_u64_e32 v[44:45], s[10:11], v[44:45]
	v_add_nc_u64_e32 v[48:49], s[10:11], v[48:49]
	v_add_nc_u64_e32 v[50:51], s[10:11], v[50:51]
	v_add_nc_u64_e32 v[54:55], s[10:11], v[54:55]
	v_add_nc_u64_e32 v[58:59], s[10:11], v[58:59]
	v_add_nc_u64_e32 v[62:63], s[10:11], v[62:63]
	v_add_nc_u64_e32 v[66:67], s[10:11], v[66:67]
	v_add_nc_u64_e32 v[70:71], s[10:11], v[70:71]
	v_add_nc_u64_e32 v[74:75], s[10:11], v[74:75]
	v_add_nc_u64_e32 v[78:79], s[10:11], v[78:79]
	v_add_nc_u64_e32 v[82:83], s[10:11], v[82:83]
	v_add_nc_u64_e32 v[86:87], s[10:11], v[86:87]
	v_add_nc_u64_e32 v[90:91], s[10:11], v[90:91]
	v_add_nc_u64_e32 v[94:95], s[10:11], v[94:95]
	v_add_nc_u64_e32 v[98:99], s[10:11], v[98:99]
	v_add_nc_u64_e32 v[102:103], s[10:11], v[102:103]
	v_add_nc_u64_e32 v[106:107], s[10:11], v[106:107]
	v_add_nc_u64_e32 v[110:111], s[10:11], v[110:111]
	s_set_vgpr_msb 0x45                     ;  msbs: dst=1 src0=1 src1=1 src2=0
	v_fmac_f64_e32 v[8:9] /*v[264:265]*/, v[6:7] /*v[262:263]*/, v[14:15] /*v[270:271]*/
	s_set_vgpr_msb 0                        ;  msbs: dst=0 src0=0 src1=0 src2=0
	v_add_nc_u64_e32 v[116:117], s[10:11], v[116:117]
	v_add_nc_u64_e32 v[120:121], s[10:11], v[120:121]
	;; [unrolled: 1-line block ×65, first 2 shown]
	s_set_vgpr_msb 0x44                     ;  msbs: dst=1 src0=0 src1=1 src2=0
	v_add_nc_u64_e32 v[0:1] /*v[256:257]*/, s[10:11], v[0:1] /*v[256:257]*/
	v_add_nc_u64_e32 v[2:3] /*v[258:259]*/, s[10:11], v[2:3] /*v[258:259]*/
	;; [unrolled: 1-line block ×3, first 2 shown]
	s_and_b32 vcc_lo, exec_lo, s2
	s_add_nc_u64 s[22:23], s[22:23], s[20:21]
	s_set_vgpr_msb 0                        ;  msbs: dst=0 src0=0 src1=0 src2=0
	s_cbranch_vccnz .LBB28_219
; %bb.218:                              ;   in Loop: Header=BB28_145 Depth=1
	s_set_vgpr_msb 0x41                     ;  msbs: dst=1 src0=1 src1=0 src2=0
	v_mov_b64_e32 v[6:7] /*v[262:263]*/, v[8:9] /*v[264:265]*/
	s_set_vgpr_msb 0                        ;  msbs: dst=0 src0=0 src1=0 src2=0
	s_branch .LBB28_145
.LBB28_219:
	s_mov_b32 s17, 0
	s_delay_alu instid0(SALU_CYCLE_1) | instskip(NEXT) | instid1(SALU_CYCLE_1)
	s_lshl_b64 s[2:3], s[16:17], 6
	v_and_or_b32 v4, 0x3ff, v0, s2
	v_mov_b32_e32 v5, s3
	s_mov_b32 s2, exec_lo
	s_delay_alu instid0(VALU_DEP_1)
	v_cmpx_gt_i64_e64 s[6:7], v[4:5]
	s_cbranch_execz .LBB28_224
; %bb.220:
	s_load_u16 s2, s[0:1], 0x4e
	v_bfe_u32 v0, v0, 10, 10
	v_mov_b32_e32 v1, 0
	s_wait_kmcnt 0x0
	s_delay_alu instid0(VALU_DEP_1) | instskip(SKIP_1) | instid1(VALU_DEP_1)
	v_mad_nc_u64_u32 v[0:1], s2, s33, v[0:1]
	s_load_b128 s[0:3], s[0:1], 0x30
	v_mul_u64_e32 v[0:1], s[6:7], v[0:1]
	s_wait_kmcnt 0x0
	s_cmp_eq_u64 s[0:1], 0
	s_cbranch_scc1 .LBB28_222
; %bb.221:
	s_delay_alu instid0(VALU_DEP_1) | instskip(NEXT) | instid1(VALU_DEP_1)
	v_lshl_add_u64 v[6:7], v[0:1], 3, s[0:1]
	v_lshl_add_u64 v[6:7], v[4:5], 3, v[6:7]
	s_set_vgpr_msb 4                        ;  msbs: dst=0 src0=0 src1=1 src2=0
	global_store_b64 v[6:7], v[8:9] /*v[264:265]*/, off
.LBB28_222:
	s_cmp_eq_u64 s[2:3], 0
	s_set_vgpr_msb 0                        ;  msbs: dst=0 src0=0 src1=0 src2=0
	s_cbranch_scc1 .LBB28_224
; %bb.223:
	s_delay_alu instid0(VALU_DEP_1) | instskip(NEXT) | instid1(VALU_DEP_1)
	v_lshl_add_u64 v[0:1], v[0:1], 3, s[2:3]
	v_lshl_add_u64 v[0:1], v[4:5], 3, v[0:1]
	global_store_b64 v[0:1], v[2:3], off
.LBB28_224:
	s_sendmsg sendmsg(MSG_DEALLOC_VGPRS)
	s_endpgm
	.section	.rodata,"a",@progbits
	.p2align	6, 0x0
	.amdhsa_kernel _ZN2at6native12_GLOBAL__N_135GammaBetaBackwardCUDAKernelTemplateIddLj64ELj1ELj32ELb1ELb0ELb0EEEvllPKT_S5_PKT0_S8_PS3_S9_
		.amdhsa_group_segment_fixed_size 0
		.amdhsa_private_segment_fixed_size 0
		.amdhsa_kernarg_size 320
		.amdhsa_user_sgpr_count 2
		.amdhsa_user_sgpr_dispatch_ptr 0
		.amdhsa_user_sgpr_queue_ptr 0
		.amdhsa_user_sgpr_kernarg_segment_ptr 1
		.amdhsa_user_sgpr_dispatch_id 0
		.amdhsa_user_sgpr_kernarg_preload_length 0
		.amdhsa_user_sgpr_kernarg_preload_offset 0
		.amdhsa_user_sgpr_private_segment_size 0
		.amdhsa_wavefront_size32 1
		.amdhsa_uses_dynamic_stack 0
		.amdhsa_enable_private_segment 0
		.amdhsa_system_sgpr_workgroup_id_x 1
		.amdhsa_system_sgpr_workgroup_id_y 1
		.amdhsa_system_sgpr_workgroup_id_z 0
		.amdhsa_system_sgpr_workgroup_info 0
		.amdhsa_system_vgpr_workitem_id 1
		.amdhsa_next_free_vgpr 404
		.amdhsa_next_free_sgpr 36
		.amdhsa_named_barrier_count 0
		.amdhsa_reserve_vcc 1
		.amdhsa_float_round_mode_32 0
		.amdhsa_float_round_mode_16_64 0
		.amdhsa_float_denorm_mode_32 3
		.amdhsa_float_denorm_mode_16_64 3
		.amdhsa_fp16_overflow 0
		.amdhsa_memory_ordered 1
		.amdhsa_forward_progress 1
		.amdhsa_inst_pref_size 179
		.amdhsa_round_robin_scheduling 0
		.amdhsa_exception_fp_ieee_invalid_op 0
		.amdhsa_exception_fp_denorm_src 0
		.amdhsa_exception_fp_ieee_div_zero 0
		.amdhsa_exception_fp_ieee_overflow 0
		.amdhsa_exception_fp_ieee_underflow 0
		.amdhsa_exception_fp_ieee_inexact 0
		.amdhsa_exception_int_div_zero 0
	.end_amdhsa_kernel
	.section	.text._ZN2at6native12_GLOBAL__N_135GammaBetaBackwardCUDAKernelTemplateIddLj64ELj1ELj32ELb1ELb0ELb0EEEvllPKT_S5_PKT0_S8_PS3_S9_,"axG",@progbits,_ZN2at6native12_GLOBAL__N_135GammaBetaBackwardCUDAKernelTemplateIddLj64ELj1ELj32ELb1ELb0ELb0EEEvllPKT_S5_PKT0_S8_PS3_S9_,comdat
.Lfunc_end28:
	.size	_ZN2at6native12_GLOBAL__N_135GammaBetaBackwardCUDAKernelTemplateIddLj64ELj1ELj32ELb1ELb0ELb0EEEvllPKT_S5_PKT0_S8_PS3_S9_, .Lfunc_end28-_ZN2at6native12_GLOBAL__N_135GammaBetaBackwardCUDAKernelTemplateIddLj64ELj1ELj32ELb1ELb0ELb0EEEvllPKT_S5_PKT0_S8_PS3_S9_
                                        ; -- End function
	.set _ZN2at6native12_GLOBAL__N_135GammaBetaBackwardCUDAKernelTemplateIddLj64ELj1ELj32ELb1ELb0ELb0EEEvllPKT_S5_PKT0_S8_PS3_S9_.num_vgpr, 404
	.set _ZN2at6native12_GLOBAL__N_135GammaBetaBackwardCUDAKernelTemplateIddLj64ELj1ELj32ELb1ELb0ELb0EEEvllPKT_S5_PKT0_S8_PS3_S9_.num_agpr, 0
	.set _ZN2at6native12_GLOBAL__N_135GammaBetaBackwardCUDAKernelTemplateIddLj64ELj1ELj32ELb1ELb0ELb0EEEvllPKT_S5_PKT0_S8_PS3_S9_.numbered_sgpr, 36
	.set _ZN2at6native12_GLOBAL__N_135GammaBetaBackwardCUDAKernelTemplateIddLj64ELj1ELj32ELb1ELb0ELb0EEEvllPKT_S5_PKT0_S8_PS3_S9_.num_named_barrier, 0
	.set _ZN2at6native12_GLOBAL__N_135GammaBetaBackwardCUDAKernelTemplateIddLj64ELj1ELj32ELb1ELb0ELb0EEEvllPKT_S5_PKT0_S8_PS3_S9_.private_seg_size, 0
	.set _ZN2at6native12_GLOBAL__N_135GammaBetaBackwardCUDAKernelTemplateIddLj64ELj1ELj32ELb1ELb0ELb0EEEvllPKT_S5_PKT0_S8_PS3_S9_.uses_vcc, 1
	.set _ZN2at6native12_GLOBAL__N_135GammaBetaBackwardCUDAKernelTemplateIddLj64ELj1ELj32ELb1ELb0ELb0EEEvllPKT_S5_PKT0_S8_PS3_S9_.uses_flat_scratch, 0
	.set _ZN2at6native12_GLOBAL__N_135GammaBetaBackwardCUDAKernelTemplateIddLj64ELj1ELj32ELb1ELb0ELb0EEEvllPKT_S5_PKT0_S8_PS3_S9_.has_dyn_sized_stack, 0
	.set _ZN2at6native12_GLOBAL__N_135GammaBetaBackwardCUDAKernelTemplateIddLj64ELj1ELj32ELb1ELb0ELb0EEEvllPKT_S5_PKT0_S8_PS3_S9_.has_recursion, 0
	.set _ZN2at6native12_GLOBAL__N_135GammaBetaBackwardCUDAKernelTemplateIddLj64ELj1ELj32ELb1ELb0ELb0EEEvllPKT_S5_PKT0_S8_PS3_S9_.has_indirect_call, 0
	.section	.AMDGPU.csdata,"",@progbits
; Kernel info:
; codeLenInByte = 22816
; TotalNumSgprs: 38
; NumVgprs: 404
; ScratchSize: 0
; MemoryBound: 0
; FloatMode: 240
; IeeeMode: 1
; LDSByteSize: 0 bytes/workgroup (compile time only)
; SGPRBlocks: 0
; VGPRBlocks: 25
; NumSGPRsForWavesPerEU: 38
; NumVGPRsForWavesPerEU: 404
; NamedBarCnt: 0
; Occupancy: 2
; WaveLimiterHint : 0
; COMPUTE_PGM_RSRC2:SCRATCH_EN: 0
; COMPUTE_PGM_RSRC2:USER_SGPR: 2
; COMPUTE_PGM_RSRC2:TRAP_HANDLER: 0
; COMPUTE_PGM_RSRC2:TGID_X_EN: 1
; COMPUTE_PGM_RSRC2:TGID_Y_EN: 1
; COMPUTE_PGM_RSRC2:TGID_Z_EN: 0
; COMPUTE_PGM_RSRC2:TIDIG_COMP_CNT: 1
	.section	.text._ZN2at6native12_GLOBAL__N_135GammaBetaBackwardCUDAKernelTemplateIddLj64ELj1ELj8ELb1ELb1ELb0EEEvllPKT_S5_PKT0_S8_PS3_S9_,"axG",@progbits,_ZN2at6native12_GLOBAL__N_135GammaBetaBackwardCUDAKernelTemplateIddLj64ELj1ELj8ELb1ELb1ELb0EEEvllPKT_S5_PKT0_S8_PS3_S9_,comdat
	.globl	_ZN2at6native12_GLOBAL__N_135GammaBetaBackwardCUDAKernelTemplateIddLj64ELj1ELj8ELb1ELb1ELb0EEEvllPKT_S5_PKT0_S8_PS3_S9_ ; -- Begin function _ZN2at6native12_GLOBAL__N_135GammaBetaBackwardCUDAKernelTemplateIddLj64ELj1ELj8ELb1ELb1ELb0EEEvllPKT_S5_PKT0_S8_PS3_S9_
	.p2align	8
	.type	_ZN2at6native12_GLOBAL__N_135GammaBetaBackwardCUDAKernelTemplateIddLj64ELj1ELj8ELb1ELb1ELb0EEEvllPKT_S5_PKT0_S8_PS3_S9_,@function
_ZN2at6native12_GLOBAL__N_135GammaBetaBackwardCUDAKernelTemplateIddLj64ELj1ELj8ELb1ELb1ELb0EEEvllPKT_S5_PKT0_S8_PS3_S9_: ; @_ZN2at6native12_GLOBAL__N_135GammaBetaBackwardCUDAKernelTemplateIddLj64ELj1ELj8ELb1ELb1ELb0EEEvllPKT_S5_PKT0_S8_PS3_S9_
; %bb.0:
	s_load_b128 s[12:15], s[0:1], 0x0
	s_bfe_u32 s3, ttmp6, 0x4000c
	s_bfe_u32 s4, ttmp6, 0x40010
	s_add_co_i32 s3, s3, 1
	s_add_co_i32 s4, s4, 1
	s_and_b32 s2, ttmp6, 15
	s_bfe_u32 s5, ttmp6, 0x40004
	s_mul_i32 s3, ttmp9, s3
	s_mul_i32 s4, ttmp7, s4
	s_getreg_b32 s6, hwreg(HW_REG_IB_STS2, 6, 4)
	s_add_co_i32 s2, s2, s3
	s_add_co_i32 s5, s5, s4
	s_cmp_eq_u32 s6, 0
	s_mov_b32 s19, 0
	s_cselect_b32 s17, ttmp7, s5
	s_cselect_b32 s16, ttmp9, s2
	s_lshl_b32 s18, s17, 3
	v_bfe_u32 v1, v0, 10, 10
	s_add_nc_u64 s[20:21], s[0:1], 64
	s_wait_kmcnt 0x0
	v_cmp_gt_i64_e64 s2, s[12:13], s[18:19]
	s_and_b32 vcc_lo, exec_lo, s2
	s_cbranch_vccnz .LBB29_2
; %bb.1:
	v_bfe_u32 v2, v0, 10, 10
	s_add_nc_u64 s[4:5], s[0:1], 64
	s_mov_b32 s2, s19
	s_branch .LBB29_3
.LBB29_2:
	s_mov_b32 s2, -1
                                        ; implicit-def: $sgpr4_sgpr5
                                        ; implicit-def: $vgpr2
.LBB29_3:
	v_mov_b64_e32 v[12:13], 0
	v_mov_b64_e32 v[4:5], 0
	v_and_b32_e32 v0, 0x3ff, v0
	s_and_not1_b32 vcc_lo, exec_lo, s2
	s_cbranch_vccnz .LBB29_11
; %bb.4:
	v_dual_mov_b32 v3, 0 :: v_dual_lshlrev_b32 v2, 3, v1
	s_clause 0x2
	s_load_b32 s2, s[0:1], 0x4c
	s_load_b32 s3, s[0:1], 0x44
	s_load_b256 s[4:11], s[0:1], 0x10
	v_mov_b32_e32 v19, 12
	v_lshl_add_u32 v8, s16, 6, v0
	v_add_nc_u64_e32 v[4:5], s[18:19], v[2:3]
	v_mov_b32_e32 v15, v3
	v_mov_b64_e32 v[12:13], 0
	s_mov_b32 s23, 0
	v_dual_mov_b32 v2, 8 :: v_dual_mov_b32 v18, 4
	v_dual_mov_b32 v20, 16 :: v_dual_mov_b32 v21, 20
	v_mul_u64_e32 v[10:11], s[14:15], v[4:5]
	v_dual_mov_b32 v22, 24 :: v_dual_mov_b32 v23, 28
	s_lshl_b64 s[28:29], s[14:15], 3
	v_mov_b32_e32 v9, v3
	s_wait_kmcnt 0x0
	s_and_b32 s2, s2, 0xffff
	s_lshl_b32 s22, s3, 3
	v_mad_u32_u24 v6, v1, s2, v0
	s_mul_u64 s[26:27], s[14:15], s[22:23]
	s_lshl_b64 s[24:25], s[22:23], 3
	s_lshl_b64 s[26:27], s[26:27], 3
	v_lshlrev_b64_e32 v[16:17], 3, v[8:9]
	v_and_b32_e32 v14, 31, v6
	s_delay_alu instid0(VALU_DEP_1) | instskip(SKIP_2) | instid1(VALU_DEP_3)
	v_add_nc_u64_e32 v[6:7], v[4:5], v[14:15]
	v_mov_b64_e32 v[4:5], 0
	v_cmp_gt_u32_e64 s2, 8, v14
	v_lshlrev_b64_e32 v[8:9], 3, v[6:7]
	v_lshl_add_u64 v[10:11], v[10:11], 3, v[16:17]
	s_branch .LBB29_7
.LBB29_5:                               ;   in Loop: Header=BB29_7 Depth=1
	s_wait_xcnt 0x0
	s_or_b32 exec_lo, exec_lo, s30
.LBB29_6:                               ;   in Loop: Header=BB29_7 Depth=1
	s_delay_alu instid0(SALU_CYCLE_1)
	s_or_b32 exec_lo, exec_lo, s3
	v_add_nc_u64_e32 v[24:25], s[6:7], v[10:11]
	v_add_nc_u64_e32 v[28:29], s[4:5], v[10:11]
	s_wait_loadcnt 0x0
	ds_bpermute_b32 v58, v3, v14
	ds_bpermute_b32 v59, v3, v15
	s_add_nc_u64 s[18:19], s[18:19], s[22:23]
	v_add_nc_u64_e32 v[8:9], s[24:25], v[8:9]
	v_cmp_lt_i64_e64 s3, s[18:19], s[12:13]
	global_load_b64 v[26:27], v[24:25], off
	s_wait_xcnt 0x0
	v_add_nc_u64_e32 v[24:25], s[28:29], v[24:25]
	v_add_nc_u64_e32 v[6:7], s[22:23], v[6:7]
	;; [unrolled: 1-line block ×3, first 2 shown]
	global_load_b64 v[30:31], v[24:25], off
	global_load_b64 v[32:33], v[28:29], off
	s_wait_xcnt 0x1
	v_add_nc_u64_e32 v[24:25], s[28:29], v[24:25]
	s_wait_xcnt 0x0
	v_add_nc_u64_e32 v[28:29], s[28:29], v[28:29]
	s_and_b32 vcc_lo, exec_lo, s3
	global_load_b64 v[34:35], v[24:25], off
	global_load_b64 v[36:37], v[28:29], off
	s_wait_xcnt 0x1
	v_add_nc_u64_e32 v[24:25], s[28:29], v[24:25]
	s_wait_xcnt 0x0
	v_add_nc_u64_e32 v[28:29], s[28:29], v[28:29]
	global_load_b64 v[38:39], v[24:25], off
	global_load_b64 v[40:41], v[28:29], off
	s_wait_xcnt 0x1
	v_add_nc_u64_e32 v[24:25], s[28:29], v[24:25]
	s_wait_xcnt 0x0
	v_add_nc_u64_e32 v[28:29], s[28:29], v[28:29]
	;; [unrolled: 6-line block ×5, first 2 shown]
	global_load_b64 v[54:55], v[24:25], off
	global_load_b64 v[56:57], v[28:29], off
	s_wait_xcnt 0x1
	v_add_nc_u64_e32 v[24:25], s[28:29], v[28:29]
	s_wait_xcnt 0x0
	ds_bpermute_b32 v28, v3, v16
	ds_bpermute_b32 v29, v3, v17
	global_load_b64 v[24:25], v[24:25], off
	s_wait_loadcnt_dscnt 0xf00
	v_add_f64_e64 v[26:27], v[26:27], -v[28:29]
	ds_bpermute_b32 v28, v18, v16
	ds_bpermute_b32 v29, v18, v17
	s_wait_loadcnt 0xd
	v_add_f64_e32 v[12:13], v[12:13], v[32:33]
	s_wait_dscnt 0x0
	v_add_f64_e64 v[28:29], v[30:31], -v[28:29]
	ds_bpermute_b32 v30, v2, v16
	ds_bpermute_b32 v31, v2, v17
	v_mul_f64_e32 v[26:27], v[32:33], v[26:27]
	ds_bpermute_b32 v32, v18, v14
	ds_bpermute_b32 v33, v18, v15
	s_wait_loadcnt 0xb
	v_add_f64_e32 v[12:13], v[12:13], v[36:37]
	s_wait_dscnt 0x2
	v_add_f64_e64 v[30:31], v[34:35], -v[30:31]
	v_mul_f64_e32 v[28:29], v[36:37], v[28:29]
	v_fmac_f64_e32 v[4:5], v[26:27], v[58:59]
	ds_bpermute_b32 v26, v19, v16
	ds_bpermute_b32 v27, v19, v17
	s_wait_loadcnt 0x9
	v_add_f64_e32 v[12:13], v[12:13], v[40:41]
	v_mul_f64_e32 v[30:31], v[40:41], v[30:31]
	s_wait_dscnt 0x0
	v_add_f64_e64 v[26:27], v[38:39], -v[26:27]
	v_fmac_f64_e32 v[4:5], v[28:29], v[32:33]
	ds_bpermute_b32 v28, v20, v16
	ds_bpermute_b32 v29, v20, v17
	;; [unrolled: 1-line block ×4, first 2 shown]
	s_wait_loadcnt 0x7
	v_add_f64_e32 v[12:13], v[12:13], v[44:45]
	s_wait_dscnt 0x2
	v_add_f64_e64 v[28:29], v[42:43], -v[28:29]
	v_mul_f64_e32 v[26:27], v[44:45], v[26:27]
	s_wait_dscnt 0x0
	v_fmac_f64_e32 v[4:5], v[30:31], v[32:33]
	ds_bpermute_b32 v30, v21, v16
	ds_bpermute_b32 v31, v21, v17
	;; [unrolled: 1-line block ×4, first 2 shown]
	s_wait_loadcnt 0x5
	v_add_f64_e32 v[12:13], v[12:13], v[48:49]
	s_wait_dscnt 0x2
	v_add_f64_e64 v[30:31], v[46:47], -v[30:31]
	v_mul_f64_e32 v[28:29], v[48:49], v[28:29]
	s_wait_dscnt 0x0
	v_fmac_f64_e32 v[4:5], v[26:27], v[32:33]
	ds_bpermute_b32 v26, v22, v16
	ds_bpermute_b32 v27, v22, v17
	;; [unrolled: 1-line block ×6, first 2 shown]
	s_wait_loadcnt 0x3
	v_add_f64_e32 v[12:13], v[12:13], v[52:53]
	s_wait_dscnt 0x4
	v_add_f64_e64 v[26:27], v[50:51], -v[26:27]
	v_mul_f64_e32 v[30:31], v[52:53], v[30:31]
	s_wait_loadcnt_dscnt 0x200
	v_add_f64_e64 v[16:17], v[54:55], -v[16:17]
	v_fmac_f64_e32 v[4:5], v[28:29], v[32:33]
	ds_bpermute_b32 v28, v21, v14
	ds_bpermute_b32 v29, v21, v15
	s_wait_loadcnt 0x1
	v_add_f64_e32 v[12:13], v[12:13], v[56:57]
	v_mul_f64_e32 v[26:27], v[56:57], v[26:27]
	s_wait_loadcnt 0x0
	v_mul_f64_e32 v[16:17], v[24:25], v[16:17]
	s_wait_dscnt 0x0
	v_fmac_f64_e32 v[4:5], v[30:31], v[28:29]
	ds_bpermute_b32 v28, v22, v14
	ds_bpermute_b32 v29, v22, v15
	;; [unrolled: 1-line block ×4, first 2 shown]
	v_add_f64_e32 v[12:13], v[12:13], v[24:25]
	s_wait_dscnt 0x2
	v_fmac_f64_e32 v[4:5], v[26:27], v[28:29]
	s_wait_dscnt 0x0
	s_delay_alu instid0(VALU_DEP_1)
	v_fmac_f64_e32 v[4:5], v[16:17], v[14:15]
	s_cbranch_vccz .LBB29_10
.LBB29_7:                               ; =>This Inner Loop Header: Depth=1
	v_mov_b64_e32 v[14:15], 0
	v_mov_b64_e32 v[16:17], 0
	s_and_saveexec_b32 s3, s2
	s_cbranch_execz .LBB29_6
; %bb.8:                                ;   in Loop: Header=BB29_7 Depth=1
	v_mov_b64_e32 v[16:17], 0
	v_mov_b64_e32 v[14:15], 0
	s_mov_b32 s30, exec_lo
	v_cmpx_gt_i64_e64 s[12:13], v[6:7]
	s_cbranch_execz .LBB29_5
; %bb.9:                                ;   in Loop: Header=BB29_7 Depth=1
	v_add_nc_u64_e32 v[24:25], s[8:9], v[8:9]
	v_add_nc_u64_e32 v[26:27], s[10:11], v[8:9]
	global_load_b64 v[16:17], v[24:25], off
	global_load_b64 v[14:15], v[26:27], off
	s_branch .LBB29_5
.LBB29_10:
	v_mov_b32_e32 v2, v1
	s_mov_b64 s[4:5], s[20:21]
.LBB29_11:
	s_load_b128 s[0:3], s[0:1], 0x30
	s_nop 0
	s_load_u16 s4, s[4:5], 0xe
	v_mov_b32_e32 v1, 0
	s_delay_alu instid0(VALU_DEP_1) | instskip(SKIP_1) | instid1(VALU_DEP_1)
	v_mov_b32_e32 v3, v1
	s_wait_kmcnt 0x0
	v_mad_nc_u64_u32 v[2:3], s4, s17, v[2:3]
	s_mov_b32 s17, 0
	s_delay_alu instid0(SALU_CYCLE_1) | instskip(SKIP_2) | instid1(VALU_DEP_2)
	s_lshl_b64 s[4:5], s[16:17], 6
	s_cmp_eq_u64 s[0:1], 0
	v_add_nc_u64_e32 v[0:1], s[4:5], v[0:1]
	v_mul_u64_e32 v[2:3], s[14:15], v[2:3]
	s_cbranch_scc1 .LBB29_13
; %bb.12:
	s_delay_alu instid0(VALU_DEP_1) | instskip(NEXT) | instid1(VALU_DEP_1)
	v_lshl_add_u64 v[6:7], v[2:3], 3, s[0:1]
	v_lshl_add_u64 v[6:7], v[0:1], 3, v[6:7]
	global_store_b64 v[6:7], v[4:5], off
.LBB29_13:
	s_cmp_eq_u64 s[2:3], 0
	s_cbranch_scc1 .LBB29_15
; %bb.14:
	s_delay_alu instid0(VALU_DEP_1) | instskip(NEXT) | instid1(VALU_DEP_1)
	v_lshl_add_u64 v[2:3], v[2:3], 3, s[2:3]
	v_lshl_add_u64 v[0:1], v[0:1], 3, v[2:3]
	global_store_b64 v[0:1], v[12:13], off
.LBB29_15:
	s_endpgm
	.section	.rodata,"a",@progbits
	.p2align	6, 0x0
	.amdhsa_kernel _ZN2at6native12_GLOBAL__N_135GammaBetaBackwardCUDAKernelTemplateIddLj64ELj1ELj8ELb1ELb1ELb0EEEvllPKT_S5_PKT0_S8_PS3_S9_
		.amdhsa_group_segment_fixed_size 0
		.amdhsa_private_segment_fixed_size 0
		.amdhsa_kernarg_size 320
		.amdhsa_user_sgpr_count 2
		.amdhsa_user_sgpr_dispatch_ptr 0
		.amdhsa_user_sgpr_queue_ptr 0
		.amdhsa_user_sgpr_kernarg_segment_ptr 1
		.amdhsa_user_sgpr_dispatch_id 0
		.amdhsa_user_sgpr_kernarg_preload_length 0
		.amdhsa_user_sgpr_kernarg_preload_offset 0
		.amdhsa_user_sgpr_private_segment_size 0
		.amdhsa_wavefront_size32 1
		.amdhsa_uses_dynamic_stack 0
		.amdhsa_enable_private_segment 0
		.amdhsa_system_sgpr_workgroup_id_x 1
		.amdhsa_system_sgpr_workgroup_id_y 1
		.amdhsa_system_sgpr_workgroup_id_z 0
		.amdhsa_system_sgpr_workgroup_info 0
		.amdhsa_system_vgpr_workitem_id 1
		.amdhsa_next_free_vgpr 60
		.amdhsa_next_free_sgpr 31
		.amdhsa_named_barrier_count 0
		.amdhsa_reserve_vcc 1
		.amdhsa_float_round_mode_32 0
		.amdhsa_float_round_mode_16_64 0
		.amdhsa_float_denorm_mode_32 3
		.amdhsa_float_denorm_mode_16_64 3
		.amdhsa_fp16_overflow 0
		.amdhsa_memory_ordered 1
		.amdhsa_forward_progress 1
		.amdhsa_inst_pref_size 12
		.amdhsa_round_robin_scheduling 0
		.amdhsa_exception_fp_ieee_invalid_op 0
		.amdhsa_exception_fp_denorm_src 0
		.amdhsa_exception_fp_ieee_div_zero 0
		.amdhsa_exception_fp_ieee_overflow 0
		.amdhsa_exception_fp_ieee_underflow 0
		.amdhsa_exception_fp_ieee_inexact 0
		.amdhsa_exception_int_div_zero 0
	.end_amdhsa_kernel
	.section	.text._ZN2at6native12_GLOBAL__N_135GammaBetaBackwardCUDAKernelTemplateIddLj64ELj1ELj8ELb1ELb1ELb0EEEvllPKT_S5_PKT0_S8_PS3_S9_,"axG",@progbits,_ZN2at6native12_GLOBAL__N_135GammaBetaBackwardCUDAKernelTemplateIddLj64ELj1ELj8ELb1ELb1ELb0EEEvllPKT_S5_PKT0_S8_PS3_S9_,comdat
.Lfunc_end29:
	.size	_ZN2at6native12_GLOBAL__N_135GammaBetaBackwardCUDAKernelTemplateIddLj64ELj1ELj8ELb1ELb1ELb0EEEvllPKT_S5_PKT0_S8_PS3_S9_, .Lfunc_end29-_ZN2at6native12_GLOBAL__N_135GammaBetaBackwardCUDAKernelTemplateIddLj64ELj1ELj8ELb1ELb1ELb0EEEvllPKT_S5_PKT0_S8_PS3_S9_
                                        ; -- End function
	.set _ZN2at6native12_GLOBAL__N_135GammaBetaBackwardCUDAKernelTemplateIddLj64ELj1ELj8ELb1ELb1ELb0EEEvllPKT_S5_PKT0_S8_PS3_S9_.num_vgpr, 60
	.set _ZN2at6native12_GLOBAL__N_135GammaBetaBackwardCUDAKernelTemplateIddLj64ELj1ELj8ELb1ELb1ELb0EEEvllPKT_S5_PKT0_S8_PS3_S9_.num_agpr, 0
	.set _ZN2at6native12_GLOBAL__N_135GammaBetaBackwardCUDAKernelTemplateIddLj64ELj1ELj8ELb1ELb1ELb0EEEvllPKT_S5_PKT0_S8_PS3_S9_.numbered_sgpr, 31
	.set _ZN2at6native12_GLOBAL__N_135GammaBetaBackwardCUDAKernelTemplateIddLj64ELj1ELj8ELb1ELb1ELb0EEEvllPKT_S5_PKT0_S8_PS3_S9_.num_named_barrier, 0
	.set _ZN2at6native12_GLOBAL__N_135GammaBetaBackwardCUDAKernelTemplateIddLj64ELj1ELj8ELb1ELb1ELb0EEEvllPKT_S5_PKT0_S8_PS3_S9_.private_seg_size, 0
	.set _ZN2at6native12_GLOBAL__N_135GammaBetaBackwardCUDAKernelTemplateIddLj64ELj1ELj8ELb1ELb1ELb0EEEvllPKT_S5_PKT0_S8_PS3_S9_.uses_vcc, 1
	.set _ZN2at6native12_GLOBAL__N_135GammaBetaBackwardCUDAKernelTemplateIddLj64ELj1ELj8ELb1ELb1ELb0EEEvllPKT_S5_PKT0_S8_PS3_S9_.uses_flat_scratch, 0
	.set _ZN2at6native12_GLOBAL__N_135GammaBetaBackwardCUDAKernelTemplateIddLj64ELj1ELj8ELb1ELb1ELb0EEEvllPKT_S5_PKT0_S8_PS3_S9_.has_dyn_sized_stack, 0
	.set _ZN2at6native12_GLOBAL__N_135GammaBetaBackwardCUDAKernelTemplateIddLj64ELj1ELj8ELb1ELb1ELb0EEEvllPKT_S5_PKT0_S8_PS3_S9_.has_recursion, 0
	.set _ZN2at6native12_GLOBAL__N_135GammaBetaBackwardCUDAKernelTemplateIddLj64ELj1ELj8ELb1ELb1ELb0EEEvllPKT_S5_PKT0_S8_PS3_S9_.has_indirect_call, 0
	.section	.AMDGPU.csdata,"",@progbits
; Kernel info:
; codeLenInByte = 1452
; TotalNumSgprs: 33
; NumVgprs: 60
; ScratchSize: 0
; MemoryBound: 0
; FloatMode: 240
; IeeeMode: 1
; LDSByteSize: 0 bytes/workgroup (compile time only)
; SGPRBlocks: 0
; VGPRBlocks: 3
; NumSGPRsForWavesPerEU: 33
; NumVGPRsForWavesPerEU: 60
; NamedBarCnt: 0
; Occupancy: 16
; WaveLimiterHint : 0
; COMPUTE_PGM_RSRC2:SCRATCH_EN: 0
; COMPUTE_PGM_RSRC2:USER_SGPR: 2
; COMPUTE_PGM_RSRC2:TRAP_HANDLER: 0
; COMPUTE_PGM_RSRC2:TGID_X_EN: 1
; COMPUTE_PGM_RSRC2:TGID_Y_EN: 1
; COMPUTE_PGM_RSRC2:TGID_Z_EN: 0
; COMPUTE_PGM_RSRC2:TIDIG_COMP_CNT: 1
	.section	.text._ZN2at6native12_GLOBAL__N_135GammaBetaBackwardCUDAKernelTemplateIddLj64ELj1ELj8ELb1ELb0ELb0EEEvllPKT_S5_PKT0_S8_PS3_S9_,"axG",@progbits,_ZN2at6native12_GLOBAL__N_135GammaBetaBackwardCUDAKernelTemplateIddLj64ELj1ELj8ELb1ELb0ELb0EEEvllPKT_S5_PKT0_S8_PS3_S9_,comdat
	.globl	_ZN2at6native12_GLOBAL__N_135GammaBetaBackwardCUDAKernelTemplateIddLj64ELj1ELj8ELb1ELb0ELb0EEEvllPKT_S5_PKT0_S8_PS3_S9_ ; -- Begin function _ZN2at6native12_GLOBAL__N_135GammaBetaBackwardCUDAKernelTemplateIddLj64ELj1ELj8ELb1ELb0ELb0EEEvllPKT_S5_PKT0_S8_PS3_S9_
	.p2align	8
	.type	_ZN2at6native12_GLOBAL__N_135GammaBetaBackwardCUDAKernelTemplateIddLj64ELj1ELj8ELb1ELb0ELb0EEEvllPKT_S5_PKT0_S8_PS3_S9_,@function
_ZN2at6native12_GLOBAL__N_135GammaBetaBackwardCUDAKernelTemplateIddLj64ELj1ELj8ELb1ELb0ELb0EEEvllPKT_S5_PKT0_S8_PS3_S9_: ; @_ZN2at6native12_GLOBAL__N_135GammaBetaBackwardCUDAKernelTemplateIddLj64ELj1ELj8ELb1ELb0ELb0EEEvllPKT_S5_PKT0_S8_PS3_S9_
; %bb.0:
	s_load_b256 s[4:11], s[0:1], 0x0
	s_bfe_u32 s3, ttmp6, 0x4000c
	s_bfe_u32 s12, ttmp6, 0x40010
	s_add_co_i32 s3, s3, 1
	s_add_co_i32 s12, s12, 1
	s_and_b32 s2, ttmp6, 15
	s_bfe_u32 s13, ttmp6, 0x40004
	s_mul_i32 s3, ttmp9, s3
	s_mul_i32 s12, ttmp7, s12
	s_getreg_b32 s14, hwreg(HW_REG_IB_STS2, 6, 4)
	s_add_co_i32 s2, s2, s3
	s_add_co_i32 s3, s13, s12
	s_cmp_eq_u32 s14, 0
	s_mov_b32 s19, 0
	s_cselect_b32 s16, ttmp9, s2
	s_cselect_b32 s33, ttmp7, s3
	s_lshl_b32 s3, s16, 6
	s_load_b128 s[12:15], s[0:1], 0x20
	s_or_b32 s18, s3, 63
	s_wait_kmcnt 0x0
	v_cmp_le_i64_e64 s2, s[6:7], s[18:19]
	s_lshl_b32 s18, s33, 3
	s_delay_alu instid0(SALU_CYCLE_1) | instskip(SKIP_2) | instid1(VALU_DEP_1)
	v_cmp_gt_i64_e64 s17, s[4:5], s[18:19]
	s_and_b32 vcc_lo, exec_lo, s2
	v_cndmask_b32_e64 v1, 0, 1, s17
	v_cmp_ne_u32_e64 s2, 1, v1
	s_cbranch_vccz .LBB30_49
; %bb.1:
	v_mov_b64_e32 v[36:37], 0
	v_mov_b64_e32 v[40:41], 0
	s_and_b32 vcc_lo, exec_lo, s2
	s_cbranch_vccnz .LBB30_50
; %bb.2:
	v_bfe_u32 v1, v0, 10, 10
	v_mov_b32_e32 v2, 0
	v_and_b32_e32 v84, 0x3ff, v0
	s_load_b32 s20, s[0:1], 0x44
	s_mov_b32 s21, 0
	s_delay_alu instid0(VALU_DEP_2) | instskip(NEXT) | instid1(VALU_DEP_2)
	v_dual_mov_b32 v39, v2 :: v_dual_lshlrev_b32 v38, 3, v1
	v_dual_mov_b32 v19, v2 :: v_dual_add_nc_u32 v18, s3, v84
	v_mov_b64_e32 v[76:77], 0
	v_mov_b64_e32 v[36:37], 0
	s_delay_alu instid0(VALU_DEP_4)
	v_add_nc_u64_e32 v[4:5], s[18:19], v[38:39]
	s_mov_b32 s23, s21
	v_cmp_gt_i64_e64 s2, s[6:7], v[18:19]
	v_lshlrev_b64_e32 v[42:43], 3, v[18:19]
	s_add_nc_u64 s[24:25], s[0:1], 64
	s_mov_b64 s[28:29], 7
	s_mov_b64 s[30:31], s[18:19]
	v_mul_u64_e32 v[6:7], s[6:7], v[4:5]
	v_add_nc_u64_e32 v[8:9], 7, v[4:5]
	v_add_nc_u64_e32 v[10:11], 6, v[4:5]
	;; [unrolled: 1-line block ×6, first 2 shown]
	s_wait_kmcnt 0x0
	s_lshl_b32 s22, s20, 3
	v_mul_u64_e32 v[8:9], s[6:7], v[8:9]
	v_mul_u64_e32 v[10:11], s[6:7], v[10:11]
	;; [unrolled: 1-line block ×6, first 2 shown]
	s_mul_u64 s[26:27], s[6:7], s[22:23]
	s_delay_alu instid0(SALU_CYCLE_1) | instskip(SKIP_2) | instid1(VALU_DEP_2)
	s_lshl_b64 s[26:27], s[26:27], 3
	v_lshlrev_b64_e32 v[20:21], 3, v[6:7]
	v_add_nc_u64_e32 v[6:7], s[6:7], v[6:7]
	v_add_nc_u64_e32 v[44:45], s[8:9], v[20:21]
	v_lshlrev_b64_e32 v[8:9], 3, v[8:9]
	v_lshlrev_b64_e32 v[10:11], 3, v[10:11]
	;; [unrolled: 1-line block ×7, first 2 shown]
	v_add_nc_u64_e32 v[46:47], s[10:11], v[20:21]
	v_add_nc_u64_e32 v[48:49], s[8:9], v[8:9]
	;; [unrolled: 1-line block ×15, first 2 shown]
.LBB30_3:                               ; =>This Inner Loop Header: Depth=1
	s_add_nc_u64 s[34:35], s[18:19], s[28:29]
	v_add_nc_u64_e32 v[78:79], s[18:19], v[38:39]
	v_cmp_ge_i64_e64 s20, s[34:35], s[4:5]
                                        ; implicit-def: $vgpr4_vgpr5_vgpr6_vgpr7_vgpr8_vgpr9_vgpr10_vgpr11_vgpr12_vgpr13_vgpr14_vgpr15_vgpr16_vgpr17_vgpr18_vgpr19
                                        ; implicit-def: $vgpr82_vgpr83
                                        ; implicit-def: $vgpr20_vgpr21_vgpr22_vgpr23_vgpr24_vgpr25_vgpr26_vgpr27_vgpr28_vgpr29_vgpr30_vgpr31_vgpr32_vgpr33_vgpr34_vgpr35
                                        ; implicit-def: $vgpr6
                                        ; implicit-def: $vgpr4_vgpr5
                                        ; implicit-def: $vgpr40_vgpr41
	s_and_b32 vcc_lo, exec_lo, s20
	s_mov_b32 s20, -1
	s_cbranch_vccz .LBB30_25
; %bb.4:                                ;   in Loop: Header=BB30_3 Depth=1
	s_load_b32 s20, s[24:25], 0xc
	v_mov_b64_e32 v[82:83], 0
	v_mov_b64_e32 v[80:81], 0
	s_wait_kmcnt 0x0
	s_and_b32 s20, s20, 0xffff
	s_delay_alu instid0(SALU_CYCLE_1) | instskip(SKIP_1) | instid1(VALU_DEP_1)
	v_mad_u32_u24 v3, v1, s20, v84
	s_mov_b32 s20, exec_lo
	v_and_b32_e32 v4, 31, v3
	s_delay_alu instid0(VALU_DEP_1)
	v_cmpx_gt_u32_e32 8, v4
	s_cbranch_execz .LBB30_8
; %bb.5:                                ;   in Loop: Header=BB30_3 Depth=1
	v_mov_b32_e32 v5, v2
	v_mov_b64_e32 v[80:81], 0
	v_mov_b64_e32 v[82:83], 0
	s_mov_b32 s34, exec_lo
	s_delay_alu instid0(VALU_DEP_3) | instskip(NEXT) | instid1(VALU_DEP_1)
	v_add_nc_u64_e32 v[4:5], v[78:79], v[4:5]
	v_cmpx_gt_i64_e64 s[4:5], v[4:5]
	s_cbranch_execz .LBB30_7
; %bb.6:                                ;   in Loop: Header=BB30_3 Depth=1
	v_lshlrev_b64_e32 v[4:5], 3, v[4:5]
	s_delay_alu instid0(VALU_DEP_1)
	v_add_nc_u64_e32 v[6:7], s[12:13], v[4:5]
	v_add_nc_u64_e32 v[4:5], s[14:15], v[4:5]
	global_load_b64 v[80:81], v[6:7], off
	global_load_b64 v[82:83], v[4:5], off
.LBB30_7:                               ;   in Loop: Header=BB30_3 Depth=1
	s_wait_xcnt 0x0
	s_or_b32 exec_lo, exec_lo, s34
.LBB30_8:                               ;   in Loop: Header=BB30_3 Depth=1
	s_delay_alu instid0(SALU_CYCLE_1)
	s_or_b32 exec_lo, exec_lo, s20
	v_dual_mov_b32 v15, v2 :: v_dual_mov_b32 v16, v2
	v_dual_mov_b32 v17, v2 :: v_dual_mov_b32 v3, v2
	;; [unrolled: 1-line block ×7, first 2 shown]
	v_mov_b32_e32 v14, v2
	v_cmp_gt_i64_e32 vcc_lo, s[4:5], v[78:79]
	v_mov_b64_e32 v[34:35], v[16:17]
	v_mov_b64_e32 v[28:29], v[10:11]
	v_mov_b64_e32 v[30:31], v[12:13]
	v_mov_b64_e32 v[32:33], v[14:15]
	v_mov_b64_e32 v[26:27], v[8:9]
	v_mov_b64_e32 v[24:25], v[6:7]
	v_mov_b64_e32 v[22:23], v[4:5]
	v_mov_b64_e32 v[20:21], v[2:3]
	v_mov_b64_e32 v[18:19], v[16:17]
	v_mov_b64_e32 v[16:17], v[14:15]
	v_mov_b64_e32 v[14:15], v[12:13]
	v_mov_b64_e32 v[12:13], v[10:11]
	v_mov_b64_e32 v[10:11], v[8:9]
	v_mov_b64_e32 v[8:9], v[6:7]
	v_mov_b64_e32 v[6:7], v[4:5]
	v_mov_b64_e32 v[4:5], v[2:3]
	s_and_b32 s34, s2, vcc_lo
	s_delay_alu instid0(SALU_CYCLE_1)
	s_and_saveexec_b32 s20, s34
	s_cbranch_execz .LBB30_10
; %bb.9:                                ;   in Loop: Header=BB30_3 Depth=1
	v_add_nc_u64_e32 v[6:7], v[44:45], v[42:43]
	v_add_nc_u64_e32 v[8:9], v[46:47], v[42:43]
	v_dual_mov_b32 v10, v2 :: v_dual_mov_b32 v11, v2
	v_dual_mov_b32 v12, v2 :: v_dual_mov_b32 v13, v2
	;; [unrolled: 1-line block ×3, first 2 shown]
	global_load_b64 v[4:5], v[6:7], off
	global_load_b64 v[20:21], v[8:9], off
	s_wait_xcnt 0x1
	v_dual_mov_b32 v6, v2 :: v_dual_mov_b32 v7, v2
	s_wait_xcnt 0x0
	v_dual_mov_b32 v8, v2 :: v_dual_mov_b32 v9, v2
	v_dual_mov_b32 v16, v2 :: v_dual_mov_b32 v17, v2
	;; [unrolled: 1-line block ×10, first 2 shown]
.LBB30_10:                              ;   in Loop: Header=BB30_3 Depth=1
	s_or_b32 exec_lo, exec_lo, s20
	v_add_nc_u64_e32 v[40:41], 1, v[78:79]
	s_delay_alu instid0(VALU_DEP_1) | instskip(SKIP_1) | instid1(SALU_CYCLE_1)
	v_cmp_gt_i64_e32 vcc_lo, s[4:5], v[40:41]
	s_and_b32 s34, s2, vcc_lo
	s_and_saveexec_b32 s20, s34
	s_cbranch_execz .LBB30_12
; %bb.11:                               ;   in Loop: Header=BB30_3 Depth=1
	v_add_nc_u64_e32 v[40:41], v[72:73], v[42:43]
	v_add_nc_u64_e32 v[86:87], v[74:75], v[42:43]
	global_load_b64 v[6:7], v[40:41], off
	global_load_b64 v[22:23], v[86:87], off
.LBB30_12:                              ;   in Loop: Header=BB30_3 Depth=1
	s_wait_xcnt 0x0
	s_or_b32 exec_lo, exec_lo, s20
	v_add_nc_u64_e32 v[40:41], 2, v[78:79]
	s_delay_alu instid0(VALU_DEP_1) | instskip(SKIP_1) | instid1(SALU_CYCLE_1)
	v_cmp_gt_i64_e32 vcc_lo, s[4:5], v[40:41]
	s_and_b32 s34, s2, vcc_lo
	s_and_saveexec_b32 s20, s34
	s_cbranch_execz .LBB30_14
; %bb.13:                               ;   in Loop: Header=BB30_3 Depth=1
	v_add_nc_u64_e32 v[40:41], v[68:69], v[42:43]
	v_add_nc_u64_e32 v[86:87], v[70:71], v[42:43]
	global_load_b64 v[8:9], v[40:41], off
	global_load_b64 v[24:25], v[86:87], off
.LBB30_14:                              ;   in Loop: Header=BB30_3 Depth=1
	s_wait_xcnt 0x0
	s_or_b32 exec_lo, exec_lo, s20
	v_add_nc_u64_e32 v[40:41], 3, v[78:79]
	s_delay_alu instid0(VALU_DEP_1) | instskip(SKIP_1) | instid1(SALU_CYCLE_1)
	v_cmp_gt_i64_e32 vcc_lo, s[4:5], v[40:41]
	s_and_b32 s34, s2, vcc_lo
	s_and_saveexec_b32 s20, s34
	s_cbranch_execz .LBB30_16
; %bb.15:                               ;   in Loop: Header=BB30_3 Depth=1
	v_add_nc_u64_e32 v[40:41], v[64:65], v[42:43]
	v_add_nc_u64_e32 v[86:87], v[66:67], v[42:43]
	global_load_b64 v[10:11], v[40:41], off
	global_load_b64 v[26:27], v[86:87], off
.LBB30_16:                              ;   in Loop: Header=BB30_3 Depth=1
	s_wait_xcnt 0x0
	s_or_b32 exec_lo, exec_lo, s20
	v_add_nc_u64_e32 v[40:41], 4, v[78:79]
	s_delay_alu instid0(VALU_DEP_1) | instskip(SKIP_1) | instid1(SALU_CYCLE_1)
	v_cmp_gt_i64_e32 vcc_lo, s[4:5], v[40:41]
	s_and_b32 s34, s2, vcc_lo
	s_and_saveexec_b32 s20, s34
	s_cbranch_execz .LBB30_18
; %bb.17:                               ;   in Loop: Header=BB30_3 Depth=1
	v_add_nc_u64_e32 v[40:41], v[60:61], v[42:43]
	v_add_nc_u64_e32 v[86:87], v[62:63], v[42:43]
	global_load_b64 v[12:13], v[40:41], off
	global_load_b64 v[28:29], v[86:87], off
.LBB30_18:                              ;   in Loop: Header=BB30_3 Depth=1
	s_wait_xcnt 0x0
	s_or_b32 exec_lo, exec_lo, s20
	v_add_nc_u64_e32 v[40:41], 5, v[78:79]
	s_delay_alu instid0(VALU_DEP_1) | instskip(SKIP_1) | instid1(SALU_CYCLE_1)
	v_cmp_gt_i64_e32 vcc_lo, s[4:5], v[40:41]
	s_and_b32 s34, s2, vcc_lo
	s_and_saveexec_b32 s20, s34
	s_cbranch_execz .LBB30_20
; %bb.19:                               ;   in Loop: Header=BB30_3 Depth=1
	v_add_nc_u64_e32 v[40:41], v[56:57], v[42:43]
	v_add_nc_u64_e32 v[86:87], v[58:59], v[42:43]
	global_load_b64 v[14:15], v[40:41], off
	global_load_b64 v[30:31], v[86:87], off
.LBB30_20:                              ;   in Loop: Header=BB30_3 Depth=1
	s_wait_xcnt 0x0
	s_or_b32 exec_lo, exec_lo, s20
	v_add_nc_u64_e32 v[40:41], 6, v[78:79]
	s_delay_alu instid0(VALU_DEP_1) | instskip(SKIP_1) | instid1(SALU_CYCLE_1)
	v_cmp_gt_i64_e32 vcc_lo, s[4:5], v[40:41]
	s_and_b32 s34, s2, vcc_lo
	s_and_saveexec_b32 s20, s34
	s_cbranch_execz .LBB30_22
; %bb.21:                               ;   in Loop: Header=BB30_3 Depth=1
	v_add_nc_u64_e32 v[40:41], v[52:53], v[42:43]
	v_add_nc_u64_e32 v[86:87], v[54:55], v[42:43]
	global_load_b64 v[16:17], v[40:41], off
	global_load_b64 v[32:33], v[86:87], off
.LBB30_22:                              ;   in Loop: Header=BB30_3 Depth=1
	s_wait_xcnt 0x0
	s_or_b32 exec_lo, exec_lo, s20
	v_add_nc_u64_e32 v[40:41], 7, v[78:79]
	s_delay_alu instid0(VALU_DEP_1) | instskip(SKIP_1) | instid1(SALU_CYCLE_1)
	v_cmp_gt_i64_e32 vcc_lo, s[4:5], v[40:41]
	s_and_b32 s34, s2, vcc_lo
	s_and_saveexec_b32 s20, s34
	s_cbranch_execz .LBB30_24
; %bb.23:                               ;   in Loop: Header=BB30_3 Depth=1
	v_add_nc_u64_e32 v[40:41], v[48:49], v[42:43]
	v_add_nc_u64_e32 v[86:87], v[50:51], v[42:43]
	global_load_b64 v[18:19], v[40:41], off
	global_load_b64 v[34:35], v[86:87], off
.LBB30_24:                              ;   in Loop: Header=BB30_3 Depth=1
	s_wait_xcnt 0x0
	s_or_b32 exec_lo, exec_lo, s20
	s_wait_loadcnt 0x1
	ds_bpermute_b32 v40, v2, v80
	ds_bpermute_b32 v41, v2, v81
	s_wait_loadcnt 0x0
	ds_bpermute_b32 v86, v2, v82
	ds_bpermute_b32 v87, v2, v83
	s_mov_b32 s20, 0
	s_wait_dscnt 0x2
	v_add_f64_e64 v[20:21], v[20:21], -v[40:41]
	ds_bpermute_b32 v40, v2, v80 offset:4
	ds_bpermute_b32 v41, v2, v81 offset:4
	s_wait_dscnt 0x0
	v_add_f64_e64 v[22:23], v[22:23], -v[40:41]
	ds_bpermute_b32 v40, v2, v80 offset:8
	ds_bpermute_b32 v41, v2, v81 offset:8
	v_mul_f64_e32 v[20:21], v[4:5], v[20:21]
	v_add_f64_e32 v[4:5], v[36:37], v[4:5]
	s_wait_dscnt 0x0
	v_add_f64_e64 v[24:25], v[24:25], -v[40:41]
	v_mul_f64_e32 v[22:23], v[6:7], v[22:23]
	s_delay_alu instid0(VALU_DEP_4)
	v_fma_f64 v[40:41], v[20:21], v[86:87], v[76:77]
	ds_bpermute_b32 v20, v2, v80 offset:12
	ds_bpermute_b32 v21, v2, v81 offset:12
	;; [unrolled: 1-line block ×4, first 2 shown]
	v_add_f64_e32 v[4:5], v[6:7], v[4:5]
	ds_bpermute_b32 v6, v2, v80 offset:16
	ds_bpermute_b32 v7, v2, v81 offset:16
	v_mul_f64_e32 v[24:25], v[8:9], v[24:25]
	s_wait_dscnt 0x4
	v_add_f64_e64 v[20:21], v[26:27], -v[20:21]
	s_wait_dscnt 0x0
	v_add_f64_e64 v[6:7], v[28:29], -v[6:7]
	v_fmac_f64_e32 v[40:41], v[22:23], v[86:87]
	ds_bpermute_b32 v22, v2, v82 offset:8
	ds_bpermute_b32 v23, v2, v83 offset:8
	v_add_f64_e32 v[4:5], v[8:9], v[4:5]
	ds_bpermute_b32 v8, v2, v80 offset:20
	ds_bpermute_b32 v9, v2, v81 offset:20
	v_mul_f64_e32 v[20:21], v[10:11], v[20:21]
	s_wait_dscnt 0x0
	v_add_f64_e64 v[8:9], v[30:31], -v[8:9]
	v_mul_f64_e32 v[6:7], v[12:13], v[6:7]
	v_fmac_f64_e32 v[40:41], v[24:25], v[22:23]
	ds_bpermute_b32 v22, v2, v82 offset:12
	ds_bpermute_b32 v23, v2, v83 offset:12
	v_add_f64_e32 v[4:5], v[10:11], v[4:5]
	ds_bpermute_b32 v10, v2, v80 offset:24
	ds_bpermute_b32 v11, v2, v81 offset:24
	s_wait_dscnt 0x0
	v_add_f64_e64 v[10:11], v[32:33], -v[10:11]
	v_mul_f64_e32 v[8:9], v[14:15], v[8:9]
	v_fmac_f64_e32 v[40:41], v[20:21], v[22:23]
	ds_bpermute_b32 v20, v2, v82 offset:16
	ds_bpermute_b32 v21, v2, v83 offset:16
	v_add_f64_e32 v[4:5], v[12:13], v[4:5]
	v_mul_f64_e32 v[10:11], v[16:17], v[10:11]
	s_wait_dscnt 0x0
	v_fmac_f64_e32 v[40:41], v[6:7], v[20:21]
	ds_bpermute_b32 v6, v2, v82 offset:20
	ds_bpermute_b32 v7, v2, v83 offset:20
	v_add_f64_e32 v[4:5], v[14:15], v[4:5]
	s_wait_dscnt 0x0
	v_fmac_f64_e32 v[40:41], v[8:9], v[6:7]
	ds_bpermute_b32 v6, v2, v82 offset:24
	ds_bpermute_b32 v7, v2, v83 offset:24
	;; [unrolled: 1-line block ×4, first 2 shown]
	v_add_f64_e32 v[4:5], v[16:17], v[4:5]
	s_wait_dscnt 0x2
	v_fmac_f64_e32 v[40:41], v[10:11], v[6:7]
	ds_bpermute_b32 v6, v2, v80 offset:28
	ds_bpermute_b32 v7, v2, v81 offset:28
.LBB30_25:                              ;   in Loop: Header=BB30_3 Depth=1
	s_and_b32 vcc_lo, exec_lo, s20
	s_cbranch_vccz .LBB30_40
; %bb.26:                               ;   in Loop: Header=BB30_3 Depth=1
	s_load_b32 s20, s[24:25], 0x0
	v_mov_b64_e32 v[80:81], 0
	v_mov_b64_e32 v[40:41], 0
	s_wait_kmcnt 0x0
	s_cmp_lt_u32 s16, s20
	s_cselect_b32 s20, 12, 18
	s_delay_alu instid0(SALU_CYCLE_1) | instskip(SKIP_4) | instid1(VALU_DEP_1)
	s_add_nc_u64 s[34:35], s[24:25], s[20:21]
	s_load_u16 s20, s[34:35], 0x0
	s_wait_kmcnt 0x0
	v_mad_u32_u24 v3, v1, s20, v84
	s_mov_b32 s20, exec_lo
	v_and_b32_e32 v4, 31, v3
	s_delay_alu instid0(VALU_DEP_1)
	v_cmpx_gt_u32_e32 8, v4
	s_cbranch_execz .LBB30_30
; %bb.27:                               ;   in Loop: Header=BB30_3 Depth=1
	v_mov_b32_e32 v5, v2
	v_mov_b64_e32 v[40:41], 0
	v_mov_b64_e32 v[80:81], 0
	s_mov_b32 s34, exec_lo
	s_delay_alu instid0(VALU_DEP_3) | instskip(NEXT) | instid1(VALU_DEP_1)
	v_add_nc_u64_e32 v[4:5], v[78:79], v[4:5]
	v_cmpx_gt_i64_e64 s[4:5], v[4:5]
	s_cbranch_execz .LBB30_29
; %bb.28:                               ;   in Loop: Header=BB30_3 Depth=1
	v_lshlrev_b64_e32 v[4:5], 3, v[4:5]
	s_wait_dscnt 0x0
	s_delay_alu instid0(VALU_DEP_1)
	v_add_nc_u64_e32 v[6:7], s[12:13], v[4:5]
	v_add_nc_u64_e32 v[4:5], s[14:15], v[4:5]
	global_load_b64 v[40:41], v[6:7], off
	global_load_b64 v[80:81], v[4:5], off
.LBB30_29:                              ;   in Loop: Header=BB30_3 Depth=1
	s_wait_xcnt 0x0
	s_or_b32 exec_lo, exec_lo, s34
.LBB30_30:                              ;   in Loop: Header=BB30_3 Depth=1
	s_delay_alu instid0(SALU_CYCLE_1)
	s_or_b32 exec_lo, exec_lo, s20
	v_dual_mov_b32 v15, v2 :: v_dual_mov_b32 v16, v2
	v_dual_mov_b32 v17, v2 :: v_dual_mov_b32 v3, v2
	;; [unrolled: 1-line block ×3, first 2 shown]
	s_wait_dscnt 0x0
	v_dual_mov_b32 v6, v2 :: v_dual_mov_b32 v7, v2
	v_dual_mov_b32 v8, v2 :: v_dual_mov_b32 v9, v2
	;; [unrolled: 1-line block ×4, first 2 shown]
	v_mov_b32_e32 v14, v2
	v_mov_b64_e32 v[34:35], v[16:17]
	s_delay_alu instid0(VALU_DEP_4)
	v_mov_b64_e32 v[28:29], v[10:11]
	v_mov_b64_e32 v[26:27], v[8:9]
	;; [unrolled: 1-line block ×15, first 2 shown]
	s_and_saveexec_b32 s20, s2
	s_cbranch_execnz .LBB30_42
; %bb.31:                               ;   in Loop: Header=BB30_3 Depth=1
	s_or_b32 exec_lo, exec_lo, s20
	s_and_saveexec_b32 s20, s2
	s_cbranch_execnz .LBB30_43
.LBB30_32:                              ;   in Loop: Header=BB30_3 Depth=1
	s_or_b32 exec_lo, exec_lo, s20
	s_and_saveexec_b32 s20, s2
	s_cbranch_execnz .LBB30_44
.LBB30_33:                              ;   in Loop: Header=BB30_3 Depth=1
	s_or_b32 exec_lo, exec_lo, s20
	s_and_saveexec_b32 s20, s2
	s_cbranch_execnz .LBB30_45
.LBB30_34:                              ;   in Loop: Header=BB30_3 Depth=1
	s_or_b32 exec_lo, exec_lo, s20
	s_and_saveexec_b32 s20, s2
	s_cbranch_execnz .LBB30_46
.LBB30_35:                              ;   in Loop: Header=BB30_3 Depth=1
	s_or_b32 exec_lo, exec_lo, s20
	s_and_saveexec_b32 s20, s2
	s_cbranch_execnz .LBB30_47
.LBB30_36:                              ;   in Loop: Header=BB30_3 Depth=1
	s_or_b32 exec_lo, exec_lo, s20
	s_and_saveexec_b32 s20, s2
	s_cbranch_execnz .LBB30_48
.LBB30_37:                              ;   in Loop: Header=BB30_3 Depth=1
	s_or_b32 exec_lo, exec_lo, s20
	s_and_saveexec_b32 s20, s2
	s_cbranch_execz .LBB30_39
.LBB30_38:                              ;   in Loop: Header=BB30_3 Depth=1
	v_add_nc_u64_e32 v[78:79], v[48:49], v[42:43]
	v_add_nc_u64_e32 v[82:83], v[50:51], v[42:43]
	global_load_b64 v[18:19], v[78:79], off
	global_load_b64 v[34:35], v[82:83], off
.LBB30_39:                              ;   in Loop: Header=BB30_3 Depth=1
	s_wait_xcnt 0x0
	s_or_b32 exec_lo, exec_lo, s20
	s_wait_loadcnt 0x1
	ds_bpermute_b32 v78, v2, v40
	ds_bpermute_b32 v79, v2, v41
	s_wait_loadcnt 0x0
	ds_bpermute_b32 v82, v2, v80
	ds_bpermute_b32 v83, v2, v81
	s_wait_dscnt 0x2
	v_add_f64_e64 v[20:21], v[20:21], -v[78:79]
	ds_bpermute_b32 v78, v2, v40 offset:4
	ds_bpermute_b32 v79, v2, v41 offset:4
	s_wait_dscnt 0x0
	v_add_f64_e64 v[22:23], v[22:23], -v[78:79]
	ds_bpermute_b32 v78, v2, v40 offset:8
	ds_bpermute_b32 v79, v2, v41 offset:8
	v_mul_f64_e32 v[20:21], v[4:5], v[20:21]
	v_add_f64_e32 v[4:5], v[36:37], v[4:5]
	ds_bpermute_b32 v36, v2, v80 offset:4
	ds_bpermute_b32 v37, v2, v81 offset:4
	s_wait_dscnt 0x2
	v_add_f64_e64 v[24:25], v[24:25], -v[78:79]
	v_mul_f64_e32 v[22:23], v[6:7], v[22:23]
	v_fmac_f64_e32 v[76:77], v[20:21], v[82:83]
	ds_bpermute_b32 v20, v2, v40 offset:12
	ds_bpermute_b32 v21, v2, v41 offset:12
	v_add_f64_e32 v[4:5], v[6:7], v[4:5]
	ds_bpermute_b32 v6, v2, v40 offset:16
	ds_bpermute_b32 v7, v2, v41 offset:16
	ds_bpermute_b32 v82, v2, v80 offset:28
	ds_bpermute_b32 v83, v2, v81 offset:28
	v_mul_f64_e32 v[24:25], v[8:9], v[24:25]
	s_wait_dscnt 0x4
	v_add_f64_e64 v[20:21], v[26:27], -v[20:21]
	s_wait_dscnt 0x2
	v_add_f64_e64 v[6:7], v[28:29], -v[6:7]
	v_fmac_f64_e32 v[76:77], v[22:23], v[36:37]
	ds_bpermute_b32 v22, v2, v80 offset:8
	ds_bpermute_b32 v23, v2, v81 offset:8
	v_add_f64_e32 v[4:5], v[8:9], v[4:5]
	ds_bpermute_b32 v8, v2, v40 offset:20
	ds_bpermute_b32 v9, v2, v41 offset:20
	v_mul_f64_e32 v[20:21], v[10:11], v[20:21]
	s_wait_dscnt 0x0
	v_add_f64_e64 v[8:9], v[30:31], -v[8:9]
	v_mul_f64_e32 v[6:7], v[12:13], v[6:7]
	v_fmac_f64_e32 v[76:77], v[24:25], v[22:23]
	ds_bpermute_b32 v22, v2, v80 offset:12
	ds_bpermute_b32 v23, v2, v81 offset:12
	v_add_f64_e32 v[4:5], v[10:11], v[4:5]
	ds_bpermute_b32 v10, v2, v80 offset:16
	ds_bpermute_b32 v11, v2, v81 offset:16
	v_mul_f64_e32 v[8:9], v[14:15], v[8:9]
	s_wait_dscnt 0x2
	v_fmac_f64_e32 v[76:77], v[20:21], v[22:23]
	ds_bpermute_b32 v20, v2, v40 offset:24
	ds_bpermute_b32 v21, v2, v41 offset:24
	v_add_f64_e32 v[4:5], v[12:13], v[4:5]
	s_wait_dscnt 0x2
	v_fmac_f64_e32 v[76:77], v[6:7], v[10:11]
	s_wait_dscnt 0x0
	v_add_f64_e64 v[6:7], v[32:33], -v[20:21]
	ds_bpermute_b32 v10, v2, v80 offset:20
	ds_bpermute_b32 v11, v2, v81 offset:20
	v_add_f64_e32 v[4:5], v[14:15], v[4:5]
	s_wait_dscnt 0x0
	v_fmac_f64_e32 v[76:77], v[8:9], v[10:11]
	v_mul_f64_e32 v[6:7], v[16:17], v[6:7]
	ds_bpermute_b32 v8, v2, v80 offset:24
	ds_bpermute_b32 v9, v2, v81 offset:24
	v_add_f64_e32 v[4:5], v[16:17], v[4:5]
	s_wait_dscnt 0x0
	v_fmac_f64_e32 v[76:77], v[6:7], v[8:9]
	ds_bpermute_b32 v6, v2, v40 offset:28
	ds_bpermute_b32 v7, v2, v41 offset:28
	v_mov_b64_e32 v[40:41], v[76:77]
.LBB30_40:                              ;   in Loop: Header=BB30_3 Depth=1
	s_wait_dscnt 0x0
	v_add_f64_e64 v[6:7], v[34:35], -v[6:7]
	v_add_f64_e32 v[36:37], v[4:5], v[18:19]
	s_add_nc_u64 s[30:31], s[30:31], s[22:23]
	v_add_nc_u64_e32 v[44:45], s[26:27], v[44:45]
	v_cmp_lt_i64_e64 s20, s[30:31], s[4:5]
	v_add_nc_u64_e32 v[46:47], s[26:27], v[46:47]
	v_add_nc_u64_e32 v[48:49], s[26:27], v[48:49]
	;; [unrolled: 1-line block ×16, first 2 shown]
	s_and_b32 vcc_lo, exec_lo, s20
	s_add_nc_u64 s[28:29], s[28:29], s[22:23]
	v_mul_f64_e32 v[6:7], v[18:19], v[6:7]
	s_delay_alu instid0(VALU_DEP_1)
	v_fmac_f64_e32 v[40:41], v[6:7], v[82:83]
	s_cbranch_vccz .LBB30_50
; %bb.41:                               ;   in Loop: Header=BB30_3 Depth=1
	s_delay_alu instid0(VALU_DEP_1)
	v_mov_b64_e32 v[76:77], v[40:41]
	s_branch .LBB30_3
.LBB30_42:                              ;   in Loop: Header=BB30_3 Depth=1
	v_add_nc_u64_e32 v[6:7], v[44:45], v[42:43]
	v_add_nc_u64_e32 v[8:9], v[46:47], v[42:43]
	v_dual_mov_b32 v10, v2 :: v_dual_mov_b32 v11, v2
	v_dual_mov_b32 v12, v2 :: v_dual_mov_b32 v13, v2
	;; [unrolled: 1-line block ×3, first 2 shown]
	global_load_b64 v[4:5], v[6:7], off
	global_load_b64 v[20:21], v[8:9], off
	s_wait_xcnt 0x1
	v_dual_mov_b32 v6, v2 :: v_dual_mov_b32 v7, v2
	s_wait_xcnt 0x0
	v_dual_mov_b32 v8, v2 :: v_dual_mov_b32 v9, v2
	v_dual_mov_b32 v16, v2 :: v_dual_mov_b32 v17, v2
	;; [unrolled: 1-line block ×10, first 2 shown]
	s_or_b32 exec_lo, exec_lo, s20
	s_and_saveexec_b32 s20, s2
	s_cbranch_execz .LBB30_32
.LBB30_43:                              ;   in Loop: Header=BB30_3 Depth=1
	v_add_nc_u64_e32 v[78:79], v[72:73], v[42:43]
	v_add_nc_u64_e32 v[82:83], v[74:75], v[42:43]
	global_load_b64 v[6:7], v[78:79], off
	global_load_b64 v[22:23], v[82:83], off
	s_wait_xcnt 0x0
	s_or_b32 exec_lo, exec_lo, s20
	s_and_saveexec_b32 s20, s2
	s_cbranch_execz .LBB30_33
.LBB30_44:                              ;   in Loop: Header=BB30_3 Depth=1
	v_add_nc_u64_e32 v[78:79], v[68:69], v[42:43]
	v_add_nc_u64_e32 v[82:83], v[70:71], v[42:43]
	global_load_b64 v[8:9], v[78:79], off
	global_load_b64 v[24:25], v[82:83], off
	s_wait_xcnt 0x0
	s_or_b32 exec_lo, exec_lo, s20
	s_and_saveexec_b32 s20, s2
	s_cbranch_execz .LBB30_34
.LBB30_45:                              ;   in Loop: Header=BB30_3 Depth=1
	v_add_nc_u64_e32 v[78:79], v[64:65], v[42:43]
	v_add_nc_u64_e32 v[82:83], v[66:67], v[42:43]
	global_load_b64 v[10:11], v[78:79], off
	global_load_b64 v[26:27], v[82:83], off
	s_wait_xcnt 0x0
	s_or_b32 exec_lo, exec_lo, s20
	s_and_saveexec_b32 s20, s2
	s_cbranch_execz .LBB30_35
.LBB30_46:                              ;   in Loop: Header=BB30_3 Depth=1
	v_add_nc_u64_e32 v[78:79], v[60:61], v[42:43]
	v_add_nc_u64_e32 v[82:83], v[62:63], v[42:43]
	global_load_b64 v[12:13], v[78:79], off
	global_load_b64 v[28:29], v[82:83], off
	s_wait_xcnt 0x0
	s_or_b32 exec_lo, exec_lo, s20
	s_and_saveexec_b32 s20, s2
	s_cbranch_execz .LBB30_36
.LBB30_47:                              ;   in Loop: Header=BB30_3 Depth=1
	v_add_nc_u64_e32 v[78:79], v[56:57], v[42:43]
	v_add_nc_u64_e32 v[82:83], v[58:59], v[42:43]
	global_load_b64 v[14:15], v[78:79], off
	global_load_b64 v[30:31], v[82:83], off
	s_wait_xcnt 0x0
	s_or_b32 exec_lo, exec_lo, s20
	s_and_saveexec_b32 s20, s2
	s_cbranch_execz .LBB30_37
.LBB30_48:                              ;   in Loop: Header=BB30_3 Depth=1
	v_add_nc_u64_e32 v[78:79], v[52:53], v[42:43]
	v_add_nc_u64_e32 v[82:83], v[54:55], v[42:43]
	global_load_b64 v[16:17], v[78:79], off
	global_load_b64 v[32:33], v[82:83], off
	s_wait_xcnt 0x0
	s_or_b32 exec_lo, exec_lo, s20
	s_and_saveexec_b32 s20, s2
	s_cbranch_execnz .LBB30_38
	s_branch .LBB30_39
.LBB30_49:
                                        ; implicit-def: $vgpr36_vgpr37
                                        ; implicit-def: $vgpr40_vgpr41
	s_branch .LBB30_51
.LBB30_50:
	s_cbranch_execnz .LBB30_82
.LBB30_51:
	v_mov_b64_e32 v[36:37], 0
	v_mov_b64_e32 v[40:41], 0
	s_and_not1_b32 vcc_lo, exec_lo, s17
	s_cbranch_vccnz .LBB30_82
; %bb.52:
	v_bfe_u32 v1, v0, 10, 10
	v_mov_b32_e32 v2, 0
	v_and_b32_e32 v110, 0x3ff, v0
	s_load_b32 s2, s[0:1], 0x44
	v_mov_b64_e32 v[40:41], 0
	s_delay_alu instid0(VALU_DEP_3) | instskip(SKIP_3) | instid1(VALU_DEP_3)
	v_dual_mov_b32 v5, v2 :: v_dual_lshlrev_b32 v4, 6, v1
	v_dual_mov_b32 v39, v2 :: v_dual_lshlrev_b32 v38, 3, v1
	v_mov_b64_e32 v[36:37], 0
	s_mov_b64 s[22:23], 7
	v_lshl_add_u64 v[4:5], s[18:19], 3, v[4:5]
	s_mov_b64 s[24:25], s[18:19]
	s_delay_alu instid0(VALU_DEP_1)
	v_add_nc_u64_e32 v[6:7], 8, v[4:5]
	v_add_nc_u64_e32 v[10:11], 16, v[4:5]
	;; [unrolled: 1-line block ×7, first 2 shown]
	v_mad_nc_u64_u32 v[42:43], s6, v6, s[8:9]
	v_mul_lo_u32 v3, s6, v7
	v_mul_lo_u32 v20, s7, v6
	v_mad_nc_u64_u32 v[52:53], s6, v6, s[10:11]
	v_mad_nc_u64_u32 v[46:47], s6, v12, s[8:9]
	v_mul_lo_u32 v26, s6, v13
	v_mad_nc_u64_u32 v[62:63], s6, v4, s[8:9]
	v_mad_nc_u64_u32 v[68:69], s6, v4, s[10:11]
	v_mul_lo_u32 v27, s7, v12
	v_mad_nc_u64_u32 v[48:49], s6, v14, s[8:9]
	v_mul_lo_u32 v28, s6, v15
	v_mul_lo_u32 v29, s7, v14
	v_mad_nc_u64_u32 v[56:57], s6, v12, s[10:11]
	v_add3_u32 v43, v20, v43, v3
	v_add3_u32 v53, v20, v53, v3
	v_mul_lo_u32 v3, s6, v5
	v_mul_lo_u32 v5, s7, v4
	v_add_nc_u32_e32 v4, s3, v110
	v_add_nc_u64_e32 v[8:9], s[18:19], v[38:39]
	v_mad_nc_u64_u32 v[60:61], s6, v14, s[10:11]
	v_mad_nc_u64_u32 v[44:45], s6, v10, s[8:9]
	v_mul_lo_u32 v24, s6, v11
	v_mul_lo_u32 v25, s7, v10
	v_mad_nc_u64_u32 v[54:55], s6, v10, s[10:11]
	v_mad_nc_u64_u32 v[50:51], s6, v16, s[8:9]
	v_add_nc_u64_e32 v[6:7], 7, v[8:9]
	v_add_nc_u64_e32 v[12:13], 6, v[8:9]
	;; [unrolled: 1-line block ×3, first 2 shown]
	v_mul_u64_e32 v[10:11], s[6:7], v[8:9]
	v_add_nc_u64_e32 v[20:21], 4, v[8:9]
	v_add_nc_u64_e32 v[22:23], 3, v[8:9]
	;; [unrolled: 1-line block ×3, first 2 shown]
	v_mul_u64_e32 v[6:7], s[6:7], v[6:7]
	v_mul_u64_e32 v[12:13], s[6:7], v[12:13]
	;; [unrolled: 1-line block ×3, first 2 shown]
	v_mul_lo_u32 v30, s6, v17
	v_mul_lo_u32 v31, s7, v16
	v_mul_u64_e32 v[20:21], s[6:7], v[20:21]
	v_mad_nc_u64_u32 v[64:65], s6, v16, s[10:11]
	v_mul_u64_e32 v[16:17], s[6:7], v[22:23]
	v_mul_u64_e32 v[8:9], s[6:7], v[8:9]
	v_mad_nc_u64_u32 v[58:59], s6, v18, s[8:9]
	v_mul_lo_u32 v19, s6, v19
	v_mul_lo_u32 v32, s7, v18
	v_mad_nc_u64_u32 v[66:67], s6, v18, s[10:11]
	v_add3_u32 v63, v5, v63, v3
	v_add3_u32 v69, v5, v69, v3
	v_mov_b32_e32 v5, v2
	s_mov_b32 s3, 0
	s_wait_kmcnt 0x0
	s_lshl_b32 s20, s2, 3
	s_mov_b32 s21, s3
	v_add3_u32 v45, v25, v45, v24
	v_lshlrev_b64_e32 v[70:71], 3, v[4:5]
	v_add3_u32 v47, v27, v47, v26
	v_add3_u32 v59, v32, v59, v19
	;; [unrolled: 1-line block ×7, first 2 shown]
	v_lshlrev_b64_e32 v[18:19], 3, v[10:11]
	v_add_nc_u64_e32 v[10:11], s[6:7], v[10:11]
	v_add3_u32 v51, v31, v51, v30
	v_add3_u32 v65, v31, v65, v30
	v_lshlrev_b64_e32 v[6:7], 3, v[6:7]
	v_lshlrev_b64_e32 v[4:5], 3, v[12:13]
	v_add_nc_u64_e32 v[72:73], s[8:9], v[18:19]
	v_add_nc_u64_e32 v[74:75], s[10:11], v[18:19]
	v_lshlrev_b64_e32 v[12:13], 3, v[20:21]
	v_add_nc_u64_e32 v[76:77], s[8:9], v[6:7]
	v_add_nc_u64_e32 v[78:79], s[10:11], v[6:7]
	;; [unrolled: 3-line block ×3, first 2 shown]
	v_lshlrev_b64_e32 v[4:5], 3, v[16:17]
	v_lshlrev_b64_e32 v[8:9], 3, v[8:9]
	v_add_nc_u64_e32 v[88:89], s[8:9], v[12:13]
	v_add_nc_u64_e32 v[90:91], s[10:11], v[12:13]
	;; [unrolled: 1-line block ×4, first 2 shown]
	v_lshlrev_b64_e32 v[6:7], 3, v[10:11]
	v_add_nc_u64_e32 v[92:93], s[8:9], v[4:5]
	v_add_nc_u64_e32 v[94:95], s[10:11], v[4:5]
	;; [unrolled: 1-line block ×6, first 2 shown]
	s_mul_u64 s[10:11], s[6:7], s[20:21]
	s_add_nc_u64 s[8:9], s[0:1], 64
	s_lshl_b64 s[10:11], s[10:11], 3
	s_branch .LBB30_56
.LBB30_53:                              ;   in Loop: Header=BB30_56 Depth=1
	s_wait_xcnt 0x0
	s_or_b32 exec_lo, exec_lo, s17
.LBB30_54:                              ;   in Loop: Header=BB30_56 Depth=1
	s_delay_alu instid0(SALU_CYCLE_1)
	s_or_b32 exec_lo, exec_lo, s2
	v_add_nc_u64_e32 v[8:9], v[74:75], v[70:71]
	v_add_nc_u64_e32 v[10:11], v[52:53], v[70:71]
	v_add_nc_u64_e32 v[12:13], v[72:73], v[70:71]
	v_add_nc_u64_e32 v[18:19], v[68:69], v[70:71]
	global_load_b64 v[8:9], v[8:9], off
	global_load_b64 v[14:15], v[10:11], off
	;; [unrolled: 1-line block ×3, first 2 shown]
	s_wait_xcnt 0x1
	v_add_nc_u64_e32 v[10:11], v[54:55], v[70:71]
	s_wait_xcnt 0x0
	v_add_nc_u64_e32 v[12:13], v[42:43], v[70:71]
	global_load_b64 v[20:21], v[10:11], off
	global_load_b64 v[22:23], v[12:13], off
	s_wait_xcnt 0x1
	v_add_nc_u64_e32 v[10:11], v[56:57], v[70:71]
	s_wait_xcnt 0x0
	v_add_nc_u64_e32 v[12:13], v[44:45], v[70:71]
	global_load_b64 v[24:25], v[10:11], off
	global_load_b64 v[26:27], v[12:13], off
	s_wait_xcnt 0x1
	v_add_nc_u64_e32 v[10:11], v[60:61], v[70:71]
	s_wait_xcnt 0x0
	v_add_nc_u64_e32 v[12:13], v[46:47], v[70:71]
	global_load_b64 v[28:29], v[10:11], off
	global_load_b64 v[30:31], v[12:13], off
	s_wait_xcnt 0x1
	v_add_nc_u64_e32 v[10:11], v[64:65], v[70:71]
	s_wait_xcnt 0x0
	v_add_nc_u64_e32 v[12:13], v[48:49], v[70:71]
	global_load_b64 v[32:33], v[10:11], off
	global_load_b64 v[34:35], v[12:13], off
	s_wait_xcnt 0x1
	v_add_nc_u64_e32 v[10:11], v[50:51], v[70:71]
	s_wait_xcnt 0x0
	v_add_nc_u64_e32 v[12:13], v[66:67], v[70:71]
	global_load_b64 v[104:105], v[10:11], off
	global_load_b64 v[106:107], v[12:13], off
	global_load_b64 v[108:109], v[18:19], off
	s_wait_xcnt 0x2
	v_add_nc_u64_e32 v[10:11], v[58:59], v[70:71]
	s_wait_xcnt 0x1
	v_add_nc_u64_e32 v[12:13], v[62:63], v[70:71]
	global_load_b64 v[112:113], v[10:11], off
	global_load_b64 v[18:19], v[12:13], off
	s_wait_loadcnt 0x11
	s_wait_xcnt 0x1
	ds_bpermute_b32 v10, v2, v6
	ds_bpermute_b32 v11, v2, v7
	s_wait_xcnt 0x0
	ds_bpermute_b32 v12, v2, v6 offset:8
	ds_bpermute_b32 v13, v2, v7 offset:8
	s_wait_loadcnt_dscnt 0xf02
	v_add_f64_e64 v[8:9], v[8:9], -v[10:11]
	ds_bpermute_b32 v10, v2, v6 offset:4
	ds_bpermute_b32 v11, v2, v7 offset:4
	s_wait_loadcnt_dscnt 0xc02
	v_add_f64_e64 v[12:13], v[20:21], -v[12:13]
	s_wait_dscnt 0x0
	v_add_f64_e64 v[10:11], v[14:15], -v[10:11]
	ds_bpermute_b32 v14, v2, v4
	ds_bpermute_b32 v15, v2, v5
	v_mul_f64_e32 v[8:9], v[16:17], v[8:9]
	s_wait_loadcnt 0x9
	v_mul_f64_e32 v[12:13], v[26:27], v[12:13]
	v_mul_f64_e32 v[10:11], v[22:23], v[10:11]
	s_wait_dscnt 0x0
	s_delay_alu instid0(VALU_DEP_3)
	v_fmac_f64_e32 v[40:41], v[8:9], v[14:15]
	v_add_f64_e32 v[8:9], v[36:37], v[16:17]
	ds_bpermute_b32 v14, v2, v6 offset:12
	ds_bpermute_b32 v15, v2, v7 offset:12
	;; [unrolled: 1-line block ×4, first 2 shown]
	s_wait_dscnt 0x2
	v_add_f64_e64 v[14:15], v[24:25], -v[14:15]
	s_wait_dscnt 0x0
	v_fmac_f64_e32 v[40:41], v[10:11], v[16:17]
	v_add_f64_e32 v[8:9], v[8:9], v[22:23]
	ds_bpermute_b32 v10, v2, v6 offset:16
	ds_bpermute_b32 v11, v2, v7 offset:16
	;; [unrolled: 1-line block ×4, first 2 shown]
	s_wait_loadcnt_dscnt 0x802
	v_add_f64_e64 v[10:11], v[28:29], -v[10:11]
	s_wait_loadcnt 0x7
	v_mul_f64_e32 v[14:15], v[30:31], v[14:15]
	s_wait_dscnt 0x0
	v_fmac_f64_e32 v[40:41], v[12:13], v[16:17]
	v_add_f64_e32 v[8:9], v[8:9], v[26:27]
	ds_bpermute_b32 v12, v2, v6 offset:20
	ds_bpermute_b32 v13, v2, v7 offset:20
	;; [unrolled: 1-line block ×4, first 2 shown]
	s_wait_loadcnt_dscnt 0x602
	v_add_f64_e64 v[12:13], v[32:33], -v[12:13]
	s_wait_loadcnt 0x5
	v_mul_f64_e32 v[10:11], v[34:35], v[10:11]
	s_wait_dscnt 0x0
	v_fmac_f64_e32 v[40:41], v[14:15], v[16:17]
	v_add_f64_e32 v[8:9], v[8:9], v[30:31]
	ds_bpermute_b32 v14, v2, v6 offset:24
	ds_bpermute_b32 v16, v2, v4 offset:16
	;; [unrolled: 1-line block ×6, first 2 shown]
	s_wait_loadcnt 0x4
	v_mul_f64_e32 v[12:13], v[104:105], v[12:13]
	s_wait_loadcnt_dscnt 0x200
	v_add_f64_e64 v[6:7], v[108:109], -v[6:7]
	v_fmac_f64_e32 v[40:41], v[10:11], v[16:17]
	v_add_f64_e64 v[10:11], v[106:107], -v[14:15]
	v_add_f64_e32 v[8:9], v[8:9], v[34:35]
	ds_bpermute_b32 v14, v2, v4 offset:20
	ds_bpermute_b32 v15, v2, v5 offset:20
	s_wait_dscnt 0x0
	v_fmac_f64_e32 v[40:41], v[12:13], v[14:15]
	s_wait_loadcnt 0x1
	v_mul_f64_e32 v[10:11], v[112:113], v[10:11]
	v_add_f64_e32 v[8:9], v[8:9], v[104:105]
	s_wait_loadcnt 0x0
	v_mul_f64_e32 v[12:13], v[18:19], v[6:7]
	ds_bpermute_b32 v6, v2, v4 offset:24
	ds_bpermute_b32 v7, v2, v5 offset:24
	;; [unrolled: 1-line block ×4, first 2 shown]
	s_wait_dscnt 0x2
	v_fmac_f64_e32 v[40:41], v[10:11], v[6:7]
	v_add_f64_e32 v[6:7], v[8:9], v[112:113]
	s_wait_dscnt 0x0
	v_mul_f64_e32 v[8:9], v[12:13], v[4:5]
	s_delay_alu instid0(VALU_DEP_3)
	v_mov_b64_e32 v[4:5], v[40:41]
.LBB30_55:                              ;   in Loop: Header=BB30_56 Depth=1
	s_delay_alu instid0(VALU_DEP_1) | instskip(NEXT) | instid1(VALU_DEP_4)
	v_add_f64_e32 v[40:41], v[4:5], v[8:9]
	v_add_f64_e32 v[36:37], v[6:7], v[18:19]
	s_add_nc_u64 s[24:25], s[24:25], s[20:21]
	v_add_nc_u64_e32 v[72:73], s[10:11], v[72:73]
	v_cmp_ge_i64_e64 s2, s[24:25], s[4:5]
	v_add_nc_u64_e32 v[74:75], s[10:11], v[74:75]
	v_add_nc_u64_e32 v[38:39], s[20:21], v[38:39]
	;; [unrolled: 1-line block ×30, first 2 shown]
	s_and_b32 vcc_lo, exec_lo, s2
	s_add_nc_u64 s[22:23], s[22:23], s[20:21]
	s_cbranch_vccnz .LBB30_82
.LBB30_56:                              ; =>This Inner Loop Header: Depth=1
	s_add_nc_u64 s[26:27], s[18:19], s[22:23]
	v_add_nc_u64_e32 v[104:105], s[18:19], v[38:39]
	v_cmp_ge_i64_e64 s2, s[26:27], s[4:5]
                                        ; implicit-def: $vgpr18_vgpr19
                                        ; implicit-def: $vgpr8_vgpr9
                                        ; implicit-def: $vgpr6_vgpr7
                                        ; implicit-def: $vgpr4_vgpr5
	s_and_b32 vcc_lo, exec_lo, s2
	s_mov_b32 s2, -1
	s_cbranch_vccz .LBB30_78
; %bb.57:                               ;   in Loop: Header=BB30_56 Depth=1
	s_load_b32 s2, s[8:9], 0xc
	v_mov_b64_e32 v[106:107], 0
	v_mov_b64_e32 v[108:109], 0
	s_wait_kmcnt 0x0
	s_and_b32 s2, s2, 0xffff
	s_delay_alu instid0(SALU_CYCLE_1) | instskip(SKIP_1) | instid1(VALU_DEP_1)
	v_mad_u32_u24 v3, v1, s2, v110
	s_mov_b32 s2, exec_lo
	v_and_b32_e32 v4, 31, v3
	s_delay_alu instid0(VALU_DEP_1)
	v_cmpx_gt_u32_e32 8, v4
	s_cbranch_execz .LBB30_61
; %bb.58:                               ;   in Loop: Header=BB30_56 Depth=1
	v_mov_b32_e32 v5, v2
	v_mov_b64_e32 v[108:109], 0
	v_mov_b64_e32 v[106:107], 0
	s_mov_b32 s17, exec_lo
	s_delay_alu instid0(VALU_DEP_3) | instskip(NEXT) | instid1(VALU_DEP_1)
	v_add_nc_u64_e32 v[4:5], v[104:105], v[4:5]
	v_cmpx_gt_i64_e64 s[4:5], v[4:5]
	s_cbranch_execz .LBB30_60
; %bb.59:                               ;   in Loop: Header=BB30_56 Depth=1
	v_lshlrev_b64_e32 v[4:5], 3, v[4:5]
	s_delay_alu instid0(VALU_DEP_1)
	v_add_nc_u64_e32 v[6:7], s[12:13], v[4:5]
	v_add_nc_u64_e32 v[4:5], s[14:15], v[4:5]
	global_load_b64 v[108:109], v[6:7], off
	global_load_b64 v[106:107], v[4:5], off
.LBB30_60:                              ;   in Loop: Header=BB30_56 Depth=1
	s_wait_xcnt 0x0
	s_or_b32 exec_lo, exec_lo, s17
.LBB30_61:                              ;   in Loop: Header=BB30_56 Depth=1
	s_delay_alu instid0(SALU_CYCLE_1)
	s_or_b32 exec_lo, exec_lo, s2
	v_dual_mov_b32 v15, v2 :: v_dual_mov_b32 v16, v2
	v_dual_mov_b32 v17, v2 :: v_dual_mov_b32 v3, v2
	;; [unrolled: 1-line block ×7, first 2 shown]
	v_mov_b32_e32 v14, v2
	v_mov_b64_e32 v[34:35], v[16:17]
	s_delay_alu instid0(VALU_DEP_4)
	v_mov_b64_e32 v[28:29], v[10:11]
	v_mov_b64_e32 v[26:27], v[8:9]
	v_mov_b64_e32 v[30:31], v[12:13]
	v_mov_b64_e32 v[32:33], v[14:15]
	v_mov_b64_e32 v[24:25], v[6:7]
	v_mov_b64_e32 v[22:23], v[4:5]
	v_mov_b64_e32 v[20:21], v[2:3]
	v_mov_b64_e32 v[18:19], v[16:17]
	v_mov_b64_e32 v[16:17], v[14:15]
	v_mov_b64_e32 v[14:15], v[12:13]
	v_mov_b64_e32 v[12:13], v[10:11]
	v_mov_b64_e32 v[10:11], v[8:9]
	v_mov_b64_e32 v[8:9], v[6:7]
	v_mov_b64_e32 v[6:7], v[4:5]
	v_mov_b64_e32 v[4:5], v[2:3]
	s_mov_b32 s2, exec_lo
	v_cmpx_gt_i64_e64 s[4:5], v[104:105]
	s_cbranch_execz .LBB30_63
; %bb.62:                               ;   in Loop: Header=BB30_56 Depth=1
	v_add_nc_u64_e32 v[6:7], v[72:73], v[70:71]
	v_add_nc_u64_e32 v[8:9], v[74:75], v[70:71]
	v_dual_mov_b32 v10, v2 :: v_dual_mov_b32 v11, v2
	v_dual_mov_b32 v12, v2 :: v_dual_mov_b32 v13, v2
	v_dual_mov_b32 v14, v2 :: v_dual_mov_b32 v15, v2
	global_load_b64 v[4:5], v[6:7], off
	global_load_b64 v[20:21], v[8:9], off
	s_wait_xcnt 0x1
	v_dual_mov_b32 v6, v2 :: v_dual_mov_b32 v7, v2
	s_wait_xcnt 0x0
	v_dual_mov_b32 v8, v2 :: v_dual_mov_b32 v9, v2
	v_dual_mov_b32 v16, v2 :: v_dual_mov_b32 v17, v2
	;; [unrolled: 1-line block ×10, first 2 shown]
.LBB30_63:                              ;   in Loop: Header=BB30_56 Depth=1
	s_or_b32 exec_lo, exec_lo, s2
	v_add_nc_u64_e32 v[112:113], 1, v[104:105]
	s_mov_b32 s2, exec_lo
	s_delay_alu instid0(VALU_DEP_1)
	v_cmpx_gt_i64_e64 s[4:5], v[112:113]
	s_cbranch_execz .LBB30_65
; %bb.64:                               ;   in Loop: Header=BB30_56 Depth=1
	v_add_nc_u64_e32 v[112:113], v[100:101], v[70:71]
	v_add_nc_u64_e32 v[114:115], v[102:103], v[70:71]
	global_load_b64 v[6:7], v[112:113], off
	global_load_b64 v[22:23], v[114:115], off
.LBB30_65:                              ;   in Loop: Header=BB30_56 Depth=1
	s_wait_xcnt 0x0
	s_or_b32 exec_lo, exec_lo, s2
	v_add_nc_u64_e32 v[112:113], 2, v[104:105]
	s_mov_b32 s2, exec_lo
	s_delay_alu instid0(VALU_DEP_1)
	v_cmpx_gt_i64_e64 s[4:5], v[112:113]
	s_cbranch_execz .LBB30_67
; %bb.66:                               ;   in Loop: Header=BB30_56 Depth=1
	v_add_nc_u64_e32 v[112:113], v[96:97], v[70:71]
	v_add_nc_u64_e32 v[114:115], v[98:99], v[70:71]
	global_load_b64 v[8:9], v[112:113], off
	global_load_b64 v[24:25], v[114:115], off
.LBB30_67:                              ;   in Loop: Header=BB30_56 Depth=1
	s_wait_xcnt 0x0
	;; [unrolled: 13-line block ×7, first 2 shown]
	s_or_b32 exec_lo, exec_lo, s2
	s_wait_loadcnt 0x1
	ds_bpermute_b32 v112, v2, v108
	ds_bpermute_b32 v113, v2, v109
	s_wait_loadcnt 0x0
	ds_bpermute_b32 v114, v2, v106
	ds_bpermute_b32 v115, v2, v107
	v_add_f64_e32 v[116:117], v[36:37], v[4:5]
	s_mov_b32 s2, 0
	s_wait_dscnt 0x2
	v_add_f64_e64 v[20:21], v[20:21], -v[112:113]
	ds_bpermute_b32 v112, v2, v108 offset:4
	ds_bpermute_b32 v113, v2, v109 offset:4
	s_wait_dscnt 0x0
	v_add_f64_e64 v[22:23], v[22:23], -v[112:113]
	ds_bpermute_b32 v112, v2, v108 offset:8
	ds_bpermute_b32 v113, v2, v109 offset:8
	v_mul_f64_e32 v[20:21], v[4:5], v[20:21]
	s_wait_dscnt 0x0
	v_add_f64_e64 v[24:25], v[24:25], -v[112:113]
	ds_bpermute_b32 v112, v2, v106 offset:4
	ds_bpermute_b32 v113, v2, v107 offset:4
	v_mul_f64_e32 v[22:23], v[6:7], v[22:23]
	v_add_f64_e32 v[6:7], v[6:7], v[116:117]
	v_fma_f64 v[4:5], v[20:21], v[114:115], v[40:41]
	ds_bpermute_b32 v20, v2, v108 offset:12
	ds_bpermute_b32 v21, v2, v109 offset:12
	v_mul_f64_e32 v[24:25], v[8:9], v[24:25]
	s_wait_dscnt 0x0
	v_add_f64_e64 v[20:21], v[26:27], -v[20:21]
	ds_bpermute_b32 v26, v2, v106 offset:8
	ds_bpermute_b32 v27, v2, v107 offset:8
	v_add_f64_e32 v[6:7], v[8:9], v[6:7]
	ds_bpermute_b32 v8, v2, v108 offset:20
	ds_bpermute_b32 v9, v2, v109 offset:20
	v_fmac_f64_e32 v[4:5], v[22:23], v[112:113]
	ds_bpermute_b32 v22, v2, v108 offset:16
	ds_bpermute_b32 v23, v2, v109 offset:16
	s_wait_dscnt 0x2
	v_add_f64_e64 v[8:9], v[30:31], -v[8:9]
	s_wait_dscnt 0x0
	v_add_f64_e64 v[22:23], v[28:29], -v[22:23]
	v_mul_f64_e32 v[20:21], v[10:11], v[20:21]
	v_add_f64_e32 v[6:7], v[10:11], v[6:7]
	ds_bpermute_b32 v10, v2, v108 offset:24
	ds_bpermute_b32 v11, v2, v109 offset:24
	v_fmac_f64_e32 v[4:5], v[24:25], v[26:27]
	ds_bpermute_b32 v24, v2, v106 offset:12
	ds_bpermute_b32 v25, v2, v107 offset:12
	s_wait_dscnt 0x2
	v_add_f64_e64 v[10:11], v[32:33], -v[10:11]
	v_mul_f64_e32 v[8:9], v[14:15], v[8:9]
	v_mul_f64_e32 v[22:23], v[12:13], v[22:23]
	v_add_f64_e32 v[6:7], v[12:13], v[6:7]
	s_wait_dscnt 0x0
	v_fmac_f64_e32 v[4:5], v[20:21], v[24:25]
	ds_bpermute_b32 v20, v2, v106 offset:16
	ds_bpermute_b32 v21, v2, v107 offset:16
	;; [unrolled: 1-line block ×4, first 2 shown]
	v_mul_f64_e32 v[10:11], v[16:17], v[10:11]
	s_wait_dscnt 0x0
	v_add_f64_e64 v[12:13], v[34:35], -v[24:25]
	v_add_f64_e32 v[6:7], v[14:15], v[6:7]
	ds_bpermute_b32 v14, v2, v106 offset:28
	ds_bpermute_b32 v15, v2, v107 offset:28
	v_fmac_f64_e32 v[4:5], v[22:23], v[20:21]
	ds_bpermute_b32 v20, v2, v106 offset:20
	ds_bpermute_b32 v21, v2, v107 offset:20
	v_add_f64_e32 v[6:7], v[16:17], v[6:7]
	s_wait_dscnt 0x0
	v_fmac_f64_e32 v[4:5], v[8:9], v[20:21]
	v_mul_f64_e32 v[8:9], v[18:19], v[12:13]
	ds_bpermute_b32 v12, v2, v106 offset:24
	ds_bpermute_b32 v13, v2, v107 offset:24
	s_wait_dscnt 0x0
	v_fmac_f64_e32 v[4:5], v[10:11], v[12:13]
	v_mul_f64_e32 v[8:9], v[8:9], v[14:15]
.LBB30_78:                              ;   in Loop: Header=BB30_56 Depth=1
	s_and_b32 vcc_lo, exec_lo, s2
	s_cbranch_vccz .LBB30_55
; %bb.79:                               ;   in Loop: Header=BB30_56 Depth=1
	s_load_b32 s2, s[8:9], 0x0
	v_mov_b64_e32 v[4:5], 0
	v_mov_b64_e32 v[6:7], 0
	s_wait_kmcnt 0x0
	s_cmp_lt_u32 s16, s2
	s_cselect_b32 s2, 12, 18
	s_delay_alu instid0(SALU_CYCLE_1) | instskip(SKIP_4) | instid1(VALU_DEP_1)
	s_add_nc_u64 s[26:27], s[8:9], s[2:3]
	s_load_u16 s2, s[26:27], 0x0
	s_wait_kmcnt 0x0
	v_mad_u32_u24 v3, v1, s2, v110
	s_mov_b32 s2, exec_lo
	v_and_b32_e32 v8, 31, v3
	s_delay_alu instid0(VALU_DEP_1)
	v_cmpx_gt_u32_e32 8, v8
	s_cbranch_execz .LBB30_54
; %bb.80:                               ;   in Loop: Header=BB30_56 Depth=1
	v_mov_b32_e32 v9, v2
	v_mov_b64_e32 v[6:7], 0
	v_mov_b64_e32 v[4:5], 0
	s_mov_b32 s17, exec_lo
	s_delay_alu instid0(VALU_DEP_3) | instskip(NEXT) | instid1(VALU_DEP_1)
	v_add_nc_u64_e32 v[8:9], v[104:105], v[8:9]
	v_cmpx_gt_i64_e64 s[4:5], v[8:9]
	s_cbranch_execz .LBB30_53
; %bb.81:                               ;   in Loop: Header=BB30_56 Depth=1
	v_lshlrev_b64_e32 v[4:5], 3, v[8:9]
	s_delay_alu instid0(VALU_DEP_1)
	v_add_nc_u64_e32 v[8:9], s[12:13], v[4:5]
	v_add_nc_u64_e32 v[10:11], s[14:15], v[4:5]
	global_load_b64 v[6:7], v[8:9], off
	global_load_b64 v[4:5], v[10:11], off
	s_branch .LBB30_53
.LBB30_82:
	s_mov_b32 s17, 0
	s_delay_alu instid0(SALU_CYCLE_1) | instskip(NEXT) | instid1(SALU_CYCLE_1)
	s_lshl_b64 s[2:3], s[16:17], 6
	v_and_or_b32 v2, 0x3ff, v0, s2
	v_mov_b32_e32 v3, s3
	s_mov_b32 s2, exec_lo
	s_delay_alu instid0(VALU_DEP_1)
	v_cmpx_gt_i64_e64 s[6:7], v[2:3]
	s_cbranch_execz .LBB30_87
; %bb.83:
	s_load_u16 s2, s[0:1], 0x4e
	v_bfe_u32 v0, v0, 10, 10
	v_mov_b32_e32 v1, 0
	s_wait_kmcnt 0x0
	s_delay_alu instid0(VALU_DEP_1) | instskip(SKIP_1) | instid1(VALU_DEP_1)
	v_mad_nc_u64_u32 v[0:1], s2, s33, v[0:1]
	s_load_b128 s[0:3], s[0:1], 0x30
	v_mul_u64_e32 v[0:1], s[6:7], v[0:1]
	s_wait_kmcnt 0x0
	s_cmp_eq_u64 s[0:1], 0
	s_cbranch_scc1 .LBB30_85
; %bb.84:
	s_delay_alu instid0(VALU_DEP_1) | instskip(NEXT) | instid1(VALU_DEP_1)
	v_lshl_add_u64 v[4:5], v[0:1], 3, s[0:1]
	v_lshl_add_u64 v[4:5], v[2:3], 3, v[4:5]
	global_store_b64 v[4:5], v[40:41], off
.LBB30_85:
	s_cmp_eq_u64 s[2:3], 0
	s_cbranch_scc1 .LBB30_87
; %bb.86:
	s_delay_alu instid0(VALU_DEP_1) | instskip(NEXT) | instid1(VALU_DEP_1)
	v_lshl_add_u64 v[0:1], v[0:1], 3, s[2:3]
	v_lshl_add_u64 v[0:1], v[2:3], 3, v[0:1]
	global_store_b64 v[0:1], v[36:37], off
.LBB30_87:
	s_sendmsg sendmsg(MSG_DEALLOC_VGPRS)
	s_endpgm
	.section	.rodata,"a",@progbits
	.p2align	6, 0x0
	.amdhsa_kernel _ZN2at6native12_GLOBAL__N_135GammaBetaBackwardCUDAKernelTemplateIddLj64ELj1ELj8ELb1ELb0ELb0EEEvllPKT_S5_PKT0_S8_PS3_S9_
		.amdhsa_group_segment_fixed_size 0
		.amdhsa_private_segment_fixed_size 0
		.amdhsa_kernarg_size 320
		.amdhsa_user_sgpr_count 2
		.amdhsa_user_sgpr_dispatch_ptr 0
		.amdhsa_user_sgpr_queue_ptr 0
		.amdhsa_user_sgpr_kernarg_segment_ptr 1
		.amdhsa_user_sgpr_dispatch_id 0
		.amdhsa_user_sgpr_kernarg_preload_length 0
		.amdhsa_user_sgpr_kernarg_preload_offset 0
		.amdhsa_user_sgpr_private_segment_size 0
		.amdhsa_wavefront_size32 1
		.amdhsa_uses_dynamic_stack 0
		.amdhsa_enable_private_segment 0
		.amdhsa_system_sgpr_workgroup_id_x 1
		.amdhsa_system_sgpr_workgroup_id_y 1
		.amdhsa_system_sgpr_workgroup_id_z 0
		.amdhsa_system_sgpr_workgroup_info 0
		.amdhsa_system_vgpr_workitem_id 1
		.amdhsa_next_free_vgpr 118
		.amdhsa_next_free_sgpr 36
		.amdhsa_named_barrier_count 0
		.amdhsa_reserve_vcc 1
		.amdhsa_float_round_mode_32 0
		.amdhsa_float_round_mode_16_64 0
		.amdhsa_float_denorm_mode_32 3
		.amdhsa_float_denorm_mode_16_64 3
		.amdhsa_fp16_overflow 0
		.amdhsa_memory_ordered 1
		.amdhsa_forward_progress 1
		.amdhsa_inst_pref_size 53
		.amdhsa_round_robin_scheduling 0
		.amdhsa_exception_fp_ieee_invalid_op 0
		.amdhsa_exception_fp_denorm_src 0
		.amdhsa_exception_fp_ieee_div_zero 0
		.amdhsa_exception_fp_ieee_overflow 0
		.amdhsa_exception_fp_ieee_underflow 0
		.amdhsa_exception_fp_ieee_inexact 0
		.amdhsa_exception_int_div_zero 0
	.end_amdhsa_kernel
	.section	.text._ZN2at6native12_GLOBAL__N_135GammaBetaBackwardCUDAKernelTemplateIddLj64ELj1ELj8ELb1ELb0ELb0EEEvllPKT_S5_PKT0_S8_PS3_S9_,"axG",@progbits,_ZN2at6native12_GLOBAL__N_135GammaBetaBackwardCUDAKernelTemplateIddLj64ELj1ELj8ELb1ELb0ELb0EEEvllPKT_S5_PKT0_S8_PS3_S9_,comdat
.Lfunc_end30:
	.size	_ZN2at6native12_GLOBAL__N_135GammaBetaBackwardCUDAKernelTemplateIddLj64ELj1ELj8ELb1ELb0ELb0EEEvllPKT_S5_PKT0_S8_PS3_S9_, .Lfunc_end30-_ZN2at6native12_GLOBAL__N_135GammaBetaBackwardCUDAKernelTemplateIddLj64ELj1ELj8ELb1ELb0ELb0EEEvllPKT_S5_PKT0_S8_PS3_S9_
                                        ; -- End function
	.set _ZN2at6native12_GLOBAL__N_135GammaBetaBackwardCUDAKernelTemplateIddLj64ELj1ELj8ELb1ELb0ELb0EEEvllPKT_S5_PKT0_S8_PS3_S9_.num_vgpr, 118
	.set _ZN2at6native12_GLOBAL__N_135GammaBetaBackwardCUDAKernelTemplateIddLj64ELj1ELj8ELb1ELb0ELb0EEEvllPKT_S5_PKT0_S8_PS3_S9_.num_agpr, 0
	.set _ZN2at6native12_GLOBAL__N_135GammaBetaBackwardCUDAKernelTemplateIddLj64ELj1ELj8ELb1ELb0ELb0EEEvllPKT_S5_PKT0_S8_PS3_S9_.numbered_sgpr, 36
	.set _ZN2at6native12_GLOBAL__N_135GammaBetaBackwardCUDAKernelTemplateIddLj64ELj1ELj8ELb1ELb0ELb0EEEvllPKT_S5_PKT0_S8_PS3_S9_.num_named_barrier, 0
	.set _ZN2at6native12_GLOBAL__N_135GammaBetaBackwardCUDAKernelTemplateIddLj64ELj1ELj8ELb1ELb0ELb0EEEvllPKT_S5_PKT0_S8_PS3_S9_.private_seg_size, 0
	.set _ZN2at6native12_GLOBAL__N_135GammaBetaBackwardCUDAKernelTemplateIddLj64ELj1ELj8ELb1ELb0ELb0EEEvllPKT_S5_PKT0_S8_PS3_S9_.uses_vcc, 1
	.set _ZN2at6native12_GLOBAL__N_135GammaBetaBackwardCUDAKernelTemplateIddLj64ELj1ELj8ELb1ELb0ELb0EEEvllPKT_S5_PKT0_S8_PS3_S9_.uses_flat_scratch, 0
	.set _ZN2at6native12_GLOBAL__N_135GammaBetaBackwardCUDAKernelTemplateIddLj64ELj1ELj8ELb1ELb0ELb0EEEvllPKT_S5_PKT0_S8_PS3_S9_.has_dyn_sized_stack, 0
	.set _ZN2at6native12_GLOBAL__N_135GammaBetaBackwardCUDAKernelTemplateIddLj64ELj1ELj8ELb1ELb0ELb0EEEvllPKT_S5_PKT0_S8_PS3_S9_.has_recursion, 0
	.set _ZN2at6native12_GLOBAL__N_135GammaBetaBackwardCUDAKernelTemplateIddLj64ELj1ELj8ELb1ELb0ELb0EEEvllPKT_S5_PKT0_S8_PS3_S9_.has_indirect_call, 0
	.section	.AMDGPU.csdata,"",@progbits
; Kernel info:
; codeLenInByte = 6724
; TotalNumSgprs: 38
; NumVgprs: 118
; ScratchSize: 0
; MemoryBound: 1
; FloatMode: 240
; IeeeMode: 1
; LDSByteSize: 0 bytes/workgroup (compile time only)
; SGPRBlocks: 0
; VGPRBlocks: 7
; NumSGPRsForWavesPerEU: 38
; NumVGPRsForWavesPerEU: 118
; NamedBarCnt: 0
; Occupancy: 8
; WaveLimiterHint : 0
; COMPUTE_PGM_RSRC2:SCRATCH_EN: 0
; COMPUTE_PGM_RSRC2:USER_SGPR: 2
; COMPUTE_PGM_RSRC2:TRAP_HANDLER: 0
; COMPUTE_PGM_RSRC2:TGID_X_EN: 1
; COMPUTE_PGM_RSRC2:TGID_Y_EN: 1
; COMPUTE_PGM_RSRC2:TGID_Z_EN: 0
; COMPUTE_PGM_RSRC2:TIDIG_COMP_CNT: 1
	.section	.text._ZN2at6native12_GLOBAL__N_135GammaBetaBackwardCUDAKernelTemplateIddLj64ELj8ELj64ELb0ELb1ELb0EEEvllPKT_S5_PKT0_S8_PS3_S9_,"axG",@progbits,_ZN2at6native12_GLOBAL__N_135GammaBetaBackwardCUDAKernelTemplateIddLj64ELj8ELj64ELb0ELb1ELb0EEEvllPKT_S5_PKT0_S8_PS3_S9_,comdat
	.globl	_ZN2at6native12_GLOBAL__N_135GammaBetaBackwardCUDAKernelTemplateIddLj64ELj8ELj64ELb0ELb1ELb0EEEvllPKT_S5_PKT0_S8_PS3_S9_ ; -- Begin function _ZN2at6native12_GLOBAL__N_135GammaBetaBackwardCUDAKernelTemplateIddLj64ELj8ELj64ELb0ELb1ELb0EEEvllPKT_S5_PKT0_S8_PS3_S9_
	.p2align	8
	.type	_ZN2at6native12_GLOBAL__N_135GammaBetaBackwardCUDAKernelTemplateIddLj64ELj8ELj64ELb0ELb1ELb0EEEvllPKT_S5_PKT0_S8_PS3_S9_,@function
_ZN2at6native12_GLOBAL__N_135GammaBetaBackwardCUDAKernelTemplateIddLj64ELj8ELj64ELb0ELb1ELb0EEEvllPKT_S5_PKT0_S8_PS3_S9_: ; @_ZN2at6native12_GLOBAL__N_135GammaBetaBackwardCUDAKernelTemplateIddLj64ELj8ELj64ELb0ELb1ELb0EEEvllPKT_S5_PKT0_S8_PS3_S9_
; %bb.0:
	s_load_b128 s[12:15], s[0:1], 0x0
	s_bfe_u32 s2, ttmp6, 0x40010
	s_bfe_u32 s4, ttmp6, 0x40004
	s_add_co_i32 s2, s2, 1
	s_getreg_b32 s3, hwreg(HW_REG_IB_STS2, 6, 4)
	s_mul_i32 s2, ttmp7, s2
	s_mov_b32 s17, 0
	s_add_co_i32 s4, s4, s2
	s_cmp_eq_u32 s3, 0
	v_bfe_u32 v17, v0, 10, 10
	s_cselect_b32 s2, ttmp7, s4
	s_delay_alu instid0(SALU_CYCLE_1)
	s_lshl_b32 s16, s2, 6
	s_wait_kmcnt 0x0
	v_cmp_gt_i64_e64 s2, s[12:13], s[16:17]
	s_and_b32 vcc_lo, exec_lo, s2
	s_cbranch_vccnz .LBB31_2
; %bb.1:
	v_bfe_u32 v1, v0, 10, 10
	s_mov_b32 s2, s17
	s_branch .LBB31_3
.LBB31_2:
	s_mov_b32 s2, -1
                                        ; implicit-def: $vgpr1
.LBB31_3:
	v_mov_b64_e32 v[14:15], 0
	v_mov_b64_e32 v[2:3], 0
	v_and_b32_e32 v16, 0x3ff, v0
	s_and_not1_b32 vcc_lo, exec_lo, s2
	s_cbranch_vccnz .LBB31_11
; %bb.4:
	v_dual_mov_b32 v1, 0 :: v_dual_lshlrev_b32 v0, 3, v17
	s_load_b32 s2, s[0:1], 0x4c
	s_bfe_u32 s21, ttmp6, 0x4000c
	s_clause 0x1
	s_load_b32 s18, s[0:1], 0x44
	s_load_b256 s[4:11], s[0:1], 0x10
	s_add_co_i32 s21, s21, 1
	v_add_nc_u64_e32 v[2:3], s[16:17], v[0:1]
	s_and_b32 s20, ttmp6, 15
	s_mul_i32 s21, ttmp9, s21
	v_dual_mov_b32 v19, 12 :: v_dual_mov_b32 v7, v1
	s_add_co_i32 s20, s20, s21
	v_mov_b64_e32 v[14:15], 0
	s_delay_alu instid0(VALU_DEP_3)
	v_mul_u64_e32 v[8:9], s[14:15], v[2:3]
	s_mov_b32 s19, 0
	v_dual_mov_b32 v0, 8 :: v_dual_mov_b32 v18, 4
	v_dual_mov_b32 v20, 16 :: v_dual_mov_b32 v21, 20
	;; [unrolled: 1-line block ×3, first 2 shown]
	s_wait_kmcnt 0x0
	s_and_b32 s2, s2, 0xffff
	s_cmp_eq_u32 s3, 0
	v_mad_u32_u24 v4, v17, s2, v16
	v_mov_b32_e32 v11, v1
	s_cselect_b32 s2, ttmp9, s20
	s_lshl_b32 s18, s18, 6
	v_lshl_add_u32 v10, s2, 6, v16
	v_and_b32_e32 v6, 31, v4
	s_mul_u64 s[22:23], s[14:15], s[18:19]
	s_lshl_b64 s[20:21], s[18:19], 3
	s_lshl_b64 s[22:23], s[22:23], 3
	v_lshlrev_b64_e32 v[10:11], 3, v[10:11]
	v_add_nc_u64_e32 v[4:5], v[2:3], v[6:7]
	v_mov_b64_e32 v[2:3], 0
	v_cmp_gt_u32_e64 s2, 8, v6
	s_lshl_b64 s[14:15], s[14:15], 3
	v_lshlrev_b64_e32 v[6:7], 3, v[4:5]
	v_lshl_add_u64 v[8:9], v[8:9], 3, v[10:11]
	s_branch .LBB31_7
.LBB31_5:                               ;   in Loop: Header=BB31_7 Depth=1
	s_wait_xcnt 0x0
	s_or_b32 exec_lo, exec_lo, s25
.LBB31_6:                               ;   in Loop: Header=BB31_7 Depth=1
	s_delay_alu instid0(SALU_CYCLE_1)
	s_or_b32 exec_lo, exec_lo, s24
	v_add_nc_u64_e32 v[24:25], s[6:7], v[8:9]
	v_add_nc_u64_e32 v[28:29], s[4:5], v[8:9]
	s_wait_loadcnt 0x0
	ds_bpermute_b32 v58, v1, v10
	ds_bpermute_b32 v59, v1, v11
	s_add_nc_u64 s[16:17], s[16:17], s[18:19]
	v_add_nc_u64_e32 v[6:7], s[20:21], v[6:7]
	v_cmp_lt_i64_e64 s24, s[16:17], s[12:13]
	global_load_b64 v[26:27], v[24:25], off
	s_wait_xcnt 0x0
	v_add_nc_u64_e32 v[24:25], s[14:15], v[24:25]
	v_add_nc_u64_e32 v[4:5], s[18:19], v[4:5]
	;; [unrolled: 1-line block ×3, first 2 shown]
	global_load_b64 v[30:31], v[24:25], off
	global_load_b64 v[32:33], v[28:29], off
	s_wait_xcnt 0x1
	v_add_nc_u64_e32 v[24:25], s[14:15], v[24:25]
	s_wait_xcnt 0x0
	v_add_nc_u64_e32 v[28:29], s[14:15], v[28:29]
	s_and_b32 vcc_lo, exec_lo, s24
	global_load_b64 v[34:35], v[24:25], off
	global_load_b64 v[36:37], v[28:29], off
	s_wait_xcnt 0x1
	v_add_nc_u64_e32 v[24:25], s[14:15], v[24:25]
	s_wait_xcnt 0x0
	v_add_nc_u64_e32 v[28:29], s[14:15], v[28:29]
	global_load_b64 v[38:39], v[24:25], off
	global_load_b64 v[40:41], v[28:29], off
	s_wait_xcnt 0x1
	v_add_nc_u64_e32 v[24:25], s[14:15], v[24:25]
	s_wait_xcnt 0x0
	v_add_nc_u64_e32 v[28:29], s[14:15], v[28:29]
	;; [unrolled: 6-line block ×5, first 2 shown]
	global_load_b64 v[54:55], v[24:25], off
	global_load_b64 v[56:57], v[28:29], off
	s_wait_xcnt 0x1
	v_add_nc_u64_e32 v[24:25], s[14:15], v[28:29]
	s_wait_xcnt 0x0
	ds_bpermute_b32 v28, v1, v12
	ds_bpermute_b32 v29, v1, v13
	global_load_b64 v[24:25], v[24:25], off
	s_wait_loadcnt_dscnt 0xf00
	v_add_f64_e64 v[26:27], v[26:27], -v[28:29]
	ds_bpermute_b32 v28, v18, v12
	ds_bpermute_b32 v29, v18, v13
	s_wait_loadcnt 0xd
	v_add_f64_e32 v[14:15], v[14:15], v[32:33]
	s_wait_dscnt 0x0
	v_add_f64_e64 v[28:29], v[30:31], -v[28:29]
	ds_bpermute_b32 v30, v0, v12
	ds_bpermute_b32 v31, v0, v13
	v_mul_f64_e32 v[26:27], v[32:33], v[26:27]
	ds_bpermute_b32 v32, v18, v10
	ds_bpermute_b32 v33, v18, v11
	s_wait_loadcnt 0xb
	v_add_f64_e32 v[14:15], v[14:15], v[36:37]
	s_wait_dscnt 0x2
	v_add_f64_e64 v[30:31], v[34:35], -v[30:31]
	v_mul_f64_e32 v[28:29], v[36:37], v[28:29]
	v_fmac_f64_e32 v[2:3], v[26:27], v[58:59]
	ds_bpermute_b32 v26, v19, v12
	ds_bpermute_b32 v27, v19, v13
	s_wait_loadcnt 0x9
	v_add_f64_e32 v[14:15], v[14:15], v[40:41]
	v_mul_f64_e32 v[30:31], v[40:41], v[30:31]
	s_wait_dscnt 0x0
	v_add_f64_e64 v[26:27], v[38:39], -v[26:27]
	v_fmac_f64_e32 v[2:3], v[28:29], v[32:33]
	ds_bpermute_b32 v28, v20, v12
	ds_bpermute_b32 v29, v20, v13
	;; [unrolled: 1-line block ×4, first 2 shown]
	s_wait_loadcnt 0x7
	v_add_f64_e32 v[14:15], v[14:15], v[44:45]
	s_wait_dscnt 0x2
	v_add_f64_e64 v[28:29], v[42:43], -v[28:29]
	v_mul_f64_e32 v[26:27], v[44:45], v[26:27]
	s_wait_dscnt 0x0
	v_fmac_f64_e32 v[2:3], v[30:31], v[32:33]
	ds_bpermute_b32 v30, v21, v12
	ds_bpermute_b32 v31, v21, v13
	;; [unrolled: 1-line block ×4, first 2 shown]
	s_wait_loadcnt 0x5
	v_add_f64_e32 v[14:15], v[14:15], v[48:49]
	s_wait_dscnt 0x2
	v_add_f64_e64 v[30:31], v[46:47], -v[30:31]
	v_mul_f64_e32 v[28:29], v[48:49], v[28:29]
	s_wait_dscnt 0x0
	v_fmac_f64_e32 v[2:3], v[26:27], v[32:33]
	ds_bpermute_b32 v26, v22, v12
	ds_bpermute_b32 v27, v22, v13
	;; [unrolled: 1-line block ×6, first 2 shown]
	s_wait_loadcnt 0x3
	v_add_f64_e32 v[14:15], v[14:15], v[52:53]
	s_wait_dscnt 0x4
	v_add_f64_e64 v[26:27], v[50:51], -v[26:27]
	v_mul_f64_e32 v[30:31], v[52:53], v[30:31]
	s_wait_loadcnt_dscnt 0x200
	v_add_f64_e64 v[12:13], v[54:55], -v[12:13]
	v_fmac_f64_e32 v[2:3], v[28:29], v[32:33]
	ds_bpermute_b32 v28, v21, v10
	ds_bpermute_b32 v29, v21, v11
	s_wait_loadcnt 0x1
	v_add_f64_e32 v[14:15], v[14:15], v[56:57]
	v_mul_f64_e32 v[26:27], v[56:57], v[26:27]
	s_wait_loadcnt 0x0
	v_mul_f64_e32 v[12:13], v[24:25], v[12:13]
	s_wait_dscnt 0x0
	v_fmac_f64_e32 v[2:3], v[30:31], v[28:29]
	ds_bpermute_b32 v28, v22, v10
	ds_bpermute_b32 v29, v22, v11
	;; [unrolled: 1-line block ×4, first 2 shown]
	v_add_f64_e32 v[14:15], v[14:15], v[24:25]
	s_wait_dscnt 0x2
	v_fmac_f64_e32 v[2:3], v[26:27], v[28:29]
	s_wait_dscnt 0x0
	s_delay_alu instid0(VALU_DEP_1)
	v_fmac_f64_e32 v[2:3], v[12:13], v[10:11]
	s_cbranch_vccz .LBB31_10
.LBB31_7:                               ; =>This Inner Loop Header: Depth=1
	v_mov_b64_e32 v[10:11], 0
	v_mov_b64_e32 v[12:13], 0
	s_and_saveexec_b32 s24, s2
	s_cbranch_execz .LBB31_6
; %bb.8:                                ;   in Loop: Header=BB31_7 Depth=1
	v_mov_b64_e32 v[12:13], 0
	v_mov_b64_e32 v[10:11], 0
	s_mov_b32 s25, exec_lo
	v_cmpx_gt_i64_e64 s[12:13], v[4:5]
	s_cbranch_execz .LBB31_5
; %bb.9:                                ;   in Loop: Header=BB31_7 Depth=1
	v_add_nc_u64_e32 v[24:25], s[8:9], v[6:7]
	v_add_nc_u64_e32 v[26:27], s[10:11], v[6:7]
	global_load_b64 v[12:13], v[24:25], off
	global_load_b64 v[10:11], v[26:27], off
	s_branch .LBB31_5
.LBB31_10:
	v_mov_b32_e32 v1, v17
.LBB31_11:
	s_load_b128 s[4:7], s[0:1], 0x30
	s_delay_alu instid0(VALU_DEP_1) | instskip(SKIP_2) | instid1(VALU_DEP_1)
	v_mad_u32_u24 v0, 0x41, v1, v16
	s_wait_xcnt 0x0
	s_mov_b32 s0, exec_lo
	v_lshl_add_u32 v4, v0, 3, 0
	v_sub_nc_u32_e32 v8, v0, v1
	ds_store_b64 v4, v[2:3]
	ds_store_b64 v4, v[14:15] offset:4160
	s_wait_dscnt 0x0
	s_barrier_signal -1
	s_barrier_wait -1
	v_cmpx_gt_u32_e32 0x800, v8
	s_cbranch_execz .LBB31_43
; %bb.12:
	v_and_b32_e32 v1, 31, v16
	v_lshrrev_b32_e32 v0, 5, v8
                                        ; implicit-def: $vgpr2_vgpr3
                                        ; implicit-def: $vgpr4_vgpr5
	s_delay_alu instid0(VALU_DEP_2)
	v_cmp_gt_u32_e64 s0, 8, v1
	v_mul_u32_u24_e32 v9, 0x41, v1
	s_and_saveexec_b32 s1, s0
	s_cbranch_execz .LBB31_14
; %bb.13:
	s_delay_alu instid0(VALU_DEP_1) | instskip(NEXT) | instid1(VALU_DEP_1)
	v_add_nc_u32_e32 v1, v0, v9
	v_lshl_add_u32 v1, v1, 3, 0
	ds_load_b64 v[4:5], v1
	ds_load_b64 v[2:3], v1 offset:4160
.LBB31_14:
	s_or_b32 exec_lo, exec_lo, s1
	v_mbcnt_lo_u32_b32 v1, -1, 0
	s_bfe_u32 s1, ttmp6, 0x4000c
	s_and_b32 s2, ttmp6, 15
	s_add_co_i32 s1, s1, 1
	s_delay_alu instid0(SALU_CYCLE_1)
	s_mul_i32 s1, ttmp9, s1
	v_xor_b32_e32 v6, 4, v1
	s_add_co_i32 s2, s2, s1
	s_cmp_eq_u32 s3, 0
	s_mov_b32 s3, 0
	s_cselect_b32 s2, ttmp9, s2
	v_cmp_gt_i32_e32 vcc_lo, 32, v6
	s_lshl_b64 s[2:3], s[2:3], 6
	s_wait_kmcnt 0x0
	s_cmp_lg_u64 s[4:5], 0
	v_cmp_eq_u32_e64 s1, 0, v16
	s_cselect_b32 s9, -1, 0
	v_cndmask_b32_e32 v6, v1, v6, vcc_lo
	s_cmp_lg_u64 s[6:7], 0
	s_cselect_b32 s8, -1, 0
	s_delay_alu instid0(VALU_DEP_1)
	v_lshlrev_b32_e32 v10, 2, v6
	s_wait_dscnt 0x1
	ds_bpermute_b32 v6, v10, v4
	ds_bpermute_b32 v7, v10, v5
	s_wait_dscnt 0x0
	v_dual_add_f64 v[4:5], v[4:5], v[6:7] :: v_dual_bitop2_b32 v6, 2, v1 bitop3:0x14
	ds_bpermute_b32 v12, v10, v2
	ds_bpermute_b32 v13, v10, v3
	v_cmp_gt_i32_e32 vcc_lo, 32, v6
	s_wait_dscnt 0x0
	v_dual_add_f64 v[2:3], v[2:3], v[12:13] :: v_dual_cndmask_b32 v6, v1, v6, vcc_lo
	s_delay_alu instid0(VALU_DEP_1)
	v_lshlrev_b32_e32 v11, 2, v6
	ds_bpermute_b32 v6, v11, v4
	ds_bpermute_b32 v7, v11, v5
	s_wait_dscnt 0x0
	v_add_f64_e32 v[4:5], v[4:5], v[6:7]
	ds_bpermute_b32 v12, v11, v2
	ds_bpermute_b32 v13, v11, v3
	s_wait_dscnt 0x0
	v_add_f64_e32 v[6:7], v[2:3], v[12:13]
	v_xor_b32_e32 v2, 1, v1
	s_delay_alu instid0(VALU_DEP_1) | instskip(SKIP_1) | instid1(VALU_DEP_1)
	v_cmp_gt_i32_e32 vcc_lo, 32, v2
	v_cndmask_b32_e32 v1, v1, v2, vcc_lo
	v_dual_mov_b32 v1, 0 :: v_dual_lshlrev_b32 v12, 2, v1
	ds_bpermute_b32 v2, v12, v4
	ds_bpermute_b32 v3, v12, v5
	;; [unrolled: 1-line block ×4, first 2 shown]
	s_wait_dscnt 0x2
	v_add_f64_e32 v[2:3], v[4:5], v[2:3]
	s_wait_dscnt 0x0
	v_add_f64_e32 v[4:5], v[6:7], v[14:15]
	s_and_saveexec_b32 s10, s1
	s_cbranch_execz .LBB31_19
; %bb.15:
	v_dual_mov_b32 v7, s3 :: v_dual_bitop2_b32 v6, s2, v0 bitop3:0x54
	s_and_not1_b32 vcc_lo, exec_lo, s9
	s_cbranch_vccnz .LBB31_17
; %bb.16:
	s_delay_alu instid0(VALU_DEP_1)
	v_lshl_add_u64 v[14:15], v[6:7], 3, s[4:5]
	global_store_b64 v[14:15], v[2:3], off
.LBB31_17:
	s_and_not1_b32 vcc_lo, exec_lo, s8
	s_cbranch_vccnz .LBB31_19
; %bb.18:
	v_lshl_add_u64 v[6:7], v[6:7], 3, s[6:7]
	global_store_b64 v[6:7], v[4:5], off
.LBB31_19:
	s_wait_xcnt 0x0
	s_or_b32 exec_lo, exec_lo, s10
	v_cmp_gt_u32_e32 vcc_lo, 0x600, v8
	s_and_b32 exec_lo, exec_lo, vcc_lo
	s_cbranch_execz .LBB31_43
; %bb.20:
	s_and_saveexec_b32 s10, s0
	s_cbranch_execz .LBB31_22
; %bb.21:
	v_add_nc_u32_e32 v2, v0, v9
	s_delay_alu instid0(VALU_DEP_1)
	v_lshl_add_u32 v4, v2, 3, 0
	ds_load_b64 v[2:3], v4 offset:128
	ds_load_b64 v[4:5], v4 offset:4288
.LBB31_22:
	s_or_b32 exec_lo, exec_lo, s10
	s_wait_dscnt 0x1
	ds_bpermute_b32 v6, v10, v2
	ds_bpermute_b32 v7, v10, v3
	s_wait_dscnt 0x2
	ds_bpermute_b32 v14, v10, v4
	ds_bpermute_b32 v15, v10, v5
	s_wait_dscnt 0x2
	v_add_f64_e32 v[2:3], v[2:3], v[6:7]
	s_wait_dscnt 0x0
	v_add_f64_e32 v[4:5], v[4:5], v[14:15]
	ds_bpermute_b32 v6, v11, v2
	ds_bpermute_b32 v7, v11, v3
	;; [unrolled: 1-line block ×4, first 2 shown]
	s_wait_dscnt 0x2
	v_add_f64_e32 v[2:3], v[2:3], v[6:7]
	s_wait_dscnt 0x0
	v_add_f64_e32 v[4:5], v[4:5], v[14:15]
	ds_bpermute_b32 v6, v12, v2
	ds_bpermute_b32 v7, v12, v3
	;; [unrolled: 1-line block ×4, first 2 shown]
	s_wait_dscnt 0x2
	v_add_f64_e32 v[2:3], v[2:3], v[6:7]
	s_wait_dscnt 0x0
	v_add_f64_e32 v[4:5], v[4:5], v[14:15]
	s_and_saveexec_b32 s10, s1
	s_cbranch_execz .LBB31_27
; %bb.23:
	s_and_not1_b32 vcc_lo, exec_lo, s9
	s_cbranch_vccnz .LBB31_25
; %bb.24:
	v_add_nc_u64_e32 v[6:7], s[2:3], v[0:1]
	s_delay_alu instid0(VALU_DEP_1)
	v_lshl_add_u64 v[6:7], v[6:7], 3, s[4:5]
	global_store_b64 v[6:7], v[2:3], off offset:128
.LBB31_25:
	s_and_not1_b32 vcc_lo, exec_lo, s8
	s_cbranch_vccnz .LBB31_27
; %bb.26:
	s_wait_xcnt 0x0
	v_add_nc_u64_e32 v[6:7], s[2:3], v[0:1]
	s_delay_alu instid0(VALU_DEP_1)
	v_lshl_add_u64 v[6:7], v[6:7], 3, s[6:7]
	global_store_b64 v[6:7], v[4:5], off offset:128
.LBB31_27:
	s_wait_xcnt 0x0
	s_or_b32 exec_lo, exec_lo, s10
	v_cmp_gt_u32_e32 vcc_lo, 0x400, v8
	s_and_b32 exec_lo, exec_lo, vcc_lo
	s_cbranch_execz .LBB31_43
; %bb.28:
	s_and_saveexec_b32 s10, s0
	s_cbranch_execz .LBB31_30
; %bb.29:
	v_add_nc_u32_e32 v2, v0, v9
	s_delay_alu instid0(VALU_DEP_1)
	v_lshl_add_u32 v4, v2, 3, 0
	ds_load_b64 v[2:3], v4 offset:256
	ds_load_b64 v[4:5], v4 offset:4416
.LBB31_30:
	s_or_b32 exec_lo, exec_lo, s10
	s_wait_dscnt 0x1
	ds_bpermute_b32 v6, v10, v2
	ds_bpermute_b32 v7, v10, v3
	s_wait_dscnt 0x2
	ds_bpermute_b32 v14, v10, v4
	ds_bpermute_b32 v15, v10, v5
	s_wait_dscnt 0x2
	v_add_f64_e32 v[2:3], v[2:3], v[6:7]
	s_wait_dscnt 0x0
	v_add_f64_e32 v[4:5], v[4:5], v[14:15]
	ds_bpermute_b32 v6, v11, v2
	ds_bpermute_b32 v7, v11, v3
	;; [unrolled: 1-line block ×4, first 2 shown]
	s_wait_dscnt 0x2
	v_add_f64_e32 v[2:3], v[2:3], v[6:7]
	s_wait_dscnt 0x0
	v_add_f64_e32 v[4:5], v[4:5], v[14:15]
	ds_bpermute_b32 v6, v12, v2
	ds_bpermute_b32 v7, v12, v3
	;; [unrolled: 1-line block ×4, first 2 shown]
	s_wait_dscnt 0x2
	v_add_f64_e32 v[2:3], v[2:3], v[6:7]
	s_wait_dscnt 0x0
	v_add_f64_e32 v[4:5], v[4:5], v[14:15]
	s_and_saveexec_b32 s10, s1
	s_cbranch_execz .LBB31_35
; %bb.31:
	s_and_not1_b32 vcc_lo, exec_lo, s9
	s_cbranch_vccnz .LBB31_33
; %bb.32:
	v_add_nc_u64_e32 v[6:7], s[2:3], v[0:1]
	s_delay_alu instid0(VALU_DEP_1)
	v_lshl_add_u64 v[6:7], v[6:7], 3, s[4:5]
	global_store_b64 v[6:7], v[2:3], off offset:256
.LBB31_33:
	s_and_not1_b32 vcc_lo, exec_lo, s8
	s_cbranch_vccnz .LBB31_35
; %bb.34:
	s_wait_xcnt 0x0
	v_add_nc_u64_e32 v[6:7], s[2:3], v[0:1]
	s_delay_alu instid0(VALU_DEP_1)
	v_lshl_add_u64 v[6:7], v[6:7], 3, s[6:7]
	global_store_b64 v[6:7], v[4:5], off offset:256
.LBB31_35:
	s_wait_xcnt 0x0
	s_or_b32 exec_lo, exec_lo, s10
	v_cmp_gt_u32_e32 vcc_lo, 0x200, v8
	s_and_b32 exec_lo, exec_lo, vcc_lo
	s_cbranch_execz .LBB31_43
; %bb.36:
	s_and_saveexec_b32 s10, s0
	s_cbranch_execz .LBB31_38
; %bb.37:
	v_add_nc_u32_e32 v2, v0, v9
	s_delay_alu instid0(VALU_DEP_1)
	v_lshl_add_u32 v4, v2, 3, 0
	ds_load_b64 v[2:3], v4 offset:384
	ds_load_b64 v[4:5], v4 offset:4544
.LBB31_38:
	s_or_b32 exec_lo, exec_lo, s10
	s_wait_dscnt 0x1
	ds_bpermute_b32 v6, v10, v2
	ds_bpermute_b32 v7, v10, v3
	s_wait_dscnt 0x2
	ds_bpermute_b32 v8, v10, v4
	ds_bpermute_b32 v9, v10, v5
	s_wait_dscnt 0x2
	v_add_f64_e32 v[2:3], v[2:3], v[6:7]
	s_wait_dscnt 0x0
	v_add_f64_e32 v[4:5], v[4:5], v[8:9]
	ds_bpermute_b32 v6, v11, v2
	ds_bpermute_b32 v7, v11, v3
	;; [unrolled: 1-line block ×4, first 2 shown]
	s_wait_dscnt 0x2
	v_add_f64_e32 v[6:7], v[2:3], v[6:7]
	s_wait_dscnt 0x0
	v_add_f64_e32 v[2:3], v[4:5], v[8:9]
	ds_bpermute_b32 v8, v12, v6
	ds_bpermute_b32 v9, v12, v7
	;; [unrolled: 1-line block ×4, first 2 shown]
	s_and_b32 exec_lo, exec_lo, s1
	s_cbranch_execz .LBB31_43
; %bb.39:
	v_add_nc_u64_e32 v[0:1], s[2:3], v[0:1]
	s_and_not1_b32 vcc_lo, exec_lo, s9
	s_cbranch_vccnz .LBB31_41
; %bb.40:
	s_wait_dscnt 0x2
	v_add_f64_e32 v[6:7], v[6:7], v[8:9]
	s_delay_alu instid0(VALU_DEP_2)
	v_lshl_add_u64 v[8:9], v[0:1], 3, s[4:5]
	global_store_b64 v[8:9], v[6:7], off offset:384
.LBB31_41:
	s_and_not1_b32 vcc_lo, exec_lo, s8
	s_cbranch_vccnz .LBB31_43
; %bb.42:
	s_wait_dscnt 0x0
	v_add_f64_e32 v[2:3], v[2:3], v[4:5]
	v_lshl_add_u64 v[0:1], v[0:1], 3, s[6:7]
	global_store_b64 v[0:1], v[2:3], off offset:384
.LBB31_43:
	s_endpgm
	.section	.rodata,"a",@progbits
	.p2align	6, 0x0
	.amdhsa_kernel _ZN2at6native12_GLOBAL__N_135GammaBetaBackwardCUDAKernelTemplateIddLj64ELj8ELj64ELb0ELb1ELb0EEEvllPKT_S5_PKT0_S8_PS3_S9_
		.amdhsa_group_segment_fixed_size 0
		.amdhsa_private_segment_fixed_size 0
		.amdhsa_kernarg_size 320
		.amdhsa_user_sgpr_count 2
		.amdhsa_user_sgpr_dispatch_ptr 0
		.amdhsa_user_sgpr_queue_ptr 0
		.amdhsa_user_sgpr_kernarg_segment_ptr 1
		.amdhsa_user_sgpr_dispatch_id 0
		.amdhsa_user_sgpr_kernarg_preload_length 0
		.amdhsa_user_sgpr_kernarg_preload_offset 0
		.amdhsa_user_sgpr_private_segment_size 0
		.amdhsa_wavefront_size32 1
		.amdhsa_uses_dynamic_stack 0
		.amdhsa_enable_private_segment 0
		.amdhsa_system_sgpr_workgroup_id_x 1
		.amdhsa_system_sgpr_workgroup_id_y 1
		.amdhsa_system_sgpr_workgroup_id_z 0
		.amdhsa_system_sgpr_workgroup_info 0
		.amdhsa_system_vgpr_workitem_id 1
		.amdhsa_next_free_vgpr 60
		.amdhsa_next_free_sgpr 26
		.amdhsa_named_barrier_count 0
		.amdhsa_reserve_vcc 1
		.amdhsa_float_round_mode_32 0
		.amdhsa_float_round_mode_16_64 0
		.amdhsa_float_denorm_mode_32 3
		.amdhsa_float_denorm_mode_16_64 3
		.amdhsa_fp16_overflow 0
		.amdhsa_memory_ordered 1
		.amdhsa_forward_progress 1
		.amdhsa_inst_pref_size 22
		.amdhsa_round_robin_scheduling 0
		.amdhsa_exception_fp_ieee_invalid_op 0
		.amdhsa_exception_fp_denorm_src 0
		.amdhsa_exception_fp_ieee_div_zero 0
		.amdhsa_exception_fp_ieee_overflow 0
		.amdhsa_exception_fp_ieee_underflow 0
		.amdhsa_exception_fp_ieee_inexact 0
		.amdhsa_exception_int_div_zero 0
	.end_amdhsa_kernel
	.section	.text._ZN2at6native12_GLOBAL__N_135GammaBetaBackwardCUDAKernelTemplateIddLj64ELj8ELj64ELb0ELb1ELb0EEEvllPKT_S5_PKT0_S8_PS3_S9_,"axG",@progbits,_ZN2at6native12_GLOBAL__N_135GammaBetaBackwardCUDAKernelTemplateIddLj64ELj8ELj64ELb0ELb1ELb0EEEvllPKT_S5_PKT0_S8_PS3_S9_,comdat
.Lfunc_end31:
	.size	_ZN2at6native12_GLOBAL__N_135GammaBetaBackwardCUDAKernelTemplateIddLj64ELj8ELj64ELb0ELb1ELb0EEEvllPKT_S5_PKT0_S8_PS3_S9_, .Lfunc_end31-_ZN2at6native12_GLOBAL__N_135GammaBetaBackwardCUDAKernelTemplateIddLj64ELj8ELj64ELb0ELb1ELb0EEEvllPKT_S5_PKT0_S8_PS3_S9_
                                        ; -- End function
	.set _ZN2at6native12_GLOBAL__N_135GammaBetaBackwardCUDAKernelTemplateIddLj64ELj8ELj64ELb0ELb1ELb0EEEvllPKT_S5_PKT0_S8_PS3_S9_.num_vgpr, 60
	.set _ZN2at6native12_GLOBAL__N_135GammaBetaBackwardCUDAKernelTemplateIddLj64ELj8ELj64ELb0ELb1ELb0EEEvllPKT_S5_PKT0_S8_PS3_S9_.num_agpr, 0
	.set _ZN2at6native12_GLOBAL__N_135GammaBetaBackwardCUDAKernelTemplateIddLj64ELj8ELj64ELb0ELb1ELb0EEEvllPKT_S5_PKT0_S8_PS3_S9_.numbered_sgpr, 26
	.set _ZN2at6native12_GLOBAL__N_135GammaBetaBackwardCUDAKernelTemplateIddLj64ELj8ELj64ELb0ELb1ELb0EEEvllPKT_S5_PKT0_S8_PS3_S9_.num_named_barrier, 0
	.set _ZN2at6native12_GLOBAL__N_135GammaBetaBackwardCUDAKernelTemplateIddLj64ELj8ELj64ELb0ELb1ELb0EEEvllPKT_S5_PKT0_S8_PS3_S9_.private_seg_size, 0
	.set _ZN2at6native12_GLOBAL__N_135GammaBetaBackwardCUDAKernelTemplateIddLj64ELj8ELj64ELb0ELb1ELb0EEEvllPKT_S5_PKT0_S8_PS3_S9_.uses_vcc, 1
	.set _ZN2at6native12_GLOBAL__N_135GammaBetaBackwardCUDAKernelTemplateIddLj64ELj8ELj64ELb0ELb1ELb0EEEvllPKT_S5_PKT0_S8_PS3_S9_.uses_flat_scratch, 0
	.set _ZN2at6native12_GLOBAL__N_135GammaBetaBackwardCUDAKernelTemplateIddLj64ELj8ELj64ELb0ELb1ELb0EEEvllPKT_S5_PKT0_S8_PS3_S9_.has_dyn_sized_stack, 0
	.set _ZN2at6native12_GLOBAL__N_135GammaBetaBackwardCUDAKernelTemplateIddLj64ELj8ELj64ELb0ELb1ELb0EEEvllPKT_S5_PKT0_S8_PS3_S9_.has_recursion, 0
	.set _ZN2at6native12_GLOBAL__N_135GammaBetaBackwardCUDAKernelTemplateIddLj64ELj8ELj64ELb0ELb1ELb0EEEvllPKT_S5_PKT0_S8_PS3_S9_.has_indirect_call, 0
	.section	.AMDGPU.csdata,"",@progbits
; Kernel info:
; codeLenInByte = 2744
; TotalNumSgprs: 28
; NumVgprs: 60
; ScratchSize: 0
; MemoryBound: 0
; FloatMode: 240
; IeeeMode: 1
; LDSByteSize: 0 bytes/workgroup (compile time only)
; SGPRBlocks: 0
; VGPRBlocks: 3
; NumSGPRsForWavesPerEU: 28
; NumVGPRsForWavesPerEU: 60
; NamedBarCnt: 0
; Occupancy: 16
; WaveLimiterHint : 0
; COMPUTE_PGM_RSRC2:SCRATCH_EN: 0
; COMPUTE_PGM_RSRC2:USER_SGPR: 2
; COMPUTE_PGM_RSRC2:TRAP_HANDLER: 0
; COMPUTE_PGM_RSRC2:TGID_X_EN: 1
; COMPUTE_PGM_RSRC2:TGID_Y_EN: 1
; COMPUTE_PGM_RSRC2:TGID_Z_EN: 0
; COMPUTE_PGM_RSRC2:TIDIG_COMP_CNT: 1
	.section	.text._ZN2at6native12_GLOBAL__N_135GammaBetaBackwardCUDAKernelTemplateIddLj64ELj8ELj64ELb0ELb0ELb0EEEvllPKT_S5_PKT0_S8_PS3_S9_,"axG",@progbits,_ZN2at6native12_GLOBAL__N_135GammaBetaBackwardCUDAKernelTemplateIddLj64ELj8ELj64ELb0ELb0ELb0EEEvllPKT_S5_PKT0_S8_PS3_S9_,comdat
	.globl	_ZN2at6native12_GLOBAL__N_135GammaBetaBackwardCUDAKernelTemplateIddLj64ELj8ELj64ELb0ELb0ELb0EEEvllPKT_S5_PKT0_S8_PS3_S9_ ; -- Begin function _ZN2at6native12_GLOBAL__N_135GammaBetaBackwardCUDAKernelTemplateIddLj64ELj8ELj64ELb0ELb0ELb0EEEvllPKT_S5_PKT0_S8_PS3_S9_
	.p2align	8
	.type	_ZN2at6native12_GLOBAL__N_135GammaBetaBackwardCUDAKernelTemplateIddLj64ELj8ELj64ELb0ELb0ELb0EEEvllPKT_S5_PKT0_S8_PS3_S9_,@function
_ZN2at6native12_GLOBAL__N_135GammaBetaBackwardCUDAKernelTemplateIddLj64ELj8ELj64ELb0ELb0ELb0EEEvllPKT_S5_PKT0_S8_PS3_S9_: ; @_ZN2at6native12_GLOBAL__N_135GammaBetaBackwardCUDAKernelTemplateIddLj64ELj8ELj64ELb0ELb0ELb0EEEvllPKT_S5_PKT0_S8_PS3_S9_
; %bb.0:
	s_load_b256 s[4:11], s[0:1], 0x0
	s_bfe_u32 s3, ttmp6, 0x4000c
	s_bfe_u32 s12, ttmp6, 0x40010
	s_add_co_i32 s3, s3, 1
	s_add_co_i32 s12, s12, 1
	s_and_b32 s2, ttmp6, 15
	s_bfe_u32 s13, ttmp6, 0x40004
	s_mul_i32 s3, ttmp9, s3
	s_mul_i32 s12, ttmp7, s12
	s_getreg_b32 s14, hwreg(HW_REG_IB_STS2, 6, 4)
	s_add_co_i32 s2, s2, s3
	s_add_co_i32 s3, s13, s12
	s_cmp_eq_u32 s14, 0
	s_mov_b32 s19, 0
	s_cselect_b32 s16, ttmp9, s2
	s_cselect_b32 s2, ttmp7, s3
	s_lshl_b32 s3, s16, 6
	s_load_b128 s[12:15], s[0:1], 0x20
	s_or_b32 s18, s3, 63
	s_wait_kmcnt 0x0
	v_cmp_le_i64_e64 s20, s[6:7], s[18:19]
	s_lshl_b32 s18, s2, 6
	s_delay_alu instid0(SALU_CYCLE_1) | instskip(SKIP_2) | instid1(VALU_DEP_1)
	v_cmp_gt_i64_e64 s17, s[4:5], s[18:19]
	s_and_b32 vcc_lo, exec_lo, s20
	v_cndmask_b32_e64 v1, 0, 1, s17
	v_cmp_ne_u32_e64 s2, 1, v1
	s_cbranch_vccz .LBB32_49
; %bb.1:
	v_mov_b64_e32 v[36:37], 0
	v_mov_b64_e32 v[40:41], 0
	s_and_b32 vcc_lo, exec_lo, s2
	s_cbranch_vccnz .LBB32_50
; %bb.2:
	v_bfe_u32 v1, v0, 10, 10
	v_mov_b32_e32 v2, 0
	v_and_b32_e32 v84, 0x3ff, v0
	s_load_b32 s20, s[0:1], 0x44
	s_mov_b32 s21, 0
	s_delay_alu instid0(VALU_DEP_2) | instskip(NEXT) | instid1(VALU_DEP_2)
	v_dual_mov_b32 v39, v2 :: v_dual_lshlrev_b32 v38, 3, v1
	v_dual_mov_b32 v19, v2 :: v_dual_add_nc_u32 v18, s3, v84
	v_mov_b64_e32 v[76:77], 0
	v_mov_b64_e32 v[36:37], 0
	s_delay_alu instid0(VALU_DEP_4)
	v_add_nc_u64_e32 v[4:5], s[18:19], v[38:39]
	s_mov_b32 s35, s21
	v_cmp_gt_i64_e64 s2, s[6:7], v[18:19]
	v_lshlrev_b64_e32 v[42:43], 3, v[18:19]
	s_mov_b64 s[22:23], 0xffffffffffffffc1
	s_mov_b64 s[24:25], 0xffffffffffffffc2
	;; [unrolled: 1-line block ×3, first 2 shown]
	v_mul_u64_e32 v[6:7], s[6:7], v[4:5]
	v_add_nc_u64_e32 v[8:9], 7, v[4:5]
	v_add_nc_u64_e32 v[10:11], 6, v[4:5]
	;; [unrolled: 1-line block ×6, first 2 shown]
	s_wait_kmcnt 0x0
	s_lshl_b32 s34, s20, 6
	v_mul_u64_e32 v[8:9], s[6:7], v[8:9]
	v_mul_u64_e32 v[10:11], s[6:7], v[10:11]
	;; [unrolled: 1-line block ×6, first 2 shown]
	s_mul_u64 s[44:45], s[6:7], s[34:35]
	s_mov_b64 s[28:29], 0xffffffffffffffc4
	s_mov_b64 s[30:31], 0xffffffffffffffc5
	;; [unrolled: 1-line block ×5, first 2 shown]
	s_add_nc_u64 s[42:43], s[0:1], 64
	s_lshl_b64 s[44:45], s[44:45], 3
	s_add_nc_u64 s[46:47], s[18:19], 63
	s_mov_b64 s[48:49], s[18:19]
	v_lshlrev_b64_e32 v[20:21], 3, v[6:7]
	v_add_nc_u64_e32 v[6:7], s[6:7], v[6:7]
	s_delay_alu instid0(VALU_DEP_2)
	v_add_nc_u64_e32 v[44:45], s[8:9], v[20:21]
	v_lshlrev_b64_e32 v[8:9], 3, v[8:9]
	v_lshlrev_b64_e32 v[10:11], 3, v[10:11]
	;; [unrolled: 1-line block ×7, first 2 shown]
	v_add_nc_u64_e32 v[46:47], s[10:11], v[20:21]
	v_add_nc_u64_e32 v[48:49], s[8:9], v[8:9]
	v_add_nc_u64_e32 v[50:51], s[10:11], v[8:9]
	v_add_nc_u64_e32 v[52:53], s[8:9], v[10:11]
	v_add_nc_u64_e32 v[54:55], s[10:11], v[10:11]
	v_add_nc_u64_e32 v[56:57], s[8:9], v[12:13]
	v_add_nc_u64_e32 v[58:59], s[10:11], v[12:13]
	v_add_nc_u64_e32 v[60:61], s[8:9], v[14:15]
	v_add_nc_u64_e32 v[62:63], s[10:11], v[14:15]
	v_add_nc_u64_e32 v[64:65], s[8:9], v[16:17]
	v_add_nc_u64_e32 v[66:67], s[10:11], v[16:17]
	v_add_nc_u64_e32 v[68:69], s[8:9], v[4:5]
	v_add_nc_u64_e32 v[70:71], s[10:11], v[4:5]
	v_add_nc_u64_e32 v[72:73], s[8:9], v[6:7]
	v_add_nc_u64_e32 v[74:75], s[10:11], v[6:7]
.LBB32_3:                               ; =>This Inner Loop Header: Depth=1
	v_cmp_ge_i64_e64 s20, s[46:47], s[4:5]
	v_add_nc_u64_e32 v[78:79], s[46:47], v[38:39]
                                        ; implicit-def: $vgpr4_vgpr5_vgpr6_vgpr7_vgpr8_vgpr9_vgpr10_vgpr11_vgpr12_vgpr13_vgpr14_vgpr15_vgpr16_vgpr17_vgpr18_vgpr19
                                        ; implicit-def: $vgpr82_vgpr83
                                        ; implicit-def: $vgpr20_vgpr21_vgpr22_vgpr23_vgpr24_vgpr25_vgpr26_vgpr27_vgpr28_vgpr29_vgpr30_vgpr31_vgpr32_vgpr33_vgpr34_vgpr35
                                        ; implicit-def: $vgpr6
                                        ; implicit-def: $vgpr4_vgpr5
                                        ; implicit-def: $vgpr40_vgpr41
	s_and_b32 vcc_lo, exec_lo, s20
	s_mov_b32 s20, -1
	s_cbranch_vccz .LBB32_25
; %bb.4:                                ;   in Loop: Header=BB32_3 Depth=1
	s_load_b32 s20, s[42:43], 0xc
	v_mov_b64_e32 v[82:83], 0
	v_mov_b64_e32 v[80:81], 0
	s_wait_kmcnt 0x0
	s_and_b32 s20, s20, 0xffff
	s_delay_alu instid0(SALU_CYCLE_1) | instskip(SKIP_1) | instid1(VALU_DEP_1)
	v_mad_u32_u24 v3, v1, s20, v84
	s_mov_b32 s20, exec_lo
	v_and_b32_e32 v4, 31, v3
	s_delay_alu instid0(VALU_DEP_1)
	v_cmpx_gt_u32_e32 8, v4
	s_cbranch_execz .LBB32_8
; %bb.5:                                ;   in Loop: Header=BB32_3 Depth=1
	v_mov_b32_e32 v5, v2
	v_mov_b64_e32 v[80:81], 0
	v_mov_b64_e32 v[82:83], 0
	s_mov_b32 s33, exec_lo
	s_delay_alu instid0(VALU_DEP_3) | instskip(NEXT) | instid1(VALU_DEP_1)
	v_add_nc_u64_e32 v[4:5], v[78:79], v[4:5]
	v_add_nc_u64_e32 v[4:5], s[22:23], v[4:5]
	s_delay_alu instid0(VALU_DEP_1)
	v_cmpx_gt_i64_e64 s[4:5], v[4:5]
	s_cbranch_execz .LBB32_7
; %bb.6:                                ;   in Loop: Header=BB32_3 Depth=1
	v_lshlrev_b64_e32 v[4:5], 3, v[4:5]
	s_delay_alu instid0(VALU_DEP_1)
	v_add_nc_u64_e32 v[6:7], s[12:13], v[4:5]
	v_add_nc_u64_e32 v[4:5], s[14:15], v[4:5]
	global_load_b64 v[80:81], v[6:7], off
	global_load_b64 v[82:83], v[4:5], off
.LBB32_7:                               ;   in Loop: Header=BB32_3 Depth=1
	s_wait_xcnt 0x0
	s_or_b32 exec_lo, exec_lo, s33
.LBB32_8:                               ;   in Loop: Header=BB32_3 Depth=1
	s_delay_alu instid0(SALU_CYCLE_1)
	s_or_b32 exec_lo, exec_lo, s20
	v_add_nc_u64_e32 v[18:19], s[22:23], v[78:79]
	v_dual_mov_b32 v15, v2 :: v_dual_mov_b32 v16, v2
	v_dual_mov_b32 v17, v2 :: v_dual_mov_b32 v3, v2
	;; [unrolled: 1-line block ×7, first 2 shown]
	v_mov_b32_e32 v14, v2
	v_cmp_gt_i64_e32 vcc_lo, s[4:5], v[18:19]
	v_mov_b64_e32 v[34:35], v[16:17]
	v_mov_b64_e32 v[28:29], v[10:11]
	;; [unrolled: 1-line block ×16, first 2 shown]
	s_and_b32 s33, s2, vcc_lo
	s_delay_alu instid0(SALU_CYCLE_1)
	s_and_saveexec_b32 s20, s33
	s_cbranch_execz .LBB32_10
; %bb.9:                                ;   in Loop: Header=BB32_3 Depth=1
	v_add_nc_u64_e32 v[6:7], v[44:45], v[42:43]
	v_add_nc_u64_e32 v[8:9], v[46:47], v[42:43]
	v_dual_mov_b32 v10, v2 :: v_dual_mov_b32 v11, v2
	v_dual_mov_b32 v12, v2 :: v_dual_mov_b32 v13, v2
	;; [unrolled: 1-line block ×3, first 2 shown]
	global_load_b64 v[4:5], v[6:7], off
	global_load_b64 v[20:21], v[8:9], off
	s_wait_xcnt 0x1
	v_dual_mov_b32 v6, v2 :: v_dual_mov_b32 v7, v2
	s_wait_xcnt 0x0
	v_dual_mov_b32 v8, v2 :: v_dual_mov_b32 v9, v2
	v_dual_mov_b32 v16, v2 :: v_dual_mov_b32 v17, v2
	;; [unrolled: 1-line block ×10, first 2 shown]
.LBB32_10:                              ;   in Loop: Header=BB32_3 Depth=1
	s_or_b32 exec_lo, exec_lo, s20
	v_add_nc_u64_e32 v[40:41], s[24:25], v[78:79]
	s_delay_alu instid0(VALU_DEP_1) | instskip(SKIP_1) | instid1(SALU_CYCLE_1)
	v_cmp_gt_i64_e32 vcc_lo, s[4:5], v[40:41]
	s_and_b32 s33, s2, vcc_lo
	s_and_saveexec_b32 s20, s33
	s_cbranch_execz .LBB32_12
; %bb.11:                               ;   in Loop: Header=BB32_3 Depth=1
	v_add_nc_u64_e32 v[40:41], v[72:73], v[42:43]
	v_add_nc_u64_e32 v[86:87], v[74:75], v[42:43]
	global_load_b64 v[6:7], v[40:41], off
	global_load_b64 v[22:23], v[86:87], off
.LBB32_12:                              ;   in Loop: Header=BB32_3 Depth=1
	s_wait_xcnt 0x0
	s_or_b32 exec_lo, exec_lo, s20
	v_add_nc_u64_e32 v[40:41], s[26:27], v[78:79]
	s_delay_alu instid0(VALU_DEP_1) | instskip(SKIP_1) | instid1(SALU_CYCLE_1)
	v_cmp_gt_i64_e32 vcc_lo, s[4:5], v[40:41]
	s_and_b32 s33, s2, vcc_lo
	s_and_saveexec_b32 s20, s33
	s_cbranch_execz .LBB32_14
; %bb.13:                               ;   in Loop: Header=BB32_3 Depth=1
	v_add_nc_u64_e32 v[40:41], v[68:69], v[42:43]
	v_add_nc_u64_e32 v[86:87], v[70:71], v[42:43]
	global_load_b64 v[8:9], v[40:41], off
	global_load_b64 v[24:25], v[86:87], off
.LBB32_14:                              ;   in Loop: Header=BB32_3 Depth=1
	s_wait_xcnt 0x0
	;; [unrolled: 14-line block ×7, first 2 shown]
	s_or_b32 exec_lo, exec_lo, s20
	s_wait_loadcnt 0x1
	ds_bpermute_b32 v40, v2, v80
	ds_bpermute_b32 v41, v2, v81
	s_wait_loadcnt 0x0
	ds_bpermute_b32 v86, v2, v82
	ds_bpermute_b32 v87, v2, v83
	s_mov_b32 s20, 0
	s_wait_dscnt 0x2
	v_add_f64_e64 v[20:21], v[20:21], -v[40:41]
	ds_bpermute_b32 v40, v2, v80 offset:4
	ds_bpermute_b32 v41, v2, v81 offset:4
	s_wait_dscnt 0x0
	v_add_f64_e64 v[22:23], v[22:23], -v[40:41]
	ds_bpermute_b32 v40, v2, v80 offset:8
	ds_bpermute_b32 v41, v2, v81 offset:8
	v_mul_f64_e32 v[20:21], v[4:5], v[20:21]
	v_add_f64_e32 v[4:5], v[36:37], v[4:5]
	s_wait_dscnt 0x0
	v_add_f64_e64 v[24:25], v[24:25], -v[40:41]
	v_mul_f64_e32 v[22:23], v[6:7], v[22:23]
	s_delay_alu instid0(VALU_DEP_4)
	v_fma_f64 v[40:41], v[20:21], v[86:87], v[76:77]
	ds_bpermute_b32 v20, v2, v80 offset:12
	ds_bpermute_b32 v21, v2, v81 offset:12
	;; [unrolled: 1-line block ×4, first 2 shown]
	v_add_f64_e32 v[4:5], v[6:7], v[4:5]
	ds_bpermute_b32 v6, v2, v80 offset:16
	ds_bpermute_b32 v7, v2, v81 offset:16
	v_mul_f64_e32 v[24:25], v[8:9], v[24:25]
	s_wait_dscnt 0x4
	v_add_f64_e64 v[20:21], v[26:27], -v[20:21]
	s_wait_dscnt 0x0
	v_add_f64_e64 v[6:7], v[28:29], -v[6:7]
	v_fmac_f64_e32 v[40:41], v[22:23], v[86:87]
	ds_bpermute_b32 v22, v2, v82 offset:8
	ds_bpermute_b32 v23, v2, v83 offset:8
	v_add_f64_e32 v[4:5], v[8:9], v[4:5]
	ds_bpermute_b32 v8, v2, v80 offset:20
	ds_bpermute_b32 v9, v2, v81 offset:20
	v_mul_f64_e32 v[20:21], v[10:11], v[20:21]
	s_wait_dscnt 0x0
	v_add_f64_e64 v[8:9], v[30:31], -v[8:9]
	v_mul_f64_e32 v[6:7], v[12:13], v[6:7]
	v_fmac_f64_e32 v[40:41], v[24:25], v[22:23]
	ds_bpermute_b32 v22, v2, v82 offset:12
	ds_bpermute_b32 v23, v2, v83 offset:12
	v_add_f64_e32 v[4:5], v[10:11], v[4:5]
	ds_bpermute_b32 v10, v2, v80 offset:24
	ds_bpermute_b32 v11, v2, v81 offset:24
	s_wait_dscnt 0x0
	v_add_f64_e64 v[10:11], v[32:33], -v[10:11]
	v_mul_f64_e32 v[8:9], v[14:15], v[8:9]
	v_fmac_f64_e32 v[40:41], v[20:21], v[22:23]
	ds_bpermute_b32 v20, v2, v82 offset:16
	ds_bpermute_b32 v21, v2, v83 offset:16
	v_add_f64_e32 v[4:5], v[12:13], v[4:5]
	v_mul_f64_e32 v[10:11], v[16:17], v[10:11]
	s_wait_dscnt 0x0
	v_fmac_f64_e32 v[40:41], v[6:7], v[20:21]
	ds_bpermute_b32 v6, v2, v82 offset:20
	ds_bpermute_b32 v7, v2, v83 offset:20
	v_add_f64_e32 v[4:5], v[14:15], v[4:5]
	s_wait_dscnt 0x0
	v_fmac_f64_e32 v[40:41], v[8:9], v[6:7]
	ds_bpermute_b32 v6, v2, v82 offset:24
	ds_bpermute_b32 v7, v2, v83 offset:24
	;; [unrolled: 1-line block ×4, first 2 shown]
	v_add_f64_e32 v[4:5], v[16:17], v[4:5]
	s_wait_dscnt 0x2
	v_fmac_f64_e32 v[40:41], v[10:11], v[6:7]
	ds_bpermute_b32 v6, v2, v80 offset:28
	ds_bpermute_b32 v7, v2, v81 offset:28
.LBB32_25:                              ;   in Loop: Header=BB32_3 Depth=1
	s_and_b32 vcc_lo, exec_lo, s20
	s_cbranch_vccz .LBB32_40
; %bb.26:                               ;   in Loop: Header=BB32_3 Depth=1
	s_load_b32 s20, s[42:43], 0x0
	v_mov_b64_e32 v[80:81], 0
	v_mov_b64_e32 v[40:41], 0
	s_wait_kmcnt 0x0
	s_cmp_lt_u32 s16, s20
	s_cselect_b32 s20, 12, 18
	s_delay_alu instid0(SALU_CYCLE_1) | instskip(SKIP_4) | instid1(VALU_DEP_1)
	s_add_nc_u64 s[50:51], s[42:43], s[20:21]
	s_load_u16 s20, s[50:51], 0x0
	s_wait_kmcnt 0x0
	v_mad_u32_u24 v3, v1, s20, v84
	s_mov_b32 s20, exec_lo
	v_and_b32_e32 v4, 31, v3
	s_delay_alu instid0(VALU_DEP_1)
	v_cmpx_gt_u32_e32 8, v4
	s_cbranch_execz .LBB32_30
; %bb.27:                               ;   in Loop: Header=BB32_3 Depth=1
	v_mov_b32_e32 v5, v2
	v_mov_b64_e32 v[40:41], 0
	v_mov_b64_e32 v[80:81], 0
	s_mov_b32 s33, exec_lo
	s_delay_alu instid0(VALU_DEP_3) | instskip(NEXT) | instid1(VALU_DEP_1)
	v_add_nc_u64_e32 v[4:5], v[78:79], v[4:5]
	v_add_nc_u64_e32 v[4:5], s[22:23], v[4:5]
	s_delay_alu instid0(VALU_DEP_1)
	v_cmpx_gt_i64_e64 s[4:5], v[4:5]
	s_cbranch_execz .LBB32_29
; %bb.28:                               ;   in Loop: Header=BB32_3 Depth=1
	v_lshlrev_b64_e32 v[4:5], 3, v[4:5]
	s_wait_dscnt 0x0
	s_delay_alu instid0(VALU_DEP_1)
	v_add_nc_u64_e32 v[6:7], s[12:13], v[4:5]
	v_add_nc_u64_e32 v[4:5], s[14:15], v[4:5]
	global_load_b64 v[40:41], v[6:7], off
	global_load_b64 v[80:81], v[4:5], off
.LBB32_29:                              ;   in Loop: Header=BB32_3 Depth=1
	s_wait_xcnt 0x0
	s_or_b32 exec_lo, exec_lo, s33
.LBB32_30:                              ;   in Loop: Header=BB32_3 Depth=1
	s_delay_alu instid0(SALU_CYCLE_1)
	s_or_b32 exec_lo, exec_lo, s20
	v_dual_mov_b32 v15, v2 :: v_dual_mov_b32 v16, v2
	v_dual_mov_b32 v17, v2 :: v_dual_mov_b32 v3, v2
	;; [unrolled: 1-line block ×3, first 2 shown]
	s_wait_dscnt 0x0
	v_dual_mov_b32 v6, v2 :: v_dual_mov_b32 v7, v2
	v_dual_mov_b32 v8, v2 :: v_dual_mov_b32 v9, v2
	;; [unrolled: 1-line block ×4, first 2 shown]
	v_mov_b32_e32 v14, v2
	v_mov_b64_e32 v[34:35], v[16:17]
	s_delay_alu instid0(VALU_DEP_4)
	v_mov_b64_e32 v[28:29], v[10:11]
	v_mov_b64_e32 v[26:27], v[8:9]
	;; [unrolled: 1-line block ×15, first 2 shown]
	s_and_saveexec_b32 s20, s2
	s_cbranch_execnz .LBB32_42
; %bb.31:                               ;   in Loop: Header=BB32_3 Depth=1
	s_or_b32 exec_lo, exec_lo, s20
	s_and_saveexec_b32 s20, s2
	s_cbranch_execnz .LBB32_43
.LBB32_32:                              ;   in Loop: Header=BB32_3 Depth=1
	s_or_b32 exec_lo, exec_lo, s20
	s_and_saveexec_b32 s20, s2
	s_cbranch_execnz .LBB32_44
.LBB32_33:                              ;   in Loop: Header=BB32_3 Depth=1
	s_or_b32 exec_lo, exec_lo, s20
	s_and_saveexec_b32 s20, s2
	s_cbranch_execnz .LBB32_45
.LBB32_34:                              ;   in Loop: Header=BB32_3 Depth=1
	s_or_b32 exec_lo, exec_lo, s20
	s_and_saveexec_b32 s20, s2
	s_cbranch_execnz .LBB32_46
.LBB32_35:                              ;   in Loop: Header=BB32_3 Depth=1
	s_or_b32 exec_lo, exec_lo, s20
	s_and_saveexec_b32 s20, s2
	s_cbranch_execnz .LBB32_47
.LBB32_36:                              ;   in Loop: Header=BB32_3 Depth=1
	s_or_b32 exec_lo, exec_lo, s20
	s_and_saveexec_b32 s20, s2
	s_cbranch_execnz .LBB32_48
.LBB32_37:                              ;   in Loop: Header=BB32_3 Depth=1
	s_or_b32 exec_lo, exec_lo, s20
	s_and_saveexec_b32 s20, s2
	s_cbranch_execz .LBB32_39
.LBB32_38:                              ;   in Loop: Header=BB32_3 Depth=1
	v_add_nc_u64_e32 v[78:79], v[48:49], v[42:43]
	v_add_nc_u64_e32 v[82:83], v[50:51], v[42:43]
	global_load_b64 v[18:19], v[78:79], off
	global_load_b64 v[34:35], v[82:83], off
.LBB32_39:                              ;   in Loop: Header=BB32_3 Depth=1
	s_wait_xcnt 0x0
	s_or_b32 exec_lo, exec_lo, s20
	s_wait_loadcnt 0x1
	ds_bpermute_b32 v78, v2, v40
	ds_bpermute_b32 v79, v2, v41
	s_wait_loadcnt 0x0
	ds_bpermute_b32 v82, v2, v80
	ds_bpermute_b32 v83, v2, v81
	s_wait_dscnt 0x2
	v_add_f64_e64 v[20:21], v[20:21], -v[78:79]
	ds_bpermute_b32 v78, v2, v40 offset:4
	ds_bpermute_b32 v79, v2, v41 offset:4
	s_wait_dscnt 0x0
	v_add_f64_e64 v[22:23], v[22:23], -v[78:79]
	ds_bpermute_b32 v78, v2, v40 offset:8
	ds_bpermute_b32 v79, v2, v41 offset:8
	v_mul_f64_e32 v[20:21], v[4:5], v[20:21]
	v_add_f64_e32 v[4:5], v[36:37], v[4:5]
	ds_bpermute_b32 v36, v2, v80 offset:4
	ds_bpermute_b32 v37, v2, v81 offset:4
	s_wait_dscnt 0x2
	v_add_f64_e64 v[24:25], v[24:25], -v[78:79]
	v_mul_f64_e32 v[22:23], v[6:7], v[22:23]
	v_fmac_f64_e32 v[76:77], v[20:21], v[82:83]
	ds_bpermute_b32 v20, v2, v40 offset:12
	ds_bpermute_b32 v21, v2, v41 offset:12
	v_add_f64_e32 v[4:5], v[6:7], v[4:5]
	ds_bpermute_b32 v6, v2, v40 offset:16
	ds_bpermute_b32 v7, v2, v41 offset:16
	;; [unrolled: 1-line block ×4, first 2 shown]
	v_mul_f64_e32 v[24:25], v[8:9], v[24:25]
	s_wait_dscnt 0x4
	v_add_f64_e64 v[20:21], v[26:27], -v[20:21]
	s_wait_dscnt 0x2
	v_add_f64_e64 v[6:7], v[28:29], -v[6:7]
	v_fmac_f64_e32 v[76:77], v[22:23], v[36:37]
	ds_bpermute_b32 v22, v2, v80 offset:8
	ds_bpermute_b32 v23, v2, v81 offset:8
	v_add_f64_e32 v[4:5], v[8:9], v[4:5]
	ds_bpermute_b32 v8, v2, v40 offset:20
	ds_bpermute_b32 v9, v2, v41 offset:20
	v_mul_f64_e32 v[20:21], v[10:11], v[20:21]
	s_wait_dscnt 0x0
	v_add_f64_e64 v[8:9], v[30:31], -v[8:9]
	v_mul_f64_e32 v[6:7], v[12:13], v[6:7]
	v_fmac_f64_e32 v[76:77], v[24:25], v[22:23]
	ds_bpermute_b32 v22, v2, v80 offset:12
	ds_bpermute_b32 v23, v2, v81 offset:12
	v_add_f64_e32 v[4:5], v[10:11], v[4:5]
	ds_bpermute_b32 v10, v2, v80 offset:16
	ds_bpermute_b32 v11, v2, v81 offset:16
	v_mul_f64_e32 v[8:9], v[14:15], v[8:9]
	s_wait_dscnt 0x2
	v_fmac_f64_e32 v[76:77], v[20:21], v[22:23]
	ds_bpermute_b32 v20, v2, v40 offset:24
	ds_bpermute_b32 v21, v2, v41 offset:24
	v_add_f64_e32 v[4:5], v[12:13], v[4:5]
	s_wait_dscnt 0x2
	v_fmac_f64_e32 v[76:77], v[6:7], v[10:11]
	s_wait_dscnt 0x0
	v_add_f64_e64 v[6:7], v[32:33], -v[20:21]
	ds_bpermute_b32 v10, v2, v80 offset:20
	ds_bpermute_b32 v11, v2, v81 offset:20
	v_add_f64_e32 v[4:5], v[14:15], v[4:5]
	s_wait_dscnt 0x0
	v_fmac_f64_e32 v[76:77], v[8:9], v[10:11]
	v_mul_f64_e32 v[6:7], v[16:17], v[6:7]
	ds_bpermute_b32 v8, v2, v80 offset:24
	ds_bpermute_b32 v9, v2, v81 offset:24
	v_add_f64_e32 v[4:5], v[16:17], v[4:5]
	s_wait_dscnt 0x0
	v_fmac_f64_e32 v[76:77], v[6:7], v[8:9]
	ds_bpermute_b32 v6, v2, v40 offset:28
	ds_bpermute_b32 v7, v2, v41 offset:28
	v_mov_b64_e32 v[40:41], v[76:77]
.LBB32_40:                              ;   in Loop: Header=BB32_3 Depth=1
	s_wait_dscnt 0x0
	v_add_f64_e64 v[6:7], v[34:35], -v[6:7]
	v_add_f64_e32 v[36:37], v[4:5], v[18:19]
	s_add_nc_u64 s[48:49], s[48:49], s[34:35]
	v_add_nc_u64_e32 v[44:45], s[44:45], v[44:45]
	v_cmp_lt_i64_e64 s20, s[48:49], s[4:5]
	v_add_nc_u64_e32 v[46:47], s[44:45], v[46:47]
	v_add_nc_u64_e32 v[48:49], s[44:45], v[48:49]
	;; [unrolled: 1-line block ×15, first 2 shown]
	s_and_b32 vcc_lo, exec_lo, s20
	s_add_nc_u64 s[46:47], s[46:47], s[34:35]
	v_mul_f64_e32 v[6:7], v[18:19], v[6:7]
	s_delay_alu instid0(VALU_DEP_1)
	v_fmac_f64_e32 v[40:41], v[6:7], v[82:83]
	s_cbranch_vccz .LBB32_50
; %bb.41:                               ;   in Loop: Header=BB32_3 Depth=1
	s_delay_alu instid0(VALU_DEP_1)
	v_mov_b64_e32 v[76:77], v[40:41]
	s_branch .LBB32_3
.LBB32_42:                              ;   in Loop: Header=BB32_3 Depth=1
	v_add_nc_u64_e32 v[6:7], v[44:45], v[42:43]
	v_add_nc_u64_e32 v[8:9], v[46:47], v[42:43]
	v_dual_mov_b32 v10, v2 :: v_dual_mov_b32 v11, v2
	v_dual_mov_b32 v12, v2 :: v_dual_mov_b32 v13, v2
	;; [unrolled: 1-line block ×3, first 2 shown]
	global_load_b64 v[4:5], v[6:7], off
	global_load_b64 v[20:21], v[8:9], off
	s_wait_xcnt 0x1
	v_dual_mov_b32 v6, v2 :: v_dual_mov_b32 v7, v2
	s_wait_xcnt 0x0
	v_dual_mov_b32 v8, v2 :: v_dual_mov_b32 v9, v2
	v_dual_mov_b32 v16, v2 :: v_dual_mov_b32 v17, v2
	;; [unrolled: 1-line block ×10, first 2 shown]
	s_or_b32 exec_lo, exec_lo, s20
	s_and_saveexec_b32 s20, s2
	s_cbranch_execz .LBB32_32
.LBB32_43:                              ;   in Loop: Header=BB32_3 Depth=1
	v_add_nc_u64_e32 v[78:79], v[72:73], v[42:43]
	v_add_nc_u64_e32 v[82:83], v[74:75], v[42:43]
	global_load_b64 v[6:7], v[78:79], off
	global_load_b64 v[22:23], v[82:83], off
	s_wait_xcnt 0x0
	s_or_b32 exec_lo, exec_lo, s20
	s_and_saveexec_b32 s20, s2
	s_cbranch_execz .LBB32_33
.LBB32_44:                              ;   in Loop: Header=BB32_3 Depth=1
	v_add_nc_u64_e32 v[78:79], v[68:69], v[42:43]
	v_add_nc_u64_e32 v[82:83], v[70:71], v[42:43]
	global_load_b64 v[8:9], v[78:79], off
	global_load_b64 v[24:25], v[82:83], off
	s_wait_xcnt 0x0
	s_or_b32 exec_lo, exec_lo, s20
	s_and_saveexec_b32 s20, s2
	s_cbranch_execz .LBB32_34
.LBB32_45:                              ;   in Loop: Header=BB32_3 Depth=1
	v_add_nc_u64_e32 v[78:79], v[64:65], v[42:43]
	v_add_nc_u64_e32 v[82:83], v[66:67], v[42:43]
	global_load_b64 v[10:11], v[78:79], off
	global_load_b64 v[26:27], v[82:83], off
	s_wait_xcnt 0x0
	s_or_b32 exec_lo, exec_lo, s20
	s_and_saveexec_b32 s20, s2
	s_cbranch_execz .LBB32_35
.LBB32_46:                              ;   in Loop: Header=BB32_3 Depth=1
	v_add_nc_u64_e32 v[78:79], v[60:61], v[42:43]
	v_add_nc_u64_e32 v[82:83], v[62:63], v[42:43]
	global_load_b64 v[12:13], v[78:79], off
	global_load_b64 v[28:29], v[82:83], off
	s_wait_xcnt 0x0
	s_or_b32 exec_lo, exec_lo, s20
	s_and_saveexec_b32 s20, s2
	s_cbranch_execz .LBB32_36
.LBB32_47:                              ;   in Loop: Header=BB32_3 Depth=1
	v_add_nc_u64_e32 v[78:79], v[56:57], v[42:43]
	v_add_nc_u64_e32 v[82:83], v[58:59], v[42:43]
	global_load_b64 v[14:15], v[78:79], off
	global_load_b64 v[30:31], v[82:83], off
	s_wait_xcnt 0x0
	s_or_b32 exec_lo, exec_lo, s20
	s_and_saveexec_b32 s20, s2
	s_cbranch_execz .LBB32_37
.LBB32_48:                              ;   in Loop: Header=BB32_3 Depth=1
	v_add_nc_u64_e32 v[78:79], v[52:53], v[42:43]
	v_add_nc_u64_e32 v[82:83], v[54:55], v[42:43]
	global_load_b64 v[16:17], v[78:79], off
	global_load_b64 v[32:33], v[82:83], off
	s_wait_xcnt 0x0
	s_or_b32 exec_lo, exec_lo, s20
	s_and_saveexec_b32 s20, s2
	s_cbranch_execnz .LBB32_38
	s_branch .LBB32_39
.LBB32_49:
                                        ; implicit-def: $vgpr36_vgpr37
                                        ; implicit-def: $vgpr40_vgpr41
	s_branch .LBB32_51
.LBB32_50:
	s_cbranch_execnz .LBB32_82
.LBB32_51:
	v_mov_b64_e32 v[36:37], 0
	v_mov_b64_e32 v[40:41], 0
	s_and_not1_b32 vcc_lo, exec_lo, s17
	s_cbranch_vccnz .LBB32_82
; %bb.52:
	v_bfe_u32 v1, v0, 10, 10
	v_mov_b32_e32 v2, 0
	v_and_b32_e32 v110, 0x3ff, v0
	s_load_b32 s2, s[0:1], 0x44
	v_mov_b64_e32 v[40:41], 0
	s_delay_alu instid0(VALU_DEP_3) | instskip(SKIP_3) | instid1(VALU_DEP_3)
	v_dual_mov_b32 v5, v2 :: v_dual_lshlrev_b32 v4, 6, v1
	v_dual_mov_b32 v39, v2 :: v_dual_lshlrev_b32 v38, 3, v1
	v_mov_b64_e32 v[36:37], 0
	s_mov_b64 s[22:23], 0xffffffffffffffc3
	v_lshl_add_u64 v[4:5], s[18:19], 3, v[4:5]
	s_mov_b64 s[24:25], 0xffffffffffffffc4
	s_mov_b64 s[26:27], 0xffffffffffffffc5
	;; [unrolled: 1-line block ×4, first 2 shown]
	v_add_nc_u64_e32 v[6:7], 8, v[4:5]
	v_add_nc_u64_e32 v[10:11], 16, v[4:5]
	;; [unrolled: 1-line block ×7, first 2 shown]
	v_mad_nc_u64_u32 v[42:43], s6, v6, s[8:9]
	v_mul_lo_u32 v3, s6, v7
	v_mul_lo_u32 v20, s7, v6
	v_mad_nc_u64_u32 v[52:53], s6, v6, s[10:11]
	v_mad_nc_u64_u32 v[46:47], s6, v12, s[8:9]
	v_mul_lo_u32 v26, s6, v13
	v_mad_nc_u64_u32 v[62:63], s6, v4, s[8:9]
	v_mul_lo_u32 v32, s7, v4
	v_mad_nc_u64_u32 v[68:69], s6, v4, s[10:11]
	v_add_nc_u32_e32 v4, s3, v110
	v_add_nc_u64_e32 v[8:9], s[18:19], v[38:39]
	v_mul_lo_u32 v27, s7, v12
	v_mad_nc_u64_u32 v[56:57], s6, v12, s[10:11]
	v_add3_u32 v43, v20, v43, v3
	v_add3_u32 v53, v20, v53, v3
	v_mad_nc_u64_u32 v[44:45], s6, v10, s[8:9]
	v_mul_lo_u32 v24, s6, v11
	v_add_nc_u64_e32 v[6:7], 7, v[8:9]
	v_add_nc_u64_e32 v[12:13], 6, v[8:9]
	;; [unrolled: 1-line block ×3, first 2 shown]
	v_mul_lo_u32 v25, s7, v10
	v_mad_nc_u64_u32 v[48:49], s6, v14, s[8:9]
	v_mul_lo_u32 v28, s6, v15
	v_mul_lo_u32 v29, s7, v14
	v_mul_u64_e32 v[6:7], s[6:7], v[6:7]
	v_mad_nc_u64_u32 v[54:55], s6, v10, s[10:11]
	v_mul_u64_e32 v[10:11], s[6:7], v[8:9]
	v_add_nc_u64_e32 v[22:23], 4, v[8:9]
	v_mad_nc_u64_u32 v[60:61], s6, v14, s[10:11]
	v_mul_u64_e32 v[12:13], s[6:7], v[12:13]
	v_add_nc_u64_e32 v[14:15], 3, v[8:9]
	v_add_nc_u64_e32 v[8:9], 2, v[8:9]
	v_mul_u64_e32 v[20:21], s[6:7], v[20:21]
	v_mad_nc_u64_u32 v[50:51], s6, v16, s[8:9]
	v_mul_u64_e32 v[22:23], s[6:7], v[22:23]
	v_mul_lo_u32 v17, s6, v17
	v_mul_lo_u32 v30, s7, v16
	v_mul_u64_e32 v[14:15], s[6:7], v[14:15]
	v_mul_u64_e32 v[8:9], s[6:7], v[8:9]
	v_mad_nc_u64_u32 v[64:65], s6, v16, s[10:11]
	v_mul_lo_u32 v3, s6, v5
	v_mov_b32_e32 v5, v2
	v_mad_nc_u64_u32 v[58:59], s6, v18, s[8:9]
	v_mul_lo_u32 v19, s6, v19
	v_mul_lo_u32 v31, s7, v18
	v_mad_nc_u64_u32 v[66:67], s6, v18, s[10:11]
	v_lshlrev_b64_e32 v[70:71], 3, v[4:5]
	v_add3_u32 v51, v30, v51, v17
	s_mov_b32 s3, 0
	s_wait_kmcnt 0x0
	s_lshl_b32 s20, s2, 6
	v_add3_u32 v65, v30, v65, v17
	s_mov_b32 s21, s3
	v_add3_u32 v45, v25, v45, v24
	v_add3_u32 v47, v27, v47, v26
	;; [unrolled: 1-line block ×4, first 2 shown]
	v_lshlrev_b64_e32 v[6:7], 3, v[6:7]
	v_add3_u32 v49, v29, v49, v28
	v_lshlrev_b64_e32 v[16:17], 3, v[10:11]
	v_add_nc_u64_e32 v[10:11], s[6:7], v[10:11]
	v_add3_u32 v61, v29, v61, v28
	v_lshlrev_b64_e32 v[4:5], 3, v[12:13]
	v_add3_u32 v59, v31, v59, v19
	v_add_nc_u64_e32 v[76:77], s[8:9], v[6:7]
	v_add_nc_u64_e32 v[78:79], s[10:11], v[6:7]
	v_lshlrev_b64_e32 v[6:7], 3, v[20:21]
	v_lshlrev_b64_e32 v[12:13], 3, v[22:23]
	v_add_nc_u64_e32 v[72:73], s[8:9], v[16:17]
	v_add_nc_u64_e32 v[80:81], s[8:9], v[4:5]
	;; [unrolled: 1-line block ×3, first 2 shown]
	v_lshlrev_b64_e32 v[4:5], 3, v[14:15]
	v_lshlrev_b64_e32 v[8:9], 3, v[8:9]
	v_add_nc_u64_e32 v[84:85], s[8:9], v[6:7]
	v_add_nc_u64_e32 v[86:87], s[10:11], v[6:7]
	v_lshlrev_b64_e32 v[6:7], 3, v[10:11]
	v_add_nc_u64_e32 v[74:75], s[10:11], v[16:17]
	v_add_nc_u64_e32 v[88:89], s[8:9], v[12:13]
	;; [unrolled: 1-line block ×9, first 2 shown]
	v_add3_u32 v63, v32, v63, v3
	v_add3_u32 v67, v31, v67, v19
	;; [unrolled: 1-line block ×3, first 2 shown]
	s_mul_u64 s[38:39], s[6:7], s[20:21]
	s_mov_b64 s[8:9], 0xffffffffffffffc1
	s_mov_b64 s[10:11], 0xffffffffffffffc2
	;; [unrolled: 1-line block ×3, first 2 shown]
	s_add_nc_u64 s[36:37], s[0:1], 64
	s_lshl_b64 s[38:39], s[38:39], 3
	s_add_nc_u64 s[40:41], s[18:19], 63
	s_branch .LBB32_56
.LBB32_53:                              ;   in Loop: Header=BB32_56 Depth=1
	s_wait_xcnt 0x0
	s_or_b32 exec_lo, exec_lo, s17
.LBB32_54:                              ;   in Loop: Header=BB32_56 Depth=1
	s_delay_alu instid0(SALU_CYCLE_1)
	s_or_b32 exec_lo, exec_lo, s2
	v_add_nc_u64_e32 v[8:9], v[74:75], v[70:71]
	v_add_nc_u64_e32 v[10:11], v[52:53], v[70:71]
	;; [unrolled: 1-line block ×4, first 2 shown]
	global_load_b64 v[8:9], v[8:9], off
	global_load_b64 v[14:15], v[10:11], off
	global_load_b64 v[16:17], v[12:13], off
	s_wait_xcnt 0x1
	v_add_nc_u64_e32 v[10:11], v[54:55], v[70:71]
	s_wait_xcnt 0x0
	v_add_nc_u64_e32 v[12:13], v[42:43], v[70:71]
	global_load_b64 v[20:21], v[10:11], off
	global_load_b64 v[22:23], v[12:13], off
	s_wait_xcnt 0x1
	v_add_nc_u64_e32 v[10:11], v[56:57], v[70:71]
	s_wait_xcnt 0x0
	v_add_nc_u64_e32 v[12:13], v[44:45], v[70:71]
	global_load_b64 v[24:25], v[10:11], off
	global_load_b64 v[26:27], v[12:13], off
	;; [unrolled: 6-line block ×5, first 2 shown]
	global_load_b64 v[108:109], v[18:19], off
	s_wait_xcnt 0x2
	v_add_nc_u64_e32 v[10:11], v[58:59], v[70:71]
	s_wait_xcnt 0x1
	v_add_nc_u64_e32 v[12:13], v[62:63], v[70:71]
	global_load_b64 v[112:113], v[10:11], off
	global_load_b64 v[18:19], v[12:13], off
	s_wait_loadcnt 0x11
	s_wait_xcnt 0x1
	ds_bpermute_b32 v10, v2, v6
	ds_bpermute_b32 v11, v2, v7
	s_wait_xcnt 0x0
	ds_bpermute_b32 v12, v2, v6 offset:8
	ds_bpermute_b32 v13, v2, v7 offset:8
	s_wait_loadcnt_dscnt 0xf02
	v_add_f64_e64 v[8:9], v[8:9], -v[10:11]
	ds_bpermute_b32 v10, v2, v6 offset:4
	ds_bpermute_b32 v11, v2, v7 offset:4
	s_wait_loadcnt_dscnt 0xc02
	v_add_f64_e64 v[12:13], v[20:21], -v[12:13]
	s_wait_dscnt 0x0
	v_add_f64_e64 v[10:11], v[14:15], -v[10:11]
	ds_bpermute_b32 v14, v2, v4
	ds_bpermute_b32 v15, v2, v5
	v_mul_f64_e32 v[8:9], v[16:17], v[8:9]
	s_wait_loadcnt 0x9
	v_mul_f64_e32 v[12:13], v[26:27], v[12:13]
	v_mul_f64_e32 v[10:11], v[22:23], v[10:11]
	s_wait_dscnt 0x0
	s_delay_alu instid0(VALU_DEP_3)
	v_fmac_f64_e32 v[40:41], v[8:9], v[14:15]
	v_add_f64_e32 v[8:9], v[36:37], v[16:17]
	ds_bpermute_b32 v14, v2, v6 offset:12
	ds_bpermute_b32 v15, v2, v7 offset:12
	;; [unrolled: 1-line block ×4, first 2 shown]
	s_wait_dscnt 0x2
	v_add_f64_e64 v[14:15], v[24:25], -v[14:15]
	s_wait_dscnt 0x0
	v_fmac_f64_e32 v[40:41], v[10:11], v[16:17]
	v_add_f64_e32 v[8:9], v[8:9], v[22:23]
	ds_bpermute_b32 v10, v2, v6 offset:16
	ds_bpermute_b32 v11, v2, v7 offset:16
	;; [unrolled: 1-line block ×4, first 2 shown]
	s_wait_loadcnt_dscnt 0x802
	v_add_f64_e64 v[10:11], v[28:29], -v[10:11]
	s_wait_loadcnt 0x7
	v_mul_f64_e32 v[14:15], v[30:31], v[14:15]
	s_wait_dscnt 0x0
	v_fmac_f64_e32 v[40:41], v[12:13], v[16:17]
	v_add_f64_e32 v[8:9], v[8:9], v[26:27]
	ds_bpermute_b32 v12, v2, v6 offset:20
	ds_bpermute_b32 v13, v2, v7 offset:20
	;; [unrolled: 1-line block ×4, first 2 shown]
	s_wait_loadcnt_dscnt 0x602
	v_add_f64_e64 v[12:13], v[32:33], -v[12:13]
	s_wait_loadcnt 0x5
	v_mul_f64_e32 v[10:11], v[34:35], v[10:11]
	s_wait_dscnt 0x0
	v_fmac_f64_e32 v[40:41], v[14:15], v[16:17]
	v_add_f64_e32 v[8:9], v[8:9], v[30:31]
	ds_bpermute_b32 v14, v2, v6 offset:24
	ds_bpermute_b32 v16, v2, v4 offset:16
	;; [unrolled: 1-line block ×6, first 2 shown]
	s_wait_loadcnt 0x4
	v_mul_f64_e32 v[12:13], v[104:105], v[12:13]
	s_wait_loadcnt_dscnt 0x200
	v_add_f64_e64 v[6:7], v[108:109], -v[6:7]
	v_fmac_f64_e32 v[40:41], v[10:11], v[16:17]
	v_add_f64_e64 v[10:11], v[106:107], -v[14:15]
	v_add_f64_e32 v[8:9], v[8:9], v[34:35]
	ds_bpermute_b32 v14, v2, v4 offset:20
	ds_bpermute_b32 v15, v2, v5 offset:20
	s_wait_dscnt 0x0
	v_fmac_f64_e32 v[40:41], v[12:13], v[14:15]
	s_wait_loadcnt 0x1
	v_mul_f64_e32 v[10:11], v[112:113], v[10:11]
	v_add_f64_e32 v[8:9], v[8:9], v[104:105]
	s_wait_loadcnt 0x0
	v_mul_f64_e32 v[12:13], v[18:19], v[6:7]
	ds_bpermute_b32 v6, v2, v4 offset:24
	ds_bpermute_b32 v7, v2, v5 offset:24
	;; [unrolled: 1-line block ×4, first 2 shown]
	s_wait_dscnt 0x2
	v_fmac_f64_e32 v[40:41], v[10:11], v[6:7]
	v_add_f64_e32 v[6:7], v[8:9], v[112:113]
	s_wait_dscnt 0x0
	v_mul_f64_e32 v[8:9], v[12:13], v[4:5]
	s_delay_alu instid0(VALU_DEP_3)
	v_mov_b64_e32 v[4:5], v[40:41]
.LBB32_55:                              ;   in Loop: Header=BB32_56 Depth=1
	s_delay_alu instid0(VALU_DEP_1) | instskip(NEXT) | instid1(VALU_DEP_4)
	v_add_f64_e32 v[40:41], v[4:5], v[8:9]
	v_add_f64_e32 v[36:37], v[6:7], v[18:19]
	s_add_nc_u64 s[18:19], s[18:19], s[20:21]
	v_add_nc_u64_e32 v[72:73], s[38:39], v[72:73]
	v_cmp_ge_i64_e64 s2, s[18:19], s[4:5]
	v_add_nc_u64_e32 v[74:75], s[38:39], v[74:75]
	v_add_nc_u64_e32 v[42:43], s[38:39], v[42:43]
	;; [unrolled: 1-line block ×29, first 2 shown]
	s_and_b32 vcc_lo, exec_lo, s2
	s_add_nc_u64 s[40:41], s[40:41], s[20:21]
	s_cbranch_vccnz .LBB32_82
.LBB32_56:                              ; =>This Inner Loop Header: Depth=1
	v_cmp_ge_i64_e64 s2, s[40:41], s[4:5]
	v_add_nc_u64_e32 v[104:105], s[40:41], v[38:39]
                                        ; implicit-def: $vgpr18_vgpr19
                                        ; implicit-def: $vgpr8_vgpr9
                                        ; implicit-def: $vgpr6_vgpr7
                                        ; implicit-def: $vgpr4_vgpr5
	s_and_b32 vcc_lo, exec_lo, s2
	s_mov_b32 s2, -1
	s_cbranch_vccz .LBB32_78
; %bb.57:                               ;   in Loop: Header=BB32_56 Depth=1
	s_load_b32 s2, s[36:37], 0xc
	v_mov_b64_e32 v[106:107], 0
	v_mov_b64_e32 v[108:109], 0
	s_wait_kmcnt 0x0
	s_and_b32 s2, s2, 0xffff
	s_delay_alu instid0(SALU_CYCLE_1) | instskip(SKIP_1) | instid1(VALU_DEP_1)
	v_mad_u32_u24 v3, v1, s2, v110
	s_mov_b32 s2, exec_lo
	v_and_b32_e32 v4, 31, v3
	s_delay_alu instid0(VALU_DEP_1)
	v_cmpx_gt_u32_e32 8, v4
	s_cbranch_execz .LBB32_61
; %bb.58:                               ;   in Loop: Header=BB32_56 Depth=1
	v_mov_b32_e32 v5, v2
	v_mov_b64_e32 v[108:109], 0
	v_mov_b64_e32 v[106:107], 0
	s_mov_b32 s17, exec_lo
	s_delay_alu instid0(VALU_DEP_3) | instskip(NEXT) | instid1(VALU_DEP_1)
	v_add_nc_u64_e32 v[4:5], v[104:105], v[4:5]
	v_add_nc_u64_e32 v[4:5], s[8:9], v[4:5]
	s_delay_alu instid0(VALU_DEP_1)
	v_cmpx_gt_i64_e64 s[4:5], v[4:5]
	s_cbranch_execz .LBB32_60
; %bb.59:                               ;   in Loop: Header=BB32_56 Depth=1
	v_lshlrev_b64_e32 v[4:5], 3, v[4:5]
	s_delay_alu instid0(VALU_DEP_1)
	v_add_nc_u64_e32 v[6:7], s[12:13], v[4:5]
	v_add_nc_u64_e32 v[4:5], s[14:15], v[4:5]
	global_load_b64 v[108:109], v[6:7], off
	global_load_b64 v[106:107], v[4:5], off
.LBB32_60:                              ;   in Loop: Header=BB32_56 Depth=1
	s_wait_xcnt 0x0
	s_or_b32 exec_lo, exec_lo, s17
.LBB32_61:                              ;   in Loop: Header=BB32_56 Depth=1
	s_delay_alu instid0(SALU_CYCLE_1)
	s_or_b32 exec_lo, exec_lo, s2
	v_add_nc_u64_e32 v[18:19], s[8:9], v[104:105]
	v_dual_mov_b32 v15, v2 :: v_dual_mov_b32 v16, v2
	v_dual_mov_b32 v17, v2 :: v_dual_mov_b32 v3, v2
	;; [unrolled: 1-line block ×7, first 2 shown]
	v_mov_b32_e32 v14, v2
	v_mov_b64_e32 v[34:35], v[16:17]
	v_cmp_gt_i64_e32 vcc_lo, s[4:5], v[18:19]
	v_mov_b64_e32 v[28:29], v[10:11]
	v_mov_b64_e32 v[30:31], v[12:13]
	;; [unrolled: 1-line block ×15, first 2 shown]
	s_and_saveexec_b32 s2, vcc_lo
	s_cbranch_execz .LBB32_63
; %bb.62:                               ;   in Loop: Header=BB32_56 Depth=1
	v_add_nc_u64_e32 v[6:7], v[72:73], v[70:71]
	v_add_nc_u64_e32 v[8:9], v[74:75], v[70:71]
	v_dual_mov_b32 v10, v2 :: v_dual_mov_b32 v11, v2
	v_dual_mov_b32 v12, v2 :: v_dual_mov_b32 v13, v2
	;; [unrolled: 1-line block ×3, first 2 shown]
	global_load_b64 v[4:5], v[6:7], off
	global_load_b64 v[20:21], v[8:9], off
	s_wait_xcnt 0x1
	v_dual_mov_b32 v6, v2 :: v_dual_mov_b32 v7, v2
	s_wait_xcnt 0x0
	v_dual_mov_b32 v8, v2 :: v_dual_mov_b32 v9, v2
	v_dual_mov_b32 v16, v2 :: v_dual_mov_b32 v17, v2
	;; [unrolled: 1-line block ×10, first 2 shown]
.LBB32_63:                              ;   in Loop: Header=BB32_56 Depth=1
	s_or_b32 exec_lo, exec_lo, s2
	v_add_nc_u64_e32 v[112:113], s[10:11], v[104:105]
	s_mov_b32 s2, exec_lo
	s_delay_alu instid0(VALU_DEP_1)
	v_cmpx_gt_i64_e64 s[4:5], v[112:113]
	s_cbranch_execz .LBB32_65
; %bb.64:                               ;   in Loop: Header=BB32_56 Depth=1
	v_add_nc_u64_e32 v[112:113], v[100:101], v[70:71]
	v_add_nc_u64_e32 v[114:115], v[102:103], v[70:71]
	global_load_b64 v[6:7], v[112:113], off
	global_load_b64 v[22:23], v[114:115], off
.LBB32_65:                              ;   in Loop: Header=BB32_56 Depth=1
	s_wait_xcnt 0x0
	s_or_b32 exec_lo, exec_lo, s2
	v_add_nc_u64_e32 v[112:113], s[22:23], v[104:105]
	s_mov_b32 s2, exec_lo
	s_delay_alu instid0(VALU_DEP_1)
	v_cmpx_gt_i64_e64 s[4:5], v[112:113]
	s_cbranch_execz .LBB32_67
; %bb.66:                               ;   in Loop: Header=BB32_56 Depth=1
	v_add_nc_u64_e32 v[112:113], v[96:97], v[70:71]
	v_add_nc_u64_e32 v[114:115], v[98:99], v[70:71]
	global_load_b64 v[8:9], v[112:113], off
	global_load_b64 v[24:25], v[114:115], off
.LBB32_67:                              ;   in Loop: Header=BB32_56 Depth=1
	s_wait_xcnt 0x0
	;; [unrolled: 13-line block ×7, first 2 shown]
	s_or_b32 exec_lo, exec_lo, s2
	s_wait_loadcnt 0x1
	ds_bpermute_b32 v112, v2, v108
	ds_bpermute_b32 v113, v2, v109
	s_wait_loadcnt 0x0
	ds_bpermute_b32 v114, v2, v106
	ds_bpermute_b32 v115, v2, v107
	v_add_f64_e32 v[116:117], v[36:37], v[4:5]
	s_mov_b32 s2, 0
	s_wait_dscnt 0x2
	v_add_f64_e64 v[20:21], v[20:21], -v[112:113]
	ds_bpermute_b32 v112, v2, v108 offset:4
	ds_bpermute_b32 v113, v2, v109 offset:4
	s_wait_dscnt 0x0
	v_add_f64_e64 v[22:23], v[22:23], -v[112:113]
	ds_bpermute_b32 v112, v2, v108 offset:8
	ds_bpermute_b32 v113, v2, v109 offset:8
	v_mul_f64_e32 v[20:21], v[4:5], v[20:21]
	s_wait_dscnt 0x0
	v_add_f64_e64 v[24:25], v[24:25], -v[112:113]
	ds_bpermute_b32 v112, v2, v106 offset:4
	ds_bpermute_b32 v113, v2, v107 offset:4
	v_mul_f64_e32 v[22:23], v[6:7], v[22:23]
	v_add_f64_e32 v[6:7], v[6:7], v[116:117]
	v_fma_f64 v[4:5], v[20:21], v[114:115], v[40:41]
	ds_bpermute_b32 v20, v2, v108 offset:12
	ds_bpermute_b32 v21, v2, v109 offset:12
	v_mul_f64_e32 v[24:25], v[8:9], v[24:25]
	s_wait_dscnt 0x0
	v_add_f64_e64 v[20:21], v[26:27], -v[20:21]
	ds_bpermute_b32 v26, v2, v106 offset:8
	ds_bpermute_b32 v27, v2, v107 offset:8
	v_add_f64_e32 v[6:7], v[8:9], v[6:7]
	ds_bpermute_b32 v8, v2, v108 offset:20
	ds_bpermute_b32 v9, v2, v109 offset:20
	v_fmac_f64_e32 v[4:5], v[22:23], v[112:113]
	ds_bpermute_b32 v22, v2, v108 offset:16
	ds_bpermute_b32 v23, v2, v109 offset:16
	s_wait_dscnt 0x2
	v_add_f64_e64 v[8:9], v[30:31], -v[8:9]
	s_wait_dscnt 0x0
	v_add_f64_e64 v[22:23], v[28:29], -v[22:23]
	v_mul_f64_e32 v[20:21], v[10:11], v[20:21]
	v_add_f64_e32 v[6:7], v[10:11], v[6:7]
	ds_bpermute_b32 v10, v2, v108 offset:24
	ds_bpermute_b32 v11, v2, v109 offset:24
	v_fmac_f64_e32 v[4:5], v[24:25], v[26:27]
	ds_bpermute_b32 v24, v2, v106 offset:12
	ds_bpermute_b32 v25, v2, v107 offset:12
	s_wait_dscnt 0x2
	v_add_f64_e64 v[10:11], v[32:33], -v[10:11]
	v_mul_f64_e32 v[8:9], v[14:15], v[8:9]
	v_mul_f64_e32 v[22:23], v[12:13], v[22:23]
	v_add_f64_e32 v[6:7], v[12:13], v[6:7]
	s_wait_dscnt 0x0
	v_fmac_f64_e32 v[4:5], v[20:21], v[24:25]
	ds_bpermute_b32 v20, v2, v106 offset:16
	ds_bpermute_b32 v21, v2, v107 offset:16
	;; [unrolled: 1-line block ×4, first 2 shown]
	v_mul_f64_e32 v[10:11], v[16:17], v[10:11]
	s_wait_dscnt 0x0
	v_add_f64_e64 v[12:13], v[34:35], -v[24:25]
	v_add_f64_e32 v[6:7], v[14:15], v[6:7]
	ds_bpermute_b32 v14, v2, v106 offset:28
	ds_bpermute_b32 v15, v2, v107 offset:28
	v_fmac_f64_e32 v[4:5], v[22:23], v[20:21]
	ds_bpermute_b32 v20, v2, v106 offset:20
	ds_bpermute_b32 v21, v2, v107 offset:20
	v_add_f64_e32 v[6:7], v[16:17], v[6:7]
	s_wait_dscnt 0x0
	v_fmac_f64_e32 v[4:5], v[8:9], v[20:21]
	v_mul_f64_e32 v[8:9], v[18:19], v[12:13]
	ds_bpermute_b32 v12, v2, v106 offset:24
	ds_bpermute_b32 v13, v2, v107 offset:24
	s_wait_dscnt 0x0
	v_fmac_f64_e32 v[4:5], v[10:11], v[12:13]
	v_mul_f64_e32 v[8:9], v[8:9], v[14:15]
.LBB32_78:                              ;   in Loop: Header=BB32_56 Depth=1
	s_and_b32 vcc_lo, exec_lo, s2
	s_cbranch_vccz .LBB32_55
; %bb.79:                               ;   in Loop: Header=BB32_56 Depth=1
	s_load_b32 s2, s[36:37], 0x0
	v_mov_b64_e32 v[4:5], 0
	v_mov_b64_e32 v[6:7], 0
	s_wait_kmcnt 0x0
	s_cmp_lt_u32 s16, s2
	s_cselect_b32 s2, 12, 18
	s_delay_alu instid0(SALU_CYCLE_1) | instskip(SKIP_4) | instid1(VALU_DEP_1)
	s_add_nc_u64 s[42:43], s[36:37], s[2:3]
	s_load_u16 s2, s[42:43], 0x0
	s_wait_kmcnt 0x0
	v_mad_u32_u24 v3, v1, s2, v110
	s_mov_b32 s2, exec_lo
	v_and_b32_e32 v8, 31, v3
	s_delay_alu instid0(VALU_DEP_1)
	v_cmpx_gt_u32_e32 8, v8
	s_cbranch_execz .LBB32_54
; %bb.80:                               ;   in Loop: Header=BB32_56 Depth=1
	v_mov_b32_e32 v9, v2
	v_mov_b64_e32 v[6:7], 0
	s_mov_b32 s17, exec_lo
	s_delay_alu instid0(VALU_DEP_2) | instskip(NEXT) | instid1(VALU_DEP_1)
	v_add_nc_u64_e32 v[4:5], v[104:105], v[8:9]
	v_add_nc_u64_e32 v[8:9], s[8:9], v[4:5]
	v_mov_b64_e32 v[4:5], 0
	s_delay_alu instid0(VALU_DEP_2)
	v_cmpx_gt_i64_e64 s[4:5], v[8:9]
	s_cbranch_execz .LBB32_53
; %bb.81:                               ;   in Loop: Header=BB32_56 Depth=1
	v_lshlrev_b64_e32 v[4:5], 3, v[8:9]
	s_delay_alu instid0(VALU_DEP_1)
	v_add_nc_u64_e32 v[8:9], s[12:13], v[4:5]
	v_add_nc_u64_e32 v[10:11], s[14:15], v[4:5]
	global_load_b64 v[6:7], v[8:9], off
	global_load_b64 v[4:5], v[10:11], off
	s_branch .LBB32_53
.LBB32_82:
	v_and_b32_e32 v1, 0x3ff, v0
	v_bfe_u32 v0, v0, 10, 10
	s_mov_b32 s2, exec_lo
	s_delay_alu instid0(VALU_DEP_1) | instskip(NEXT) | instid1(VALU_DEP_1)
	v_mad_u32_u24 v2, 0x41, v0, v1
	v_lshl_add_u32 v3, v2, 3, 0
	v_sub_nc_u32_e32 v8, v2, v0
	ds_store_b64 v3, v[40:41]
	ds_store_b64 v3, v[36:37] offset:4160
	s_wait_dscnt 0x0
	s_barrier_signal -1
	s_barrier_wait -1
	v_cmpx_gt_u32_e32 0x800, v8
	s_cbranch_execz .LBB32_114
; %bb.83:
	s_load_b128 s[8:11], s[0:1], 0x30
	v_dual_lshrrev_b32 v0, 5, v8 :: v_dual_bitop2_b32 v2, 31, v1 bitop3:0x40
                                        ; implicit-def: $vgpr4_vgpr5
	s_wait_xcnt 0x0
	s_delay_alu instid0(VALU_DEP_1)
	v_cmp_gt_u32_e64 s0, 8, v2
	v_mul_u32_u24_e32 v9, 0x41, v2
                                        ; implicit-def: $vgpr2_vgpr3
	s_and_saveexec_b32 s1, s0
	s_cbranch_execz .LBB32_85
; %bb.84:
	s_delay_alu instid0(VALU_DEP_1) | instskip(NEXT) | instid1(VALU_DEP_1)
	v_add_nc_u32_e32 v2, v0, v9
	v_lshl_add_u32 v2, v2, 3, 0
	ds_load_b64 v[4:5], v2
	ds_load_b64 v[2:3], v2 offset:4160
.LBB32_85:
	s_or_b32 exec_lo, exec_lo, s1
	v_mbcnt_lo_u32_b32 v14, -1, 0
	s_mov_b32 s17, 0
	v_cmp_eq_u32_e64 s1, 0, v1
	s_lshl_b64 s[2:3], s[16:17], 6
	s_wait_kmcnt 0x0
	s_cmp_lg_u64 s[8:9], 0
	v_xor_b32_e32 v6, 4, v14
	s_cselect_b32 s5, -1, 0
	s_cmp_lg_u64 s[10:11], 0
	v_mov_b32_e32 v1, 0
	s_cselect_b32 s4, -1, 0
	v_cmp_gt_i32_e32 vcc_lo, 32, v6
	v_cndmask_b32_e32 v6, v14, v6, vcc_lo
	s_delay_alu instid0(VALU_DEP_1)
	v_lshlrev_b32_e32 v10, 2, v6
	s_wait_dscnt 0x1
	ds_bpermute_b32 v6, v10, v4
	ds_bpermute_b32 v7, v10, v5
	s_wait_dscnt 0x0
	v_add_f64_e32 v[4:5], v[4:5], v[6:7]
	v_xor_b32_e32 v6, 2, v14
	s_delay_alu instid0(VALU_DEP_1)
	v_cmp_gt_i32_e32 vcc_lo, 32, v6
	v_cndmask_b32_e32 v6, v14, v6, vcc_lo
	ds_bpermute_b32 v12, v10, v2
	ds_bpermute_b32 v13, v10, v3
	s_wait_dscnt 0x0
	v_dual_add_f64 v[2:3], v[2:3], v[12:13] :: v_dual_lshlrev_b32 v11, 2, v6
	ds_bpermute_b32 v6, v11, v4
	ds_bpermute_b32 v7, v11, v5
	s_wait_dscnt 0x0
	v_add_f64_e32 v[4:5], v[4:5], v[6:7]
	ds_bpermute_b32 v12, v11, v2
	ds_bpermute_b32 v13, v11, v3
	s_wait_dscnt 0x0
	v_dual_add_f64 v[6:7], v[2:3], v[12:13] :: v_dual_bitop2_b32 v2, 1, v14 bitop3:0x14
	s_delay_alu instid0(VALU_DEP_1) | instskip(SKIP_1) | instid1(VALU_DEP_1)
	v_cmp_gt_i32_e32 vcc_lo, 32, v2
	v_cndmask_b32_e32 v2, v14, v2, vcc_lo
	v_lshlrev_b32_e32 v12, 2, v2
	ds_bpermute_b32 v2, v12, v4
	ds_bpermute_b32 v3, v12, v5
	;; [unrolled: 1-line block ×4, first 2 shown]
	s_wait_dscnt 0x2
	v_add_f64_e32 v[2:3], v[4:5], v[2:3]
	s_wait_dscnt 0x0
	v_dual_add_f64 v[4:5], v[6:7], v[14:15] :: v_dual_bitop2_b32 v6, s2, v0 bitop3:0x54
	v_mov_b32_e32 v7, s3
	s_delay_alu instid0(VALU_DEP_1) | instskip(SKIP_1) | instid1(SALU_CYCLE_1)
	v_cmp_gt_i64_e32 vcc_lo, s[6:7], v[6:7]
	s_and_b32 s13, s1, vcc_lo
	s_and_saveexec_b32 s12, s13
	s_cbranch_execz .LBB32_90
; %bb.86:
	s_and_not1_b32 vcc_lo, exec_lo, s5
	s_cbranch_vccnz .LBB32_88
; %bb.87:
	v_lshl_add_u64 v[14:15], v[6:7], 3, s[8:9]
	global_store_b64 v[14:15], v[2:3], off
.LBB32_88:
	s_and_not1_b32 vcc_lo, exec_lo, s4
	s_cbranch_vccnz .LBB32_90
; %bb.89:
	v_lshl_add_u64 v[6:7], v[6:7], 3, s[10:11]
	global_store_b64 v[6:7], v[4:5], off
.LBB32_90:
	s_wait_xcnt 0x0
	s_or_b32 exec_lo, exec_lo, s12
	v_cmp_gt_u32_e32 vcc_lo, 0x600, v8
	s_and_b32 exec_lo, exec_lo, vcc_lo
	s_cbranch_execz .LBB32_114
; %bb.91:
	s_and_saveexec_b32 s12, s0
	s_cbranch_execz .LBB32_93
; %bb.92:
	v_add_nc_u32_e32 v2, v0, v9
	s_delay_alu instid0(VALU_DEP_1)
	v_lshl_add_u32 v4, v2, 3, 0
	ds_load_b64 v[2:3], v4 offset:128
	ds_load_b64 v[4:5], v4 offset:4288
.LBB32_93:
	s_or_b32 exec_lo, exec_lo, s12
	s_wait_dscnt 0x1
	ds_bpermute_b32 v6, v10, v2
	ds_bpermute_b32 v7, v10, v3
	s_wait_dscnt 0x2
	ds_bpermute_b32 v14, v10, v4
	ds_bpermute_b32 v15, v10, v5
	s_wait_dscnt 0x2
	v_add_f64_e32 v[2:3], v[2:3], v[6:7]
	s_wait_dscnt 0x0
	v_add_f64_e32 v[4:5], v[4:5], v[14:15]
	ds_bpermute_b32 v6, v11, v2
	ds_bpermute_b32 v7, v11, v3
	s_wait_dscnt 0x0
	v_add_f64_e32 v[2:3], v[2:3], v[6:7]
	ds_bpermute_b32 v6, v12, v2
	ds_bpermute_b32 v7, v12, v3
	s_wait_dscnt 0x0
	v_dual_add_f64 v[2:3], v[2:3], v[6:7] :: v_dual_mov_b32 v7, 0
	ds_bpermute_b32 v14, v11, v4
	ds_bpermute_b32 v15, v11, v5
	v_add_nc_u32_e32 v6, 16, v0
	s_delay_alu instid0(VALU_DEP_1) | instskip(NEXT) | instid1(VALU_DEP_1)
	v_add_nc_u64_e32 v[6:7], s[2:3], v[6:7]
	v_cmp_gt_i64_e32 vcc_lo, s[6:7], v[6:7]
	s_wait_dscnt 0x0
	v_add_f64_e32 v[4:5], v[4:5], v[14:15]
	s_and_b32 s13, s1, vcc_lo
	ds_bpermute_b32 v14, v12, v4
	ds_bpermute_b32 v15, v12, v5
	s_wait_dscnt 0x0
	v_add_f64_e32 v[4:5], v[4:5], v[14:15]
	s_and_saveexec_b32 s12, s13
	s_cbranch_execz .LBB32_98
; %bb.94:
	s_and_not1_b32 vcc_lo, exec_lo, s5
	s_cbranch_vccnz .LBB32_96
; %bb.95:
	v_add_nc_u64_e32 v[6:7], s[2:3], v[0:1]
	s_delay_alu instid0(VALU_DEP_1)
	v_lshl_add_u64 v[6:7], v[6:7], 3, s[8:9]
	global_store_b64 v[6:7], v[2:3], off offset:128
.LBB32_96:
	s_and_not1_b32 vcc_lo, exec_lo, s4
	s_cbranch_vccnz .LBB32_98
; %bb.97:
	s_wait_xcnt 0x0
	v_add_nc_u64_e32 v[6:7], s[2:3], v[0:1]
	s_delay_alu instid0(VALU_DEP_1)
	v_lshl_add_u64 v[6:7], v[6:7], 3, s[10:11]
	global_store_b64 v[6:7], v[4:5], off offset:128
.LBB32_98:
	s_wait_xcnt 0x0
	s_or_b32 exec_lo, exec_lo, s12
	v_cmp_gt_u32_e32 vcc_lo, 0x400, v8
	s_and_b32 exec_lo, exec_lo, vcc_lo
	s_cbranch_execz .LBB32_114
; %bb.99:
	s_and_saveexec_b32 s12, s0
	s_cbranch_execz .LBB32_101
; %bb.100:
	v_add_nc_u32_e32 v2, v0, v9
	s_delay_alu instid0(VALU_DEP_1)
	v_lshl_add_u32 v4, v2, 3, 0
	ds_load_b64 v[2:3], v4 offset:256
	ds_load_b64 v[4:5], v4 offset:4416
.LBB32_101:
	s_or_b32 exec_lo, exec_lo, s12
	s_wait_dscnt 0x1
	ds_bpermute_b32 v6, v10, v2
	ds_bpermute_b32 v7, v10, v3
	s_wait_dscnt 0x2
	ds_bpermute_b32 v14, v10, v4
	ds_bpermute_b32 v15, v10, v5
	s_wait_dscnt 0x2
	v_add_f64_e32 v[2:3], v[2:3], v[6:7]
	s_wait_dscnt 0x0
	v_add_f64_e32 v[4:5], v[4:5], v[14:15]
	ds_bpermute_b32 v6, v11, v2
	ds_bpermute_b32 v7, v11, v3
	s_wait_dscnt 0x0
	v_add_f64_e32 v[2:3], v[2:3], v[6:7]
	ds_bpermute_b32 v6, v12, v2
	ds_bpermute_b32 v7, v12, v3
	s_wait_dscnt 0x0
	v_dual_add_f64 v[2:3], v[2:3], v[6:7] :: v_dual_mov_b32 v7, s3
	ds_bpermute_b32 v14, v11, v4
	ds_bpermute_b32 v15, v11, v5
	v_add_nc_u32_e32 v6, 32, v0
	s_delay_alu instid0(VALU_DEP_1) | instskip(NEXT) | instid1(VALU_DEP_1)
	v_or_b32_e32 v6, s2, v6
	v_cmp_gt_i64_e32 vcc_lo, s[6:7], v[6:7]
	s_and_b32 s13, s1, vcc_lo
	s_wait_dscnt 0x0
	v_add_f64_e32 v[4:5], v[4:5], v[14:15]
	ds_bpermute_b32 v14, v12, v4
	ds_bpermute_b32 v15, v12, v5
	s_wait_dscnt 0x0
	v_add_f64_e32 v[4:5], v[4:5], v[14:15]
	s_and_saveexec_b32 s12, s13
	s_cbranch_execz .LBB32_106
; %bb.102:
	s_and_not1_b32 vcc_lo, exec_lo, s5
	s_cbranch_vccnz .LBB32_104
; %bb.103:
	v_add_nc_u64_e32 v[6:7], s[2:3], v[0:1]
	s_delay_alu instid0(VALU_DEP_1)
	v_lshl_add_u64 v[6:7], v[6:7], 3, s[8:9]
	global_store_b64 v[6:7], v[2:3], off offset:256
.LBB32_104:
	s_and_not1_b32 vcc_lo, exec_lo, s4
	s_cbranch_vccnz .LBB32_106
; %bb.105:
	s_wait_xcnt 0x0
	v_add_nc_u64_e32 v[6:7], s[2:3], v[0:1]
	s_delay_alu instid0(VALU_DEP_1)
	v_lshl_add_u64 v[6:7], v[6:7], 3, s[10:11]
	global_store_b64 v[6:7], v[4:5], off offset:256
.LBB32_106:
	s_wait_xcnt 0x0
	s_or_b32 exec_lo, exec_lo, s12
	v_cmp_gt_u32_e32 vcc_lo, 0x200, v8
	s_and_b32 exec_lo, exec_lo, vcc_lo
	s_cbranch_execz .LBB32_114
; %bb.107:
	s_and_saveexec_b32 s12, s0
	s_cbranch_execz .LBB32_109
; %bb.108:
	v_add_nc_u32_e32 v2, v0, v9
	s_delay_alu instid0(VALU_DEP_1)
	v_lshl_add_u32 v4, v2, 3, 0
	ds_load_b64 v[2:3], v4 offset:384
	ds_load_b64 v[4:5], v4 offset:4544
.LBB32_109:
	s_or_b32 exec_lo, exec_lo, s12
	s_wait_dscnt 0x1
	ds_bpermute_b32 v6, v10, v2
	ds_bpermute_b32 v7, v10, v3
	s_wait_dscnt 0x2
	ds_bpermute_b32 v8, v10, v4
	ds_bpermute_b32 v9, v10, v5
	v_add_nc_u32_e32 v10, 48, v0
	s_delay_alu instid0(VALU_DEP_1)
	v_or_b32_e32 v10, s2, v10
	s_wait_dscnt 0x2
	v_add_f64_e32 v[2:3], v[2:3], v[6:7]
	s_wait_dscnt 0x0
	v_add_f64_e32 v[4:5], v[4:5], v[8:9]
	ds_bpermute_b32 v6, v11, v2
	ds_bpermute_b32 v7, v11, v3
	;; [unrolled: 1-line block ×4, first 2 shown]
	v_mov_b32_e32 v11, s3
	s_delay_alu instid0(VALU_DEP_1)
	v_cmp_gt_i64_e32 vcc_lo, s[6:7], v[10:11]
	s_and_b32 s0, s1, vcc_lo
	s_wait_dscnt 0x2
	v_add_f64_e32 v[6:7], v[2:3], v[6:7]
	s_wait_dscnt 0x0
	v_add_f64_e32 v[2:3], v[4:5], v[8:9]
	ds_bpermute_b32 v8, v12, v6
	ds_bpermute_b32 v9, v12, v7
	;; [unrolled: 1-line block ×4, first 2 shown]
	s_and_b32 exec_lo, exec_lo, s0
	s_cbranch_execz .LBB32_114
; %bb.110:
	v_add_nc_u64_e32 v[0:1], s[2:3], v[0:1]
	s_and_not1_b32 vcc_lo, exec_lo, s5
	s_cbranch_vccnz .LBB32_112
; %bb.111:
	s_wait_dscnt 0x2
	v_add_f64_e32 v[6:7], v[6:7], v[8:9]
	s_delay_alu instid0(VALU_DEP_2)
	v_lshl_add_u64 v[8:9], v[0:1], 3, s[8:9]
	global_store_b64 v[8:9], v[6:7], off offset:384
.LBB32_112:
	s_and_not1_b32 vcc_lo, exec_lo, s4
	s_cbranch_vccnz .LBB32_114
; %bb.113:
	s_wait_dscnt 0x0
	v_add_f64_e32 v[2:3], v[2:3], v[4:5]
	v_lshl_add_u64 v[0:1], v[0:1], 3, s[10:11]
	global_store_b64 v[0:1], v[2:3], off offset:384
.LBB32_114:
	s_sendmsg sendmsg(MSG_DEALLOC_VGPRS)
	s_endpgm
	.section	.rodata,"a",@progbits
	.p2align	6, 0x0
	.amdhsa_kernel _ZN2at6native12_GLOBAL__N_135GammaBetaBackwardCUDAKernelTemplateIddLj64ELj8ELj64ELb0ELb0ELb0EEEvllPKT_S5_PKT0_S8_PS3_S9_
		.amdhsa_group_segment_fixed_size 0
		.amdhsa_private_segment_fixed_size 0
		.amdhsa_kernarg_size 320
		.amdhsa_user_sgpr_count 2
		.amdhsa_user_sgpr_dispatch_ptr 0
		.amdhsa_user_sgpr_queue_ptr 0
		.amdhsa_user_sgpr_kernarg_segment_ptr 1
		.amdhsa_user_sgpr_dispatch_id 0
		.amdhsa_user_sgpr_kernarg_preload_length 0
		.amdhsa_user_sgpr_kernarg_preload_offset 0
		.amdhsa_user_sgpr_private_segment_size 0
		.amdhsa_wavefront_size32 1
		.amdhsa_uses_dynamic_stack 0
		.amdhsa_enable_private_segment 0
		.amdhsa_system_sgpr_workgroup_id_x 1
		.amdhsa_system_sgpr_workgroup_id_y 1
		.amdhsa_system_sgpr_workgroup_id_z 0
		.amdhsa_system_sgpr_workgroup_info 0
		.amdhsa_system_vgpr_workitem_id 1
		.amdhsa_next_free_vgpr 118
		.amdhsa_next_free_sgpr 52
		.amdhsa_named_barrier_count 0
		.amdhsa_reserve_vcc 1
		.amdhsa_float_round_mode_32 0
		.amdhsa_float_round_mode_16_64 0
		.amdhsa_float_denorm_mode_32 3
		.amdhsa_float_denorm_mode_16_64 3
		.amdhsa_fp16_overflow 0
		.amdhsa_memory_ordered 1
		.amdhsa_forward_progress 1
		.amdhsa_inst_pref_size 64
		.amdhsa_round_robin_scheduling 0
		.amdhsa_exception_fp_ieee_invalid_op 0
		.amdhsa_exception_fp_denorm_src 0
		.amdhsa_exception_fp_ieee_div_zero 0
		.amdhsa_exception_fp_ieee_overflow 0
		.amdhsa_exception_fp_ieee_underflow 0
		.amdhsa_exception_fp_ieee_inexact 0
		.amdhsa_exception_int_div_zero 0
	.end_amdhsa_kernel
	.section	.text._ZN2at6native12_GLOBAL__N_135GammaBetaBackwardCUDAKernelTemplateIddLj64ELj8ELj64ELb0ELb0ELb0EEEvllPKT_S5_PKT0_S8_PS3_S9_,"axG",@progbits,_ZN2at6native12_GLOBAL__N_135GammaBetaBackwardCUDAKernelTemplateIddLj64ELj8ELj64ELb0ELb0ELb0EEEvllPKT_S5_PKT0_S8_PS3_S9_,comdat
.Lfunc_end32:
	.size	_ZN2at6native12_GLOBAL__N_135GammaBetaBackwardCUDAKernelTemplateIddLj64ELj8ELj64ELb0ELb0ELb0EEEvllPKT_S5_PKT0_S8_PS3_S9_, .Lfunc_end32-_ZN2at6native12_GLOBAL__N_135GammaBetaBackwardCUDAKernelTemplateIddLj64ELj8ELj64ELb0ELb0ELb0EEEvllPKT_S5_PKT0_S8_PS3_S9_
                                        ; -- End function
	.set _ZN2at6native12_GLOBAL__N_135GammaBetaBackwardCUDAKernelTemplateIddLj64ELj8ELj64ELb0ELb0ELb0EEEvllPKT_S5_PKT0_S8_PS3_S9_.num_vgpr, 118
	.set _ZN2at6native12_GLOBAL__N_135GammaBetaBackwardCUDAKernelTemplateIddLj64ELj8ELj64ELb0ELb0ELb0EEEvllPKT_S5_PKT0_S8_PS3_S9_.num_agpr, 0
	.set _ZN2at6native12_GLOBAL__N_135GammaBetaBackwardCUDAKernelTemplateIddLj64ELj8ELj64ELb0ELb0ELb0EEEvllPKT_S5_PKT0_S8_PS3_S9_.numbered_sgpr, 52
	.set _ZN2at6native12_GLOBAL__N_135GammaBetaBackwardCUDAKernelTemplateIddLj64ELj8ELj64ELb0ELb0ELb0EEEvllPKT_S5_PKT0_S8_PS3_S9_.num_named_barrier, 0
	.set _ZN2at6native12_GLOBAL__N_135GammaBetaBackwardCUDAKernelTemplateIddLj64ELj8ELj64ELb0ELb0ELb0EEEvllPKT_S5_PKT0_S8_PS3_S9_.private_seg_size, 0
	.set _ZN2at6native12_GLOBAL__N_135GammaBetaBackwardCUDAKernelTemplateIddLj64ELj8ELj64ELb0ELb0ELb0EEEvllPKT_S5_PKT0_S8_PS3_S9_.uses_vcc, 1
	.set _ZN2at6native12_GLOBAL__N_135GammaBetaBackwardCUDAKernelTemplateIddLj64ELj8ELj64ELb0ELb0ELb0EEEvllPKT_S5_PKT0_S8_PS3_S9_.uses_flat_scratch, 0
	.set _ZN2at6native12_GLOBAL__N_135GammaBetaBackwardCUDAKernelTemplateIddLj64ELj8ELj64ELb0ELb0ELb0EEEvllPKT_S5_PKT0_S8_PS3_S9_.has_dyn_sized_stack, 0
	.set _ZN2at6native12_GLOBAL__N_135GammaBetaBackwardCUDAKernelTemplateIddLj64ELj8ELj64ELb0ELb0ELb0EEEvllPKT_S5_PKT0_S8_PS3_S9_.has_recursion, 0
	.set _ZN2at6native12_GLOBAL__N_135GammaBetaBackwardCUDAKernelTemplateIddLj64ELj8ELj64ELb0ELb0ELb0EEEvllPKT_S5_PKT0_S8_PS3_S9_.has_indirect_call, 0
	.section	.AMDGPU.csdata,"",@progbits
; Kernel info:
; codeLenInByte = 8192
; TotalNumSgprs: 54
; NumVgprs: 118
; ScratchSize: 0
; MemoryBound: 1
; FloatMode: 240
; IeeeMode: 1
; LDSByteSize: 0 bytes/workgroup (compile time only)
; SGPRBlocks: 0
; VGPRBlocks: 7
; NumSGPRsForWavesPerEU: 54
; NumVGPRsForWavesPerEU: 118
; NamedBarCnt: 0
; Occupancy: 8
; WaveLimiterHint : 0
; COMPUTE_PGM_RSRC2:SCRATCH_EN: 0
; COMPUTE_PGM_RSRC2:USER_SGPR: 2
; COMPUTE_PGM_RSRC2:TRAP_HANDLER: 0
; COMPUTE_PGM_RSRC2:TGID_X_EN: 1
; COMPUTE_PGM_RSRC2:TGID_Y_EN: 1
; COMPUTE_PGM_RSRC2:TGID_Z_EN: 0
; COMPUTE_PGM_RSRC2:TIDIG_COMP_CNT: 1
	.section	.text._ZN2at6native12_GLOBAL__N_135GammaBetaBackwardCUDAKernelTemplateIddLj64ELj16ELj128ELb0ELb1ELb0EEEvllPKT_S5_PKT0_S8_PS3_S9_,"axG",@progbits,_ZN2at6native12_GLOBAL__N_135GammaBetaBackwardCUDAKernelTemplateIddLj64ELj16ELj128ELb0ELb1ELb0EEEvllPKT_S5_PKT0_S8_PS3_S9_,comdat
	.globl	_ZN2at6native12_GLOBAL__N_135GammaBetaBackwardCUDAKernelTemplateIddLj64ELj16ELj128ELb0ELb1ELb0EEEvllPKT_S5_PKT0_S8_PS3_S9_ ; -- Begin function _ZN2at6native12_GLOBAL__N_135GammaBetaBackwardCUDAKernelTemplateIddLj64ELj16ELj128ELb0ELb1ELb0EEEvllPKT_S5_PKT0_S8_PS3_S9_
	.p2align	8
	.type	_ZN2at6native12_GLOBAL__N_135GammaBetaBackwardCUDAKernelTemplateIddLj64ELj16ELj128ELb0ELb1ELb0EEEvllPKT_S5_PKT0_S8_PS3_S9_,@function
_ZN2at6native12_GLOBAL__N_135GammaBetaBackwardCUDAKernelTemplateIddLj64ELj16ELj128ELb0ELb1ELb0EEEvllPKT_S5_PKT0_S8_PS3_S9_: ; @_ZN2at6native12_GLOBAL__N_135GammaBetaBackwardCUDAKernelTemplateIddLj64ELj16ELj128ELb0ELb1ELb0EEEvllPKT_S5_PKT0_S8_PS3_S9_
; %bb.0:
	s_load_b128 s[12:15], s[0:1], 0x0
	s_bfe_u32 s2, ttmp6, 0x40010
	s_bfe_u32 s4, ttmp6, 0x40004
	s_add_co_i32 s2, s2, 1
	s_getreg_b32 s3, hwreg(HW_REG_IB_STS2, 6, 4)
	s_mul_i32 s2, ttmp7, s2
	s_mov_b32 s17, 0
	s_add_co_i32 s4, s4, s2
	s_cmp_eq_u32 s3, 0
	v_bfe_u32 v25, v0, 10, 10
	s_cselect_b32 s2, ttmp7, s4
	s_delay_alu instid0(SALU_CYCLE_1)
	s_lshl_b32 s16, s2, 7
	s_wait_kmcnt 0x0
	v_cmp_gt_i64_e64 s2, s[12:13], s[16:17]
	s_and_b32 vcc_lo, exec_lo, s2
	s_cbranch_vccnz .LBB33_2
; %bb.1:
	v_bfe_u32 v1, v0, 10, 10
	s_mov_b32 s2, s17
	s_branch .LBB33_3
.LBB33_2:
	s_mov_b32 s2, -1
                                        ; implicit-def: $vgpr1
.LBB33_3:
	v_mov_b64_e32 v[14:15], 0
	v_mov_b64_e32 v[2:3], 0
	v_and_b32_e32 v24, 0x3ff, v0
	s_and_not1_b32 vcc_lo, exec_lo, s2
	s_cbranch_vccnz .LBB33_11
; %bb.4:
	v_dual_mov_b32 v1, 0 :: v_dual_lshlrev_b32 v0, 3, v25
	s_load_b32 s2, s[0:1], 0x4c
	s_bfe_u32 s21, ttmp6, 0x4000c
	s_clause 0x1
	s_load_b32 s18, s[0:1], 0x44
	s_load_b256 s[4:11], s[0:1], 0x10
	s_add_co_i32 s21, s21, 1
	v_add_nc_u64_e32 v[2:3], s[16:17], v[0:1]
	s_and_b32 s20, ttmp6, 15
	s_mul_i32 s21, ttmp9, s21
	v_dual_mov_b32 v27, 12 :: v_dual_mov_b32 v7, v1
	s_add_co_i32 s20, s20, s21
	v_mov_b64_e32 v[14:15], 0
	s_delay_alu instid0(VALU_DEP_3)
	v_mul_u64_e32 v[8:9], s[14:15], v[2:3]
	s_mov_b32 s19, 0
	v_dual_mov_b32 v0, 8 :: v_dual_mov_b32 v26, 4
	v_dual_mov_b32 v28, 16 :: v_dual_mov_b32 v29, 20
	;; [unrolled: 1-line block ×3, first 2 shown]
	s_wait_kmcnt 0x0
	s_and_b32 s2, s2, 0xffff
	s_cmp_eq_u32 s3, 0
	v_mad_u32_u24 v4, v25, s2, v24
	v_mov_b32_e32 v11, v1
	s_cselect_b32 s2, ttmp9, s20
	s_lshl_b32 s18, s18, 7
	v_lshl_add_u32 v10, s2, 6, v24
	v_and_b32_e32 v6, 31, v4
	s_mul_u64 s[22:23], s[14:15], s[18:19]
	s_lshl_b64 s[20:21], s[18:19], 3
	s_lshl_b64 s[22:23], s[22:23], 3
	v_lshlrev_b64_e32 v[10:11], 3, v[10:11]
	v_add_nc_u64_e32 v[4:5], v[2:3], v[6:7]
	v_mov_b64_e32 v[2:3], 0
	v_cmp_gt_u32_e64 s2, 8, v6
	s_lshl_b64 s[14:15], s[14:15], 3
	v_lshlrev_b64_e32 v[6:7], 3, v[4:5]
	v_lshl_add_u64 v[8:9], v[8:9], 3, v[10:11]
	s_branch .LBB33_7
.LBB33_5:                               ;   in Loop: Header=BB33_7 Depth=1
	s_wait_xcnt 0x0
	s_or_b32 exec_lo, exec_lo, s25
.LBB33_6:                               ;   in Loop: Header=BB33_7 Depth=1
	s_delay_alu instid0(SALU_CYCLE_1)
	s_or_b32 exec_lo, exec_lo, s24
	v_add_nc_u64_e32 v[16:17], s[6:7], v[8:9]
	v_add_nc_u64_e32 v[18:19], s[4:5], v[8:9]
	s_wait_loadcnt 0x0
	ds_bpermute_b32 v58, v1, v10
	ds_bpermute_b32 v59, v1, v11
	s_add_nc_u64 s[16:17], s[16:17], s[18:19]
	v_add_nc_u64_e32 v[6:7], s[20:21], v[6:7]
	v_cmp_lt_i64_e64 s24, s[16:17], s[12:13]
	global_load_b64 v[32:33], v[16:17], off
	s_wait_xcnt 0x0
	v_add_nc_u64_e32 v[16:17], s[14:15], v[16:17]
	v_add_nc_u64_e32 v[4:5], s[18:19], v[4:5]
	;; [unrolled: 1-line block ×3, first 2 shown]
	global_load_b64 v[34:35], v[16:17], off
	global_load_b64 v[36:37], v[18:19], off
	s_wait_xcnt 0x1
	v_add_nc_u64_e32 v[16:17], s[14:15], v[16:17]
	s_wait_xcnt 0x0
	v_add_nc_u64_e32 v[18:19], s[14:15], v[18:19]
	s_and_b32 vcc_lo, exec_lo, s24
	global_load_b64 v[38:39], v[16:17], off
	global_load_b64 v[40:41], v[18:19], off
	s_wait_xcnt 0x1
	v_add_nc_u64_e32 v[16:17], s[14:15], v[16:17]
	s_wait_xcnt 0x0
	v_add_nc_u64_e32 v[18:19], s[14:15], v[18:19]
	global_load_b64 v[42:43], v[16:17], off
	global_load_b64 v[44:45], v[18:19], off
	s_wait_xcnt 0x1
	v_add_nc_u64_e32 v[16:17], s[14:15], v[16:17]
	s_wait_xcnt 0x0
	v_add_nc_u64_e32 v[18:19], s[14:15], v[18:19]
	;; [unrolled: 6-line block ×3, first 2 shown]
	global_load_b64 v[50:51], v[16:17], off
	global_load_b64 v[52:53], v[18:19], off
	s_wait_xcnt 0x1
	v_add_nc_u64_e32 v[16:17], s[14:15], v[16:17]
	v_add_nc_u64_e32 v[20:21], s[14:15], v[18:19]
	global_load_b64 v[54:55], v[16:17], off
	global_load_b64 v[18:19], v[20:21], off
	s_wait_xcnt 0x1
	v_add_nc_u64_e32 v[16:17], s[14:15], v[16:17]
	v_add_nc_u64_e32 v[56:57], s[14:15], v[20:21]
	global_load_b64 v[22:23], v[16:17], off
	global_load_b64 v[20:21], v[56:57], off
	s_wait_xcnt 0x1
	v_add_nc_u64_e32 v[16:17], s[14:15], v[56:57]
	s_wait_xcnt 0x0
	ds_bpermute_b32 v56, v1, v12
	ds_bpermute_b32 v57, v1, v13
	global_load_b64 v[16:17], v[16:17], off
	s_wait_loadcnt_dscnt 0xf00
	v_add_f64_e64 v[32:33], v[32:33], -v[56:57]
	ds_bpermute_b32 v56, v26, v12
	ds_bpermute_b32 v57, v26, v13
	s_wait_loadcnt 0xd
	v_add_f64_e32 v[14:15], v[14:15], v[36:37]
	s_wait_dscnt 0x0
	v_add_f64_e64 v[34:35], v[34:35], -v[56:57]
	ds_bpermute_b32 v56, v0, v12
	ds_bpermute_b32 v57, v0, v13
	v_mul_f64_e32 v[32:33], v[36:37], v[32:33]
	ds_bpermute_b32 v36, v26, v10
	ds_bpermute_b32 v37, v26, v11
	s_wait_loadcnt 0xb
	v_add_f64_e32 v[14:15], v[14:15], v[40:41]
	s_wait_dscnt 0x2
	v_add_f64_e64 v[38:39], v[38:39], -v[56:57]
	v_mul_f64_e32 v[34:35], v[40:41], v[34:35]
	v_fmac_f64_e32 v[2:3], v[32:33], v[58:59]
	ds_bpermute_b32 v32, v27, v12
	ds_bpermute_b32 v33, v27, v13
	s_wait_loadcnt 0x9
	v_add_f64_e32 v[14:15], v[14:15], v[44:45]
	v_mul_f64_e32 v[38:39], v[44:45], v[38:39]
	s_wait_dscnt 0x0
	v_add_f64_e64 v[32:33], v[42:43], -v[32:33]
	v_fmac_f64_e32 v[2:3], v[34:35], v[36:37]
	ds_bpermute_b32 v34, v28, v12
	ds_bpermute_b32 v35, v28, v13
	;; [unrolled: 1-line block ×4, first 2 shown]
	s_wait_loadcnt 0x7
	v_add_f64_e32 v[14:15], v[14:15], v[48:49]
	s_wait_dscnt 0x2
	v_add_f64_e64 v[34:35], v[46:47], -v[34:35]
	v_mul_f64_e32 v[32:33], v[48:49], v[32:33]
	s_wait_dscnt 0x0
	v_fmac_f64_e32 v[2:3], v[38:39], v[36:37]
	ds_bpermute_b32 v36, v29, v12
	ds_bpermute_b32 v37, v29, v13
	;; [unrolled: 1-line block ×4, first 2 shown]
	s_wait_loadcnt 0x5
	v_add_f64_e32 v[14:15], v[14:15], v[52:53]
	s_wait_dscnt 0x2
	v_add_f64_e64 v[36:37], v[50:51], -v[36:37]
	v_mul_f64_e32 v[34:35], v[52:53], v[34:35]
	s_wait_dscnt 0x0
	v_fmac_f64_e32 v[2:3], v[32:33], v[38:39]
	ds_bpermute_b32 v32, v30, v12
	ds_bpermute_b32 v33, v30, v13
	;; [unrolled: 1-line block ×6, first 2 shown]
	s_wait_loadcnt 0x3
	v_add_f64_e32 v[14:15], v[14:15], v[18:19]
	s_wait_dscnt 0x4
	v_add_f64_e64 v[32:33], v[54:55], -v[32:33]
	v_mul_f64_e32 v[36:37], v[18:19], v[36:37]
	ds_bpermute_b32 v18, v30, v10
	ds_bpermute_b32 v19, v30, v11
	s_wait_loadcnt_dscnt 0x202
	v_add_f64_e64 v[12:13], v[22:23], -v[12:13]
	v_fmac_f64_e32 v[2:3], v[34:35], v[38:39]
	ds_bpermute_b32 v34, v29, v10
	ds_bpermute_b32 v35, v29, v11
	;; [unrolled: 1-line block ×4, first 2 shown]
	s_wait_loadcnt 0x1
	v_add_f64_e32 v[14:15], v[14:15], v[20:21]
	v_mul_f64_e32 v[22:23], v[20:21], v[32:33]
	s_wait_loadcnt 0x0
	v_mul_f64_e32 v[12:13], v[16:17], v[12:13]
	s_wait_dscnt 0x2
	v_fmac_f64_e32 v[2:3], v[36:37], v[34:35]
	s_delay_alu instid0(VALU_DEP_4) | instskip(NEXT) | instid1(VALU_DEP_2)
	v_add_f64_e32 v[14:15], v[14:15], v[16:17]
	v_fmac_f64_e32 v[2:3], v[22:23], v[18:19]
	s_wait_dscnt 0x0
	s_delay_alu instid0(VALU_DEP_1)
	v_fmac_f64_e32 v[2:3], v[12:13], v[10:11]
	s_cbranch_vccz .LBB33_10
.LBB33_7:                               ; =>This Inner Loop Header: Depth=1
	v_mov_b64_e32 v[10:11], 0
	v_mov_b64_e32 v[12:13], 0
	s_and_saveexec_b32 s24, s2
	s_cbranch_execz .LBB33_6
; %bb.8:                                ;   in Loop: Header=BB33_7 Depth=1
	v_mov_b64_e32 v[12:13], 0
	v_mov_b64_e32 v[10:11], 0
	s_mov_b32 s25, exec_lo
	v_cmpx_gt_i64_e64 s[12:13], v[4:5]
	s_cbranch_execz .LBB33_5
; %bb.9:                                ;   in Loop: Header=BB33_7 Depth=1
	v_add_nc_u64_e32 v[16:17], s[8:9], v[6:7]
	v_add_nc_u64_e32 v[18:19], s[10:11], v[6:7]
	global_load_b64 v[12:13], v[16:17], off
	global_load_b64 v[10:11], v[18:19], off
	s_branch .LBB33_5
.LBB33_10:
	v_mov_b32_e32 v1, v25
.LBB33_11:
	s_load_b128 s[4:7], s[0:1], 0x30
	s_delay_alu instid0(VALU_DEP_1) | instskip(SKIP_2) | instid1(VALU_DEP_1)
	v_mad_u32_u24 v0, 0x41, v1, v24
	s_wait_xcnt 0x0
	s_mov_b32 s0, exec_lo
	v_lshl_add_u32 v4, v0, 3, 0
	v_sub_nc_u32_e32 v8, v0, v1
	ds_store_b64 v4, v[2:3]
	ds_store_b64 v4, v[14:15] offset:8320
	s_wait_dscnt 0x0
	s_barrier_signal -1
	s_barrier_wait -1
	v_cmpx_gt_u32_e32 0x800, v8
	s_cbranch_execz .LBB33_27
; %bb.12:
	v_and_b32_e32 v1, 31, v24
	v_lshrrev_b32_e32 v0, 5, v8
                                        ; implicit-def: $vgpr2_vgpr3
                                        ; implicit-def: $vgpr4_vgpr5
	s_delay_alu instid0(VALU_DEP_2)
	v_cmp_gt_u32_e64 s0, 16, v1
	v_mul_u32_u24_e32 v9, 0x41, v1
	s_and_saveexec_b32 s1, s0
	s_cbranch_execz .LBB33_14
; %bb.13:
	s_delay_alu instid0(VALU_DEP_1) | instskip(NEXT) | instid1(VALU_DEP_1)
	v_add_nc_u32_e32 v1, v0, v9
	v_lshl_add_u32 v1, v1, 3, 0
	ds_load_b64 v[4:5], v1
	ds_load_b64 v[2:3], v1 offset:8320
.LBB33_14:
	s_or_b32 exec_lo, exec_lo, s1
	v_mbcnt_lo_u32_b32 v1, -1, 0
	s_bfe_u32 s1, ttmp6, 0x4000c
	s_and_b32 s2, ttmp6, 15
	s_add_co_i32 s1, s1, 1
	s_delay_alu instid0(SALU_CYCLE_1)
	s_mul_i32 s1, ttmp9, s1
	v_xor_b32_e32 v6, 8, v1
	s_add_co_i32 s2, s2, s1
	s_cmp_eq_u32 s3, 0
	s_mov_b32 s3, 0
	s_cselect_b32 s2, ttmp9, s2
	v_cmp_gt_i32_e32 vcc_lo, 32, v6
	s_lshl_b64 s[2:3], s[2:3], 6
	s_wait_kmcnt 0x0
	s_cmp_lg_u64 s[4:5], 0
	v_cmp_eq_u32_e64 s1, 0, v24
	s_cselect_b32 s9, -1, 0
	v_cndmask_b32_e32 v6, v1, v6, vcc_lo
	s_cmp_lg_u64 s[6:7], 0
	s_cselect_b32 s8, -1, 0
	s_delay_alu instid0(VALU_DEP_1)
	v_lshlrev_b32_e32 v10, 2, v6
	s_wait_dscnt 0x1
	ds_bpermute_b32 v6, v10, v4
	ds_bpermute_b32 v7, v10, v5
	s_wait_dscnt 0x0
	v_dual_add_f64 v[4:5], v[4:5], v[6:7] :: v_dual_bitop2_b32 v6, 4, v1 bitop3:0x14
	ds_bpermute_b32 v12, v10, v2
	ds_bpermute_b32 v13, v10, v3
	v_cmp_gt_i32_e32 vcc_lo, 32, v6
	s_wait_dscnt 0x0
	v_dual_add_f64 v[2:3], v[2:3], v[12:13] :: v_dual_cndmask_b32 v6, v1, v6, vcc_lo
	s_delay_alu instid0(VALU_DEP_1) | instskip(SKIP_4) | instid1(VALU_DEP_1)
	v_lshlrev_b32_e32 v11, 2, v6
	ds_bpermute_b32 v6, v11, v4
	ds_bpermute_b32 v7, v11, v5
	s_wait_dscnt 0x0
	v_dual_add_f64 v[4:5], v[4:5], v[6:7] :: v_dual_bitop2_b32 v6, 2, v1 bitop3:0x14
	v_cmp_gt_i32_e32 vcc_lo, 32, v6
	v_cndmask_b32_e32 v6, v1, v6, vcc_lo
	ds_bpermute_b32 v12, v11, v2
	ds_bpermute_b32 v13, v11, v3
	s_wait_dscnt 0x0
	v_dual_add_f64 v[2:3], v[2:3], v[12:13] :: v_dual_lshlrev_b32 v12, 2, v6
	ds_bpermute_b32 v6, v12, v4
	ds_bpermute_b32 v7, v12, v5
	s_wait_dscnt 0x0
	v_add_f64_e32 v[4:5], v[4:5], v[6:7]
	ds_bpermute_b32 v14, v12, v2
	ds_bpermute_b32 v15, v12, v3
	s_wait_dscnt 0x0
	v_dual_add_f64 v[6:7], v[2:3], v[14:15] :: v_dual_bitop2_b32 v2, 1, v1 bitop3:0x14
	s_delay_alu instid0(VALU_DEP_1) | instskip(SKIP_1) | instid1(VALU_DEP_1)
	v_cmp_gt_i32_e32 vcc_lo, 32, v2
	v_cndmask_b32_e32 v1, v1, v2, vcc_lo
	v_dual_lshlrev_b32 v13, 2, v1 :: v_dual_mov_b32 v1, 0
	ds_bpermute_b32 v2, v13, v4
	ds_bpermute_b32 v3, v13, v5
	;; [unrolled: 1-line block ×4, first 2 shown]
	s_wait_dscnt 0x2
	v_add_f64_e32 v[2:3], v[4:5], v[2:3]
	s_wait_dscnt 0x0
	v_add_f64_e32 v[4:5], v[6:7], v[14:15]
	s_and_saveexec_b32 s10, s1
	s_cbranch_execz .LBB33_19
; %bb.15:
	v_dual_mov_b32 v7, s3 :: v_dual_bitop2_b32 v6, s2, v0 bitop3:0x54
	s_and_not1_b32 vcc_lo, exec_lo, s9
	s_cbranch_vccnz .LBB33_17
; %bb.16:
	s_delay_alu instid0(VALU_DEP_1)
	v_lshl_add_u64 v[14:15], v[6:7], 3, s[4:5]
	global_store_b64 v[14:15], v[2:3], off
.LBB33_17:
	s_and_not1_b32 vcc_lo, exec_lo, s8
	s_cbranch_vccnz .LBB33_19
; %bb.18:
	v_lshl_add_u64 v[6:7], v[6:7], 3, s[6:7]
	global_store_b64 v[6:7], v[4:5], off
.LBB33_19:
	s_wait_xcnt 0x0
	s_or_b32 exec_lo, exec_lo, s10
	v_cmp_gt_u32_e32 vcc_lo, 0x400, v8
	s_and_b32 exec_lo, exec_lo, vcc_lo
	s_cbranch_execz .LBB33_27
; %bb.20:
	s_and_saveexec_b32 s10, s0
	s_cbranch_execz .LBB33_22
; %bb.21:
	v_add_nc_u32_e32 v2, v0, v9
	s_delay_alu instid0(VALU_DEP_1)
	v_lshl_add_u32 v4, v2, 3, 0
	ds_load_b64 v[2:3], v4 offset:256
	ds_load_b64 v[4:5], v4 offset:8576
.LBB33_22:
	s_or_b32 exec_lo, exec_lo, s10
	s_wait_dscnt 0x1
	ds_bpermute_b32 v6, v10, v2
	ds_bpermute_b32 v7, v10, v3
	s_wait_dscnt 0x2
	ds_bpermute_b32 v8, v10, v4
	ds_bpermute_b32 v9, v10, v5
	s_wait_dscnt 0x2
	v_add_f64_e32 v[2:3], v[2:3], v[6:7]
	s_wait_dscnt 0x0
	v_add_f64_e32 v[4:5], v[4:5], v[8:9]
	ds_bpermute_b32 v6, v11, v2
	ds_bpermute_b32 v7, v11, v3
	ds_bpermute_b32 v8, v11, v4
	ds_bpermute_b32 v9, v11, v5
	s_wait_dscnt 0x2
	v_add_f64_e32 v[2:3], v[2:3], v[6:7]
	s_wait_dscnt 0x0
	v_add_f64_e32 v[4:5], v[4:5], v[8:9]
	ds_bpermute_b32 v6, v12, v2
	ds_bpermute_b32 v7, v12, v3
	;; [unrolled: 8-line block ×3, first 2 shown]
	ds_bpermute_b32 v4, v13, v2
	ds_bpermute_b32 v5, v13, v3
	s_and_b32 exec_lo, exec_lo, s1
	s_cbranch_execz .LBB33_27
; %bb.23:
	v_add_nc_u64_e32 v[0:1], s[2:3], v[0:1]
	s_and_not1_b32 vcc_lo, exec_lo, s9
	s_cbranch_vccnz .LBB33_25
; %bb.24:
	s_wait_dscnt 0x2
	v_add_f64_e32 v[6:7], v[6:7], v[8:9]
	s_delay_alu instid0(VALU_DEP_2)
	v_lshl_add_u64 v[8:9], v[0:1], 3, s[4:5]
	global_store_b64 v[8:9], v[6:7], off offset:256
.LBB33_25:
	s_and_not1_b32 vcc_lo, exec_lo, s8
	s_cbranch_vccnz .LBB33_27
; %bb.26:
	s_wait_dscnt 0x0
	v_add_f64_e32 v[2:3], v[2:3], v[4:5]
	v_lshl_add_u64 v[0:1], v[0:1], 3, s[6:7]
	global_store_b64 v[0:1], v[2:3], off offset:256
.LBB33_27:
	s_endpgm
	.section	.rodata,"a",@progbits
	.p2align	6, 0x0
	.amdhsa_kernel _ZN2at6native12_GLOBAL__N_135GammaBetaBackwardCUDAKernelTemplateIddLj64ELj16ELj128ELb0ELb1ELb0EEEvllPKT_S5_PKT0_S8_PS3_S9_
		.amdhsa_group_segment_fixed_size 0
		.amdhsa_private_segment_fixed_size 0
		.amdhsa_kernarg_size 320
		.amdhsa_user_sgpr_count 2
		.amdhsa_user_sgpr_dispatch_ptr 0
		.amdhsa_user_sgpr_queue_ptr 0
		.amdhsa_user_sgpr_kernarg_segment_ptr 1
		.amdhsa_user_sgpr_dispatch_id 0
		.amdhsa_user_sgpr_kernarg_preload_length 0
		.amdhsa_user_sgpr_kernarg_preload_offset 0
		.amdhsa_user_sgpr_private_segment_size 0
		.amdhsa_wavefront_size32 1
		.amdhsa_uses_dynamic_stack 0
		.amdhsa_enable_private_segment 0
		.amdhsa_system_sgpr_workgroup_id_x 1
		.amdhsa_system_sgpr_workgroup_id_y 1
		.amdhsa_system_sgpr_workgroup_id_z 0
		.amdhsa_system_sgpr_workgroup_info 0
		.amdhsa_system_vgpr_workitem_id 1
		.amdhsa_next_free_vgpr 60
		.amdhsa_next_free_sgpr 26
		.amdhsa_named_barrier_count 0
		.amdhsa_reserve_vcc 1
		.amdhsa_float_round_mode_32 0
		.amdhsa_float_round_mode_16_64 0
		.amdhsa_float_denorm_mode_32 3
		.amdhsa_float_denorm_mode_16_64 3
		.amdhsa_fp16_overflow 0
		.amdhsa_memory_ordered 1
		.amdhsa_forward_progress 1
		.amdhsa_inst_pref_size 18
		.amdhsa_round_robin_scheduling 0
		.amdhsa_exception_fp_ieee_invalid_op 0
		.amdhsa_exception_fp_denorm_src 0
		.amdhsa_exception_fp_ieee_div_zero 0
		.amdhsa_exception_fp_ieee_overflow 0
		.amdhsa_exception_fp_ieee_underflow 0
		.amdhsa_exception_fp_ieee_inexact 0
		.amdhsa_exception_int_div_zero 0
	.end_amdhsa_kernel
	.section	.text._ZN2at6native12_GLOBAL__N_135GammaBetaBackwardCUDAKernelTemplateIddLj64ELj16ELj128ELb0ELb1ELb0EEEvllPKT_S5_PKT0_S8_PS3_S9_,"axG",@progbits,_ZN2at6native12_GLOBAL__N_135GammaBetaBackwardCUDAKernelTemplateIddLj64ELj16ELj128ELb0ELb1ELb0EEEvllPKT_S5_PKT0_S8_PS3_S9_,comdat
.Lfunc_end33:
	.size	_ZN2at6native12_GLOBAL__N_135GammaBetaBackwardCUDAKernelTemplateIddLj64ELj16ELj128ELb0ELb1ELb0EEEvllPKT_S5_PKT0_S8_PS3_S9_, .Lfunc_end33-_ZN2at6native12_GLOBAL__N_135GammaBetaBackwardCUDAKernelTemplateIddLj64ELj16ELj128ELb0ELb1ELb0EEEvllPKT_S5_PKT0_S8_PS3_S9_
                                        ; -- End function
	.set _ZN2at6native12_GLOBAL__N_135GammaBetaBackwardCUDAKernelTemplateIddLj64ELj16ELj128ELb0ELb1ELb0EEEvllPKT_S5_PKT0_S8_PS3_S9_.num_vgpr, 60
	.set _ZN2at6native12_GLOBAL__N_135GammaBetaBackwardCUDAKernelTemplateIddLj64ELj16ELj128ELb0ELb1ELb0EEEvllPKT_S5_PKT0_S8_PS3_S9_.num_agpr, 0
	.set _ZN2at6native12_GLOBAL__N_135GammaBetaBackwardCUDAKernelTemplateIddLj64ELj16ELj128ELb0ELb1ELb0EEEvllPKT_S5_PKT0_S8_PS3_S9_.numbered_sgpr, 26
	.set _ZN2at6native12_GLOBAL__N_135GammaBetaBackwardCUDAKernelTemplateIddLj64ELj16ELj128ELb0ELb1ELb0EEEvllPKT_S5_PKT0_S8_PS3_S9_.num_named_barrier, 0
	.set _ZN2at6native12_GLOBAL__N_135GammaBetaBackwardCUDAKernelTemplateIddLj64ELj16ELj128ELb0ELb1ELb0EEEvllPKT_S5_PKT0_S8_PS3_S9_.private_seg_size, 0
	.set _ZN2at6native12_GLOBAL__N_135GammaBetaBackwardCUDAKernelTemplateIddLj64ELj16ELj128ELb0ELb1ELb0EEEvllPKT_S5_PKT0_S8_PS3_S9_.uses_vcc, 1
	.set _ZN2at6native12_GLOBAL__N_135GammaBetaBackwardCUDAKernelTemplateIddLj64ELj16ELj128ELb0ELb1ELb0EEEvllPKT_S5_PKT0_S8_PS3_S9_.uses_flat_scratch, 0
	.set _ZN2at6native12_GLOBAL__N_135GammaBetaBackwardCUDAKernelTemplateIddLj64ELj16ELj128ELb0ELb1ELb0EEEvllPKT_S5_PKT0_S8_PS3_S9_.has_dyn_sized_stack, 0
	.set _ZN2at6native12_GLOBAL__N_135GammaBetaBackwardCUDAKernelTemplateIddLj64ELj16ELj128ELb0ELb1ELb0EEEvllPKT_S5_PKT0_S8_PS3_S9_.has_recursion, 0
	.set _ZN2at6native12_GLOBAL__N_135GammaBetaBackwardCUDAKernelTemplateIddLj64ELj16ELj128ELb0ELb1ELb0EEEvllPKT_S5_PKT0_S8_PS3_S9_.has_indirect_call, 0
	.section	.AMDGPU.csdata,"",@progbits
; Kernel info:
; codeLenInByte = 2256
; TotalNumSgprs: 28
; NumVgprs: 60
; ScratchSize: 0
; MemoryBound: 0
; FloatMode: 240
; IeeeMode: 1
; LDSByteSize: 0 bytes/workgroup (compile time only)
; SGPRBlocks: 0
; VGPRBlocks: 3
; NumSGPRsForWavesPerEU: 28
; NumVGPRsForWavesPerEU: 60
; NamedBarCnt: 0
; Occupancy: 16
; WaveLimiterHint : 0
; COMPUTE_PGM_RSRC2:SCRATCH_EN: 0
; COMPUTE_PGM_RSRC2:USER_SGPR: 2
; COMPUTE_PGM_RSRC2:TRAP_HANDLER: 0
; COMPUTE_PGM_RSRC2:TGID_X_EN: 1
; COMPUTE_PGM_RSRC2:TGID_Y_EN: 1
; COMPUTE_PGM_RSRC2:TGID_Z_EN: 0
; COMPUTE_PGM_RSRC2:TIDIG_COMP_CNT: 1
	.section	.text._ZN2at6native12_GLOBAL__N_135GammaBetaBackwardCUDAKernelTemplateIddLj64ELj16ELj128ELb0ELb0ELb0EEEvllPKT_S5_PKT0_S8_PS3_S9_,"axG",@progbits,_ZN2at6native12_GLOBAL__N_135GammaBetaBackwardCUDAKernelTemplateIddLj64ELj16ELj128ELb0ELb0ELb0EEEvllPKT_S5_PKT0_S8_PS3_S9_,comdat
	.globl	_ZN2at6native12_GLOBAL__N_135GammaBetaBackwardCUDAKernelTemplateIddLj64ELj16ELj128ELb0ELb0ELb0EEEvllPKT_S5_PKT0_S8_PS3_S9_ ; -- Begin function _ZN2at6native12_GLOBAL__N_135GammaBetaBackwardCUDAKernelTemplateIddLj64ELj16ELj128ELb0ELb0ELb0EEEvllPKT_S5_PKT0_S8_PS3_S9_
	.p2align	8
	.type	_ZN2at6native12_GLOBAL__N_135GammaBetaBackwardCUDAKernelTemplateIddLj64ELj16ELj128ELb0ELb0ELb0EEEvllPKT_S5_PKT0_S8_PS3_S9_,@function
_ZN2at6native12_GLOBAL__N_135GammaBetaBackwardCUDAKernelTemplateIddLj64ELj16ELj128ELb0ELb0ELb0EEEvllPKT_S5_PKT0_S8_PS3_S9_: ; @_ZN2at6native12_GLOBAL__N_135GammaBetaBackwardCUDAKernelTemplateIddLj64ELj16ELj128ELb0ELb0ELb0EEEvllPKT_S5_PKT0_S8_PS3_S9_
; %bb.0:
	s_load_b256 s[4:11], s[0:1], 0x0
	s_bfe_u32 s3, ttmp6, 0x4000c
	s_bfe_u32 s12, ttmp6, 0x40010
	s_add_co_i32 s3, s3, 1
	s_add_co_i32 s12, s12, 1
	s_and_b32 s2, ttmp6, 15
	s_bfe_u32 s13, ttmp6, 0x40004
	s_mul_i32 s3, ttmp9, s3
	s_mul_i32 s12, ttmp7, s12
	s_getreg_b32 s14, hwreg(HW_REG_IB_STS2, 6, 4)
	s_add_co_i32 s2, s2, s3
	s_add_co_i32 s3, s13, s12
	s_cmp_eq_u32 s14, 0
	s_mov_b32 s19, 0
	s_cselect_b32 s16, ttmp9, s2
	s_cselect_b32 s2, ttmp7, s3
	s_lshl_b32 s3, s16, 6
	s_load_b128 s[12:15], s[0:1], 0x20
	s_or_b32 s18, s3, 63
	s_wait_kmcnt 0x0
	v_cmp_le_i64_e64 s20, s[6:7], s[18:19]
	s_lshl_b32 s18, s2, 7
	s_delay_alu instid0(SALU_CYCLE_1) | instskip(SKIP_2) | instid1(VALU_DEP_1)
	v_cmp_gt_i64_e64 s17, s[4:5], s[18:19]
	s_and_b32 vcc_lo, exec_lo, s20
	v_cndmask_b32_e64 v1, 0, 1, s17
	v_cmp_ne_u32_e64 s2, 1, v1
	s_cbranch_vccz .LBB34_49
; %bb.1:
	v_mov_b64_e32 v[36:37], 0
	v_mov_b64_e32 v[40:41], 0
	s_and_b32 vcc_lo, exec_lo, s2
	s_cbranch_vccnz .LBB34_50
; %bb.2:
	v_bfe_u32 v1, v0, 10, 10
	v_mov_b32_e32 v2, 0
	v_and_b32_e32 v84, 0x3ff, v0
	s_load_b32 s20, s[0:1], 0x44
	s_mov_b32 s21, 0
	s_delay_alu instid0(VALU_DEP_2) | instskip(NEXT) | instid1(VALU_DEP_2)
	v_dual_mov_b32 v39, v2 :: v_dual_lshlrev_b32 v38, 3, v1
	v_dual_mov_b32 v19, v2 :: v_dual_add_nc_u32 v18, s3, v84
	v_mov_b64_e32 v[76:77], 0
	v_mov_b64_e32 v[36:37], 0
	s_delay_alu instid0(VALU_DEP_4)
	v_add_nc_u64_e32 v[4:5], s[18:19], v[38:39]
	s_mov_b32 s35, s21
	v_cmp_gt_i64_e64 s2, s[6:7], v[18:19]
	v_lshlrev_b64_e32 v[42:43], 3, v[18:19]
	s_mov_b64 s[22:23], 0xffffffffffffff81
	s_mov_b64 s[24:25], 0xffffffffffffff82
	;; [unrolled: 1-line block ×3, first 2 shown]
	v_mul_u64_e32 v[6:7], s[6:7], v[4:5]
	v_add_nc_u64_e32 v[8:9], 7, v[4:5]
	v_add_nc_u64_e32 v[10:11], 6, v[4:5]
	;; [unrolled: 1-line block ×6, first 2 shown]
	s_wait_kmcnt 0x0
	s_lshl_b32 s34, s20, 7
	v_mul_u64_e32 v[8:9], s[6:7], v[8:9]
	v_mul_u64_e32 v[10:11], s[6:7], v[10:11]
	v_mul_u64_e32 v[12:13], s[6:7], v[12:13]
	v_mul_u64_e32 v[14:15], s[6:7], v[14:15]
	v_mul_u64_e32 v[16:17], s[6:7], v[16:17]
	v_mul_u64_e32 v[4:5], s[6:7], v[4:5]
	s_mul_u64 s[44:45], s[6:7], s[34:35]
	s_mov_b64 s[28:29], 0xffffffffffffff84
	s_mov_b64 s[30:31], 0xffffffffffffff85
	;; [unrolled: 1-line block ×5, first 2 shown]
	s_add_nc_u64 s[42:43], s[0:1], 64
	s_lshl_b64 s[44:45], s[44:45], 3
	s_add_nc_u64 s[46:47], s[18:19], 0x7f
	s_mov_b64 s[48:49], s[18:19]
	v_lshlrev_b64_e32 v[20:21], 3, v[6:7]
	v_add_nc_u64_e32 v[6:7], s[6:7], v[6:7]
	s_delay_alu instid0(VALU_DEP_2)
	v_add_nc_u64_e32 v[44:45], s[8:9], v[20:21]
	v_lshlrev_b64_e32 v[8:9], 3, v[8:9]
	v_lshlrev_b64_e32 v[10:11], 3, v[10:11]
	;; [unrolled: 1-line block ×7, first 2 shown]
	v_add_nc_u64_e32 v[46:47], s[10:11], v[20:21]
	v_add_nc_u64_e32 v[48:49], s[8:9], v[8:9]
	v_add_nc_u64_e32 v[50:51], s[10:11], v[8:9]
	v_add_nc_u64_e32 v[52:53], s[8:9], v[10:11]
	v_add_nc_u64_e32 v[54:55], s[10:11], v[10:11]
	v_add_nc_u64_e32 v[56:57], s[8:9], v[12:13]
	v_add_nc_u64_e32 v[58:59], s[10:11], v[12:13]
	v_add_nc_u64_e32 v[60:61], s[8:9], v[14:15]
	v_add_nc_u64_e32 v[62:63], s[10:11], v[14:15]
	v_add_nc_u64_e32 v[64:65], s[8:9], v[16:17]
	v_add_nc_u64_e32 v[66:67], s[10:11], v[16:17]
	v_add_nc_u64_e32 v[68:69], s[8:9], v[4:5]
	v_add_nc_u64_e32 v[70:71], s[10:11], v[4:5]
	v_add_nc_u64_e32 v[72:73], s[8:9], v[6:7]
	v_add_nc_u64_e32 v[74:75], s[10:11], v[6:7]
.LBB34_3:                               ; =>This Inner Loop Header: Depth=1
	v_cmp_ge_i64_e64 s20, s[46:47], s[4:5]
	v_add_nc_u64_e32 v[78:79], s[46:47], v[38:39]
                                        ; implicit-def: $vgpr4_vgpr5_vgpr6_vgpr7_vgpr8_vgpr9_vgpr10_vgpr11_vgpr12_vgpr13_vgpr14_vgpr15_vgpr16_vgpr17_vgpr18_vgpr19
                                        ; implicit-def: $vgpr82_vgpr83
                                        ; implicit-def: $vgpr20_vgpr21_vgpr22_vgpr23_vgpr24_vgpr25_vgpr26_vgpr27_vgpr28_vgpr29_vgpr30_vgpr31_vgpr32_vgpr33_vgpr34_vgpr35
                                        ; implicit-def: $vgpr6
                                        ; implicit-def: $vgpr4_vgpr5
                                        ; implicit-def: $vgpr40_vgpr41
	s_and_b32 vcc_lo, exec_lo, s20
	s_mov_b32 s20, -1
	s_cbranch_vccz .LBB34_25
; %bb.4:                                ;   in Loop: Header=BB34_3 Depth=1
	s_load_b32 s20, s[42:43], 0xc
	v_mov_b64_e32 v[82:83], 0
	v_mov_b64_e32 v[80:81], 0
	s_wait_kmcnt 0x0
	s_and_b32 s20, s20, 0xffff
	s_delay_alu instid0(SALU_CYCLE_1) | instskip(SKIP_1) | instid1(VALU_DEP_1)
	v_mad_u32_u24 v3, v1, s20, v84
	s_mov_b32 s20, exec_lo
	v_and_b32_e32 v4, 31, v3
	s_delay_alu instid0(VALU_DEP_1)
	v_cmpx_gt_u32_e32 8, v4
	s_cbranch_execz .LBB34_8
; %bb.5:                                ;   in Loop: Header=BB34_3 Depth=1
	v_mov_b32_e32 v5, v2
	v_mov_b64_e32 v[80:81], 0
	v_mov_b64_e32 v[82:83], 0
	s_mov_b32 s33, exec_lo
	s_delay_alu instid0(VALU_DEP_3) | instskip(NEXT) | instid1(VALU_DEP_1)
	v_add_nc_u64_e32 v[4:5], v[78:79], v[4:5]
	v_add_nc_u64_e32 v[4:5], s[22:23], v[4:5]
	s_delay_alu instid0(VALU_DEP_1)
	v_cmpx_gt_i64_e64 s[4:5], v[4:5]
	s_cbranch_execz .LBB34_7
; %bb.6:                                ;   in Loop: Header=BB34_3 Depth=1
	v_lshlrev_b64_e32 v[4:5], 3, v[4:5]
	s_delay_alu instid0(VALU_DEP_1)
	v_add_nc_u64_e32 v[6:7], s[12:13], v[4:5]
	v_add_nc_u64_e32 v[4:5], s[14:15], v[4:5]
	global_load_b64 v[80:81], v[6:7], off
	global_load_b64 v[82:83], v[4:5], off
.LBB34_7:                               ;   in Loop: Header=BB34_3 Depth=1
	s_wait_xcnt 0x0
	s_or_b32 exec_lo, exec_lo, s33
.LBB34_8:                               ;   in Loop: Header=BB34_3 Depth=1
	s_delay_alu instid0(SALU_CYCLE_1)
	s_or_b32 exec_lo, exec_lo, s20
	v_add_nc_u64_e32 v[18:19], s[22:23], v[78:79]
	v_dual_mov_b32 v15, v2 :: v_dual_mov_b32 v16, v2
	v_dual_mov_b32 v17, v2 :: v_dual_mov_b32 v3, v2
	;; [unrolled: 1-line block ×7, first 2 shown]
	v_mov_b32_e32 v14, v2
	v_cmp_gt_i64_e32 vcc_lo, s[4:5], v[18:19]
	v_mov_b64_e32 v[34:35], v[16:17]
	v_mov_b64_e32 v[28:29], v[10:11]
	;; [unrolled: 1-line block ×16, first 2 shown]
	s_and_b32 s33, s2, vcc_lo
	s_delay_alu instid0(SALU_CYCLE_1)
	s_and_saveexec_b32 s20, s33
	s_cbranch_execz .LBB34_10
; %bb.9:                                ;   in Loop: Header=BB34_3 Depth=1
	v_add_nc_u64_e32 v[6:7], v[44:45], v[42:43]
	v_add_nc_u64_e32 v[8:9], v[46:47], v[42:43]
	v_dual_mov_b32 v10, v2 :: v_dual_mov_b32 v11, v2
	v_dual_mov_b32 v12, v2 :: v_dual_mov_b32 v13, v2
	;; [unrolled: 1-line block ×3, first 2 shown]
	global_load_b64 v[4:5], v[6:7], off
	global_load_b64 v[20:21], v[8:9], off
	s_wait_xcnt 0x1
	v_dual_mov_b32 v6, v2 :: v_dual_mov_b32 v7, v2
	s_wait_xcnt 0x0
	v_dual_mov_b32 v8, v2 :: v_dual_mov_b32 v9, v2
	v_dual_mov_b32 v16, v2 :: v_dual_mov_b32 v17, v2
	;; [unrolled: 1-line block ×10, first 2 shown]
.LBB34_10:                              ;   in Loop: Header=BB34_3 Depth=1
	s_or_b32 exec_lo, exec_lo, s20
	v_add_nc_u64_e32 v[40:41], s[24:25], v[78:79]
	s_delay_alu instid0(VALU_DEP_1) | instskip(SKIP_1) | instid1(SALU_CYCLE_1)
	v_cmp_gt_i64_e32 vcc_lo, s[4:5], v[40:41]
	s_and_b32 s33, s2, vcc_lo
	s_and_saveexec_b32 s20, s33
	s_cbranch_execz .LBB34_12
; %bb.11:                               ;   in Loop: Header=BB34_3 Depth=1
	v_add_nc_u64_e32 v[6:7], v[72:73], v[42:43]
	v_add_nc_u64_e32 v[22:23], v[74:75], v[42:43]
	global_load_b64 v[6:7], v[6:7], off
	global_load_b64 v[22:23], v[22:23], off
.LBB34_12:                              ;   in Loop: Header=BB34_3 Depth=1
	s_wait_xcnt 0x0
	s_or_b32 exec_lo, exec_lo, s20
	v_add_nc_u64_e32 v[40:41], s[26:27], v[78:79]
	s_delay_alu instid0(VALU_DEP_1) | instskip(SKIP_1) | instid1(SALU_CYCLE_1)
	v_cmp_gt_i64_e32 vcc_lo, s[4:5], v[40:41]
	s_and_b32 s33, s2, vcc_lo
	s_and_saveexec_b32 s20, s33
	s_cbranch_execz .LBB34_14
; %bb.13:                               ;   in Loop: Header=BB34_3 Depth=1
	v_add_nc_u64_e32 v[8:9], v[68:69], v[42:43]
	v_add_nc_u64_e32 v[24:25], v[70:71], v[42:43]
	global_load_b64 v[8:9], v[8:9], off
	global_load_b64 v[24:25], v[24:25], off
.LBB34_14:                              ;   in Loop: Header=BB34_3 Depth=1
	s_wait_xcnt 0x0
	;; [unrolled: 14-line block ×7, first 2 shown]
	s_or_b32 exec_lo, exec_lo, s20
	s_wait_loadcnt 0x1
	ds_bpermute_b32 v40, v2, v80
	ds_bpermute_b32 v41, v2, v81
	s_wait_loadcnt 0x0
	ds_bpermute_b32 v86, v2, v82
	ds_bpermute_b32 v87, v2, v83
	s_mov_b32 s20, 0
	s_wait_dscnt 0x2
	v_add_f64_e64 v[20:21], v[20:21], -v[40:41]
	ds_bpermute_b32 v40, v2, v80 offset:4
	ds_bpermute_b32 v41, v2, v81 offset:4
	s_wait_dscnt 0x0
	v_add_f64_e64 v[22:23], v[22:23], -v[40:41]
	ds_bpermute_b32 v40, v2, v80 offset:8
	ds_bpermute_b32 v41, v2, v81 offset:8
	v_mul_f64_e32 v[20:21], v[4:5], v[20:21]
	v_add_f64_e32 v[4:5], v[36:37], v[4:5]
	s_wait_dscnt 0x0
	v_add_f64_e64 v[24:25], v[24:25], -v[40:41]
	v_mul_f64_e32 v[22:23], v[6:7], v[22:23]
	s_delay_alu instid0(VALU_DEP_4)
	v_fma_f64 v[40:41], v[20:21], v[86:87], v[76:77]
	ds_bpermute_b32 v20, v2, v80 offset:12
	ds_bpermute_b32 v21, v2, v81 offset:12
	;; [unrolled: 1-line block ×4, first 2 shown]
	v_add_f64_e32 v[4:5], v[6:7], v[4:5]
	ds_bpermute_b32 v6, v2, v80 offset:16
	ds_bpermute_b32 v7, v2, v81 offset:16
	v_mul_f64_e32 v[24:25], v[8:9], v[24:25]
	s_wait_dscnt 0x4
	v_add_f64_e64 v[20:21], v[26:27], -v[20:21]
	s_wait_dscnt 0x0
	v_add_f64_e64 v[6:7], v[28:29], -v[6:7]
	v_fmac_f64_e32 v[40:41], v[22:23], v[86:87]
	ds_bpermute_b32 v22, v2, v82 offset:8
	ds_bpermute_b32 v23, v2, v83 offset:8
	v_add_f64_e32 v[4:5], v[8:9], v[4:5]
	ds_bpermute_b32 v8, v2, v80 offset:20
	ds_bpermute_b32 v9, v2, v81 offset:20
	v_mul_f64_e32 v[20:21], v[10:11], v[20:21]
	s_wait_dscnt 0x0
	v_add_f64_e64 v[8:9], v[30:31], -v[8:9]
	v_mul_f64_e32 v[6:7], v[12:13], v[6:7]
	v_fmac_f64_e32 v[40:41], v[24:25], v[22:23]
	ds_bpermute_b32 v22, v2, v82 offset:12
	ds_bpermute_b32 v23, v2, v83 offset:12
	v_add_f64_e32 v[4:5], v[10:11], v[4:5]
	ds_bpermute_b32 v10, v2, v80 offset:24
	ds_bpermute_b32 v11, v2, v81 offset:24
	s_wait_dscnt 0x0
	v_add_f64_e64 v[10:11], v[32:33], -v[10:11]
	v_mul_f64_e32 v[8:9], v[14:15], v[8:9]
	v_fmac_f64_e32 v[40:41], v[20:21], v[22:23]
	ds_bpermute_b32 v20, v2, v82 offset:16
	ds_bpermute_b32 v21, v2, v83 offset:16
	v_add_f64_e32 v[4:5], v[12:13], v[4:5]
	v_mul_f64_e32 v[10:11], v[16:17], v[10:11]
	s_wait_dscnt 0x0
	v_fmac_f64_e32 v[40:41], v[6:7], v[20:21]
	ds_bpermute_b32 v6, v2, v82 offset:20
	ds_bpermute_b32 v7, v2, v83 offset:20
	v_add_f64_e32 v[4:5], v[14:15], v[4:5]
	s_wait_dscnt 0x0
	v_fmac_f64_e32 v[40:41], v[8:9], v[6:7]
	ds_bpermute_b32 v6, v2, v82 offset:24
	ds_bpermute_b32 v7, v2, v83 offset:24
	;; [unrolled: 1-line block ×4, first 2 shown]
	v_add_f64_e32 v[4:5], v[16:17], v[4:5]
	s_wait_dscnt 0x2
	v_fmac_f64_e32 v[40:41], v[10:11], v[6:7]
	ds_bpermute_b32 v6, v2, v80 offset:28
	ds_bpermute_b32 v7, v2, v81 offset:28
.LBB34_25:                              ;   in Loop: Header=BB34_3 Depth=1
	s_and_b32 vcc_lo, exec_lo, s20
	s_cbranch_vccz .LBB34_40
; %bb.26:                               ;   in Loop: Header=BB34_3 Depth=1
	s_load_b32 s20, s[42:43], 0x0
	v_mov_b64_e32 v[80:81], 0
	v_mov_b64_e32 v[40:41], 0
	s_wait_kmcnt 0x0
	s_cmp_lt_u32 s16, s20
	s_cselect_b32 s20, 12, 18
	s_delay_alu instid0(SALU_CYCLE_1) | instskip(SKIP_4) | instid1(VALU_DEP_1)
	s_add_nc_u64 s[50:51], s[42:43], s[20:21]
	s_load_u16 s20, s[50:51], 0x0
	s_wait_kmcnt 0x0
	v_mad_u32_u24 v3, v1, s20, v84
	s_mov_b32 s20, exec_lo
	v_and_b32_e32 v4, 31, v3
	s_delay_alu instid0(VALU_DEP_1)
	v_cmpx_gt_u32_e32 8, v4
	s_cbranch_execz .LBB34_30
; %bb.27:                               ;   in Loop: Header=BB34_3 Depth=1
	v_mov_b32_e32 v5, v2
	v_mov_b64_e32 v[40:41], 0
	v_mov_b64_e32 v[80:81], 0
	s_mov_b32 s33, exec_lo
	s_delay_alu instid0(VALU_DEP_3) | instskip(NEXT) | instid1(VALU_DEP_1)
	v_add_nc_u64_e32 v[4:5], v[78:79], v[4:5]
	v_add_nc_u64_e32 v[4:5], s[22:23], v[4:5]
	s_delay_alu instid0(VALU_DEP_1)
	v_cmpx_gt_i64_e64 s[4:5], v[4:5]
	s_cbranch_execz .LBB34_29
; %bb.28:                               ;   in Loop: Header=BB34_3 Depth=1
	v_lshlrev_b64_e32 v[4:5], 3, v[4:5]
	s_wait_dscnt 0x0
	s_delay_alu instid0(VALU_DEP_1)
	v_add_nc_u64_e32 v[6:7], s[12:13], v[4:5]
	v_add_nc_u64_e32 v[4:5], s[14:15], v[4:5]
	global_load_b64 v[40:41], v[6:7], off
	global_load_b64 v[80:81], v[4:5], off
.LBB34_29:                              ;   in Loop: Header=BB34_3 Depth=1
	s_wait_xcnt 0x0
	s_or_b32 exec_lo, exec_lo, s33
.LBB34_30:                              ;   in Loop: Header=BB34_3 Depth=1
	s_delay_alu instid0(SALU_CYCLE_1)
	s_or_b32 exec_lo, exec_lo, s20
	v_dual_mov_b32 v15, v2 :: v_dual_mov_b32 v16, v2
	v_dual_mov_b32 v17, v2 :: v_dual_mov_b32 v3, v2
	v_dual_mov_b32 v4, v2 :: v_dual_mov_b32 v5, v2
	s_wait_dscnt 0x0
	v_dual_mov_b32 v6, v2 :: v_dual_mov_b32 v7, v2
	v_dual_mov_b32 v8, v2 :: v_dual_mov_b32 v9, v2
	;; [unrolled: 1-line block ×4, first 2 shown]
	v_mov_b32_e32 v14, v2
	v_mov_b64_e32 v[34:35], v[16:17]
	s_delay_alu instid0(VALU_DEP_4)
	v_mov_b64_e32 v[28:29], v[10:11]
	v_mov_b64_e32 v[26:27], v[8:9]
	v_mov_b64_e32 v[30:31], v[12:13]
	v_mov_b64_e32 v[32:33], v[14:15]
	v_mov_b64_e32 v[24:25], v[6:7]
	v_mov_b64_e32 v[22:23], v[4:5]
	v_mov_b64_e32 v[20:21], v[2:3]
	v_mov_b64_e32 v[18:19], v[16:17]
	v_mov_b64_e32 v[16:17], v[14:15]
	v_mov_b64_e32 v[14:15], v[12:13]
	v_mov_b64_e32 v[12:13], v[10:11]
	v_mov_b64_e32 v[10:11], v[8:9]
	v_mov_b64_e32 v[8:9], v[6:7]
	v_mov_b64_e32 v[6:7], v[4:5]
	v_mov_b64_e32 v[4:5], v[2:3]
	s_and_saveexec_b32 s20, s2
	s_cbranch_execnz .LBB34_42
; %bb.31:                               ;   in Loop: Header=BB34_3 Depth=1
	s_or_b32 exec_lo, exec_lo, s20
	s_and_saveexec_b32 s20, s2
	s_cbranch_execnz .LBB34_43
.LBB34_32:                              ;   in Loop: Header=BB34_3 Depth=1
	s_or_b32 exec_lo, exec_lo, s20
	s_and_saveexec_b32 s20, s2
	s_cbranch_execnz .LBB34_44
.LBB34_33:                              ;   in Loop: Header=BB34_3 Depth=1
	s_or_b32 exec_lo, exec_lo, s20
	s_and_saveexec_b32 s20, s2
	s_cbranch_execnz .LBB34_45
.LBB34_34:                              ;   in Loop: Header=BB34_3 Depth=1
	s_or_b32 exec_lo, exec_lo, s20
	s_and_saveexec_b32 s20, s2
	s_cbranch_execnz .LBB34_46
.LBB34_35:                              ;   in Loop: Header=BB34_3 Depth=1
	s_or_b32 exec_lo, exec_lo, s20
	s_and_saveexec_b32 s20, s2
	s_cbranch_execnz .LBB34_47
.LBB34_36:                              ;   in Loop: Header=BB34_3 Depth=1
	s_or_b32 exec_lo, exec_lo, s20
	s_and_saveexec_b32 s20, s2
	s_cbranch_execnz .LBB34_48
.LBB34_37:                              ;   in Loop: Header=BB34_3 Depth=1
	s_or_b32 exec_lo, exec_lo, s20
	s_and_saveexec_b32 s20, s2
	s_cbranch_execz .LBB34_39
.LBB34_38:                              ;   in Loop: Header=BB34_3 Depth=1
	v_add_nc_u64_e32 v[18:19], v[48:49], v[42:43]
	v_add_nc_u64_e32 v[34:35], v[50:51], v[42:43]
	global_load_b64 v[18:19], v[18:19], off
	global_load_b64 v[34:35], v[34:35], off
.LBB34_39:                              ;   in Loop: Header=BB34_3 Depth=1
	s_wait_xcnt 0x0
	s_or_b32 exec_lo, exec_lo, s20
	s_wait_loadcnt 0x1
	ds_bpermute_b32 v78, v2, v40
	ds_bpermute_b32 v79, v2, v41
	s_wait_loadcnt 0x0
	ds_bpermute_b32 v82, v2, v80
	ds_bpermute_b32 v83, v2, v81
	s_wait_dscnt 0x2
	v_add_f64_e64 v[20:21], v[20:21], -v[78:79]
	ds_bpermute_b32 v78, v2, v40 offset:4
	ds_bpermute_b32 v79, v2, v41 offset:4
	s_wait_dscnt 0x0
	v_add_f64_e64 v[22:23], v[22:23], -v[78:79]
	ds_bpermute_b32 v78, v2, v40 offset:8
	ds_bpermute_b32 v79, v2, v41 offset:8
	v_mul_f64_e32 v[20:21], v[4:5], v[20:21]
	v_add_f64_e32 v[4:5], v[36:37], v[4:5]
	ds_bpermute_b32 v36, v2, v80 offset:4
	ds_bpermute_b32 v37, v2, v81 offset:4
	s_wait_dscnt 0x2
	v_add_f64_e64 v[24:25], v[24:25], -v[78:79]
	v_mul_f64_e32 v[22:23], v[6:7], v[22:23]
	v_fmac_f64_e32 v[76:77], v[20:21], v[82:83]
	ds_bpermute_b32 v20, v2, v40 offset:12
	ds_bpermute_b32 v21, v2, v41 offset:12
	v_add_f64_e32 v[4:5], v[6:7], v[4:5]
	ds_bpermute_b32 v6, v2, v40 offset:16
	ds_bpermute_b32 v7, v2, v41 offset:16
	;; [unrolled: 1-line block ×4, first 2 shown]
	v_mul_f64_e32 v[24:25], v[8:9], v[24:25]
	s_wait_dscnt 0x4
	v_add_f64_e64 v[20:21], v[26:27], -v[20:21]
	s_wait_dscnt 0x2
	v_add_f64_e64 v[6:7], v[28:29], -v[6:7]
	v_fmac_f64_e32 v[76:77], v[22:23], v[36:37]
	ds_bpermute_b32 v22, v2, v80 offset:8
	ds_bpermute_b32 v23, v2, v81 offset:8
	v_add_f64_e32 v[4:5], v[8:9], v[4:5]
	ds_bpermute_b32 v8, v2, v40 offset:20
	ds_bpermute_b32 v9, v2, v41 offset:20
	v_mul_f64_e32 v[20:21], v[10:11], v[20:21]
	s_wait_dscnt 0x0
	v_add_f64_e64 v[8:9], v[30:31], -v[8:9]
	v_mul_f64_e32 v[6:7], v[12:13], v[6:7]
	v_fmac_f64_e32 v[76:77], v[24:25], v[22:23]
	ds_bpermute_b32 v22, v2, v80 offset:12
	ds_bpermute_b32 v23, v2, v81 offset:12
	v_add_f64_e32 v[4:5], v[10:11], v[4:5]
	ds_bpermute_b32 v10, v2, v80 offset:16
	ds_bpermute_b32 v11, v2, v81 offset:16
	v_mul_f64_e32 v[8:9], v[14:15], v[8:9]
	s_wait_dscnt 0x2
	v_fmac_f64_e32 v[76:77], v[20:21], v[22:23]
	ds_bpermute_b32 v20, v2, v40 offset:24
	ds_bpermute_b32 v21, v2, v41 offset:24
	v_add_f64_e32 v[4:5], v[12:13], v[4:5]
	s_wait_dscnt 0x2
	v_fmac_f64_e32 v[76:77], v[6:7], v[10:11]
	s_wait_dscnt 0x0
	v_add_f64_e64 v[6:7], v[32:33], -v[20:21]
	ds_bpermute_b32 v10, v2, v80 offset:20
	ds_bpermute_b32 v11, v2, v81 offset:20
	v_add_f64_e32 v[4:5], v[14:15], v[4:5]
	s_wait_dscnt 0x0
	v_fmac_f64_e32 v[76:77], v[8:9], v[10:11]
	v_mul_f64_e32 v[6:7], v[16:17], v[6:7]
	ds_bpermute_b32 v8, v2, v80 offset:24
	ds_bpermute_b32 v9, v2, v81 offset:24
	v_add_f64_e32 v[4:5], v[16:17], v[4:5]
	s_wait_dscnt 0x0
	v_fmac_f64_e32 v[76:77], v[6:7], v[8:9]
	ds_bpermute_b32 v6, v2, v40 offset:28
	ds_bpermute_b32 v7, v2, v41 offset:28
	v_mov_b64_e32 v[40:41], v[76:77]
.LBB34_40:                              ;   in Loop: Header=BB34_3 Depth=1
	s_wait_dscnt 0x0
	v_add_f64_e64 v[6:7], v[34:35], -v[6:7]
	v_add_f64_e32 v[36:37], v[4:5], v[18:19]
	s_add_nc_u64 s[48:49], s[48:49], s[34:35]
	v_add_nc_u64_e32 v[44:45], s[44:45], v[44:45]
	v_cmp_lt_i64_e64 s20, s[48:49], s[4:5]
	v_add_nc_u64_e32 v[46:47], s[44:45], v[46:47]
	v_add_nc_u64_e32 v[48:49], s[44:45], v[48:49]
	;; [unrolled: 1-line block ×15, first 2 shown]
	s_and_b32 vcc_lo, exec_lo, s20
	s_add_nc_u64 s[46:47], s[46:47], s[34:35]
	v_mul_f64_e32 v[6:7], v[18:19], v[6:7]
	s_delay_alu instid0(VALU_DEP_1)
	v_fmac_f64_e32 v[40:41], v[6:7], v[82:83]
	s_cbranch_vccz .LBB34_50
; %bb.41:                               ;   in Loop: Header=BB34_3 Depth=1
	s_delay_alu instid0(VALU_DEP_1)
	v_mov_b64_e32 v[76:77], v[40:41]
	s_branch .LBB34_3
.LBB34_42:                              ;   in Loop: Header=BB34_3 Depth=1
	v_add_nc_u64_e32 v[6:7], v[44:45], v[42:43]
	v_add_nc_u64_e32 v[8:9], v[46:47], v[42:43]
	v_dual_mov_b32 v10, v2 :: v_dual_mov_b32 v11, v2
	v_dual_mov_b32 v12, v2 :: v_dual_mov_b32 v13, v2
	;; [unrolled: 1-line block ×3, first 2 shown]
	global_load_b64 v[4:5], v[6:7], off
	global_load_b64 v[20:21], v[8:9], off
	s_wait_xcnt 0x1
	v_dual_mov_b32 v6, v2 :: v_dual_mov_b32 v7, v2
	s_wait_xcnt 0x0
	v_dual_mov_b32 v8, v2 :: v_dual_mov_b32 v9, v2
	v_dual_mov_b32 v16, v2 :: v_dual_mov_b32 v17, v2
	;; [unrolled: 1-line block ×10, first 2 shown]
	s_or_b32 exec_lo, exec_lo, s20
	s_and_saveexec_b32 s20, s2
	s_cbranch_execz .LBB34_32
.LBB34_43:                              ;   in Loop: Header=BB34_3 Depth=1
	v_add_nc_u64_e32 v[6:7], v[72:73], v[42:43]
	v_add_nc_u64_e32 v[22:23], v[74:75], v[42:43]
	global_load_b64 v[6:7], v[6:7], off
	global_load_b64 v[22:23], v[22:23], off
	s_wait_xcnt 0x0
	s_or_b32 exec_lo, exec_lo, s20
	s_and_saveexec_b32 s20, s2
	s_cbranch_execz .LBB34_33
.LBB34_44:                              ;   in Loop: Header=BB34_3 Depth=1
	v_add_nc_u64_e32 v[8:9], v[68:69], v[42:43]
	v_add_nc_u64_e32 v[24:25], v[70:71], v[42:43]
	global_load_b64 v[8:9], v[8:9], off
	global_load_b64 v[24:25], v[24:25], off
	s_wait_xcnt 0x0
	s_or_b32 exec_lo, exec_lo, s20
	s_and_saveexec_b32 s20, s2
	s_cbranch_execz .LBB34_34
.LBB34_45:                              ;   in Loop: Header=BB34_3 Depth=1
	v_add_nc_u64_e32 v[10:11], v[64:65], v[42:43]
	v_add_nc_u64_e32 v[26:27], v[66:67], v[42:43]
	global_load_b64 v[10:11], v[10:11], off
	global_load_b64 v[26:27], v[26:27], off
	s_wait_xcnt 0x0
	s_or_b32 exec_lo, exec_lo, s20
	s_and_saveexec_b32 s20, s2
	s_cbranch_execz .LBB34_35
.LBB34_46:                              ;   in Loop: Header=BB34_3 Depth=1
	v_add_nc_u64_e32 v[12:13], v[60:61], v[42:43]
	v_add_nc_u64_e32 v[28:29], v[62:63], v[42:43]
	global_load_b64 v[12:13], v[12:13], off
	global_load_b64 v[28:29], v[28:29], off
	s_wait_xcnt 0x0
	s_or_b32 exec_lo, exec_lo, s20
	s_and_saveexec_b32 s20, s2
	s_cbranch_execz .LBB34_36
.LBB34_47:                              ;   in Loop: Header=BB34_3 Depth=1
	v_add_nc_u64_e32 v[14:15], v[56:57], v[42:43]
	v_add_nc_u64_e32 v[30:31], v[58:59], v[42:43]
	global_load_b64 v[14:15], v[14:15], off
	global_load_b64 v[30:31], v[30:31], off
	s_wait_xcnt 0x0
	s_or_b32 exec_lo, exec_lo, s20
	s_and_saveexec_b32 s20, s2
	s_cbranch_execz .LBB34_37
.LBB34_48:                              ;   in Loop: Header=BB34_3 Depth=1
	v_add_nc_u64_e32 v[16:17], v[52:53], v[42:43]
	v_add_nc_u64_e32 v[32:33], v[54:55], v[42:43]
	global_load_b64 v[16:17], v[16:17], off
	global_load_b64 v[32:33], v[32:33], off
	s_wait_xcnt 0x0
	s_or_b32 exec_lo, exec_lo, s20
	s_and_saveexec_b32 s20, s2
	s_cbranch_execnz .LBB34_38
	s_branch .LBB34_39
.LBB34_49:
                                        ; implicit-def: $vgpr36_vgpr37
                                        ; implicit-def: $vgpr40_vgpr41
	s_branch .LBB34_51
.LBB34_50:
	s_cbranch_execnz .LBB34_82
.LBB34_51:
	v_mov_b64_e32 v[36:37], 0
	v_mov_b64_e32 v[40:41], 0
	s_and_not1_b32 vcc_lo, exec_lo, s17
	s_cbranch_vccnz .LBB34_82
; %bb.52:
	v_bfe_u32 v1, v0, 10, 10
	v_mov_b32_e32 v2, 0
	v_and_b32_e32 v110, 0x3ff, v0
	s_load_b32 s2, s[0:1], 0x44
	v_mov_b64_e32 v[40:41], 0
	s_delay_alu instid0(VALU_DEP_3) | instskip(SKIP_3) | instid1(VALU_DEP_3)
	v_dual_mov_b32 v5, v2 :: v_dual_lshlrev_b32 v4, 6, v1
	v_dual_mov_b32 v39, v2 :: v_dual_lshlrev_b32 v38, 3, v1
	v_mov_b64_e32 v[36:37], 0
	s_mov_b64 s[22:23], 0xffffffffffffff83
	v_lshl_add_u64 v[8:9], s[18:19], 3, v[4:5]
	s_mov_b64 s[24:25], 0xffffffffffffff84
	s_mov_b64 s[26:27], 0xffffffffffffff85
	;; [unrolled: 1-line block ×4, first 2 shown]
	v_add_nc_u64_e32 v[10:11], 8, v[8:9]
	v_add_nc_u64_e32 v[12:13], 16, v[8:9]
	;; [unrolled: 1-line block ×7, first 2 shown]
	v_mad_nc_u64_u32 v[42:43], s6, v10, s[8:9]
	v_mul_lo_u32 v3, s6, v11
	v_mul_lo_u32 v20, s7, v10
	v_mad_nc_u64_u32 v[52:53], s6, v10, s[10:11]
	v_mad_nc_u64_u32 v[46:47], s6, v14, s[8:9]
	v_mul_lo_u32 v26, s6, v15
	v_mad_nc_u64_u32 v[62:63], s6, v8, s[8:9]
	v_mul_lo_u32 v33, s7, v8
	v_mad_nc_u64_u32 v[68:69], s6, v8, s[10:11]
	v_add_nc_u32_e32 v8, s3, v110
	v_add_nc_u64_e32 v[4:5], s[18:19], v[38:39]
	v_mul_lo_u32 v27, s7, v14
	v_mad_nc_u64_u32 v[56:57], s6, v14, s[10:11]
	v_mad_nc_u64_u32 v[44:45], s6, v12, s[8:9]
	v_mul_lo_u32 v24, s6, v13
	v_mul_lo_u32 v25, s7, v12
	v_mad_nc_u64_u32 v[48:49], s6, v16, s[8:9]
	v_add_nc_u64_e32 v[10:11], 7, v[4:5]
	v_add_nc_u64_e32 v[14:15], 6, v[4:5]
	v_mul_lo_u32 v28, s6, v17
	v_mul_lo_u32 v29, s7, v16
	v_mad_nc_u64_u32 v[54:55], s6, v12, s[10:11]
	v_add3_u32 v43, v20, v43, v3
	v_mul_u64_e32 v[12:13], s[6:7], v[4:5]
	v_mul_u64_e32 v[10:11], s[6:7], v[10:11]
	v_add3_u32 v53, v20, v53, v3
	v_add_nc_u64_e32 v[20:21], 5, v[4:5]
	v_add_nc_u64_e32 v[22:23], 4, v[4:5]
	v_mad_nc_u64_u32 v[60:61], s6, v16, s[10:11]
	v_mul_u64_e32 v[14:15], s[6:7], v[14:15]
	v_add_nc_u64_e32 v[16:17], 3, v[4:5]
	v_add_nc_u64_e32 v[4:5], 2, v[4:5]
	v_mad_nc_u64_u32 v[50:51], s6, v6, s[8:9]
	v_mul_lo_u32 v30, s6, v7
	v_mul_lo_u32 v31, s7, v6
	v_mul_u64_e32 v[20:21], s[6:7], v[20:21]
	v_mul_u64_e32 v[22:23], s[6:7], v[22:23]
	v_mad_nc_u64_u32 v[64:65], s6, v6, s[10:11]
	v_mul_u64_e32 v[6:7], s[6:7], v[16:17]
	v_mul_u64_e32 v[4:5], s[6:7], v[4:5]
	v_mul_lo_u32 v3, s6, v9
	v_mov_b32_e32 v9, v2
	v_mad_nc_u64_u32 v[58:59], s6, v18, s[8:9]
	v_mul_lo_u32 v19, s6, v19
	v_mul_lo_u32 v32, s7, v18
	v_mad_nc_u64_u32 v[66:67], s6, v18, s[10:11]
	v_lshlrev_b64_e32 v[70:71], 3, v[8:9]
	s_mov_b32 s3, 0
	s_wait_kmcnt 0x0
	s_lshl_b32 s20, s2, 7
	s_mov_b32 s21, s3
	v_add3_u32 v45, v25, v45, v24
	v_add3_u32 v47, v27, v47, v26
	;; [unrolled: 1-line block ×5, first 2 shown]
	v_lshlrev_b64_e32 v[16:17], 3, v[12:13]
	v_lshlrev_b64_e32 v[10:11], 3, v[10:11]
	v_add_nc_u64_e32 v[12:13], s[6:7], v[12:13]
	v_add3_u32 v61, v29, v61, v28
	v_add3_u32 v51, v31, v51, v30
	;; [unrolled: 1-line block ×3, first 2 shown]
	v_lshlrev_b64_e32 v[8:9], 3, v[14:15]
	v_add_nc_u64_e32 v[72:73], s[8:9], v[16:17]
	v_add_nc_u64_e32 v[76:77], s[8:9], v[10:11]
	;; [unrolled: 1-line block ×4, first 2 shown]
	v_add3_u32 v59, v32, v59, v19
	v_lshlrev_b64_e32 v[10:11], 3, v[20:21]
	v_lshlrev_b64_e32 v[14:15], 3, v[22:23]
	v_add_nc_u64_e32 v[80:81], s[8:9], v[8:9]
	v_add_nc_u64_e32 v[82:83], s[10:11], v[8:9]
	v_lshlrev_b64_e32 v[6:7], 3, v[6:7]
	v_lshlrev_b64_e32 v[4:5], 3, v[4:5]
	;; [unrolled: 1-line block ×3, first 2 shown]
	v_add_nc_u64_e32 v[84:85], s[8:9], v[10:11]
	v_add_nc_u64_e32 v[86:87], s[10:11], v[10:11]
	v_add_nc_u64_e32 v[88:89], s[8:9], v[14:15]
	v_add_nc_u64_e32 v[90:91], s[10:11], v[14:15]
	v_add_nc_u64_e32 v[92:93], s[8:9], v[6:7]
	v_add_nc_u64_e32 v[94:95], s[10:11], v[6:7]
	v_add_nc_u64_e32 v[96:97], s[8:9], v[4:5]
	v_add_nc_u64_e32 v[98:99], s[10:11], v[4:5]
	v_add_nc_u64_e32 v[100:101], s[8:9], v[8:9]
	v_add_nc_u64_e32 v[102:103], s[10:11], v[8:9]
	v_add3_u32 v63, v33, v63, v3
	v_add3_u32 v67, v32, v67, v19
	;; [unrolled: 1-line block ×3, first 2 shown]
	s_mul_u64 s[38:39], s[6:7], s[20:21]
	s_mov_b64 s[8:9], 0xffffffffffffff81
	s_mov_b64 s[10:11], 0xffffffffffffff82
	;; [unrolled: 1-line block ×3, first 2 shown]
	s_add_nc_u64 s[36:37], s[0:1], 64
	s_lshl_b64 s[38:39], s[38:39], 3
	s_add_nc_u64 s[40:41], s[18:19], 0x7f
	s_branch .LBB34_56
.LBB34_53:                              ;   in Loop: Header=BB34_56 Depth=1
	s_wait_xcnt 0x0
	s_or_b32 exec_lo, exec_lo, s17
.LBB34_54:                              ;   in Loop: Header=BB34_56 Depth=1
	s_delay_alu instid0(SALU_CYCLE_1)
	s_or_b32 exec_lo, exec_lo, s2
	v_add_nc_u64_e32 v[8:9], v[74:75], v[70:71]
	v_add_nc_u64_e32 v[10:11], v[72:73], v[70:71]
	;; [unrolled: 1-line block ×7, first 2 shown]
	global_load_b64 v[16:17], v[8:9], off
	s_wait_xcnt 0x0
	v_add_nc_u64_e32 v[8:9], v[52:53], v[70:71]
	s_wait_loadcnt 0x1
	ds_bpermute_b32 v112, v2, v4
	ds_bpermute_b32 v113, v2, v5
	global_load_b64 v[24:25], v[8:9], off
	global_load_b64 v[14:15], v[10:11], off
	s_wait_xcnt 0x1
	v_add_nc_u64_e32 v[8:9], v[54:55], v[70:71]
	s_wait_xcnt 0x0
	v_add_nc_u64_e32 v[10:11], v[42:43], v[70:71]
	global_load_b64 v[26:27], v[8:9], off
	global_load_b64 v[12:13], v[10:11], off
	s_wait_xcnt 0x1
	v_add_nc_u64_e32 v[8:9], v[56:57], v[70:71]
	s_wait_xcnt 0x0
	v_add_nc_u64_e32 v[10:11], v[44:45], v[70:71]
	global_load_b64 v[20:21], v[8:9], off
	global_load_b64 v[10:11], v[10:11], off
	s_wait_xcnt 0x1
	v_add_nc_u64_e32 v[8:9], v[60:61], v[70:71]
	global_load_b64 v[22:23], v[8:9], off
	global_load_b64 v[8:9], v[18:19], off
	;; [unrolled: 4-line block ×4, first 2 shown]
	global_load_b64 v[34:35], v[34:35], off
	s_wait_xcnt 0x2
	v_add_nc_u64_e32 v[18:19], v[58:59], v[70:71]
	global_load_b64 v[108:109], v[18:19], off
	global_load_b64 v[18:19], v[106:107], off
	s_wait_xcnt 0x0
	ds_bpermute_b32 v106, v2, v6
	ds_bpermute_b32 v107, v2, v7
	s_wait_loadcnt_dscnt 0xf00
	v_add_f64_e64 v[16:17], v[16:17], -v[106:107]
	ds_bpermute_b32 v106, v2, v6 offset:4
	ds_bpermute_b32 v107, v2, v7 offset:4
	s_wait_loadcnt_dscnt 0xe00
	v_add_f64_e64 v[24:25], v[24:25], -v[106:107]
	ds_bpermute_b32 v106, v2, v6 offset:8
	ds_bpermute_b32 v107, v2, v7 offset:8
	s_wait_loadcnt 0xd
	v_mul_f64_e32 v[16:17], v[14:15], v[16:17]
	v_add_f64_e32 v[14:15], v[36:37], v[14:15]
	ds_bpermute_b32 v36, v2, v4 offset:4
	ds_bpermute_b32 v37, v2, v5 offset:4
	s_wait_loadcnt_dscnt 0xc02
	v_add_f64_e64 v[26:27], v[26:27], -v[106:107]
	s_wait_loadcnt 0xb
	v_mul_f64_e32 v[24:25], v[12:13], v[24:25]
	v_fmac_f64_e32 v[40:41], v[16:17], v[112:113]
	ds_bpermute_b32 v16, v2, v6 offset:12
	ds_bpermute_b32 v17, v2, v7 offset:12
	v_add_f64_e32 v[12:13], v[14:15], v[12:13]
	ds_bpermute_b32 v14, v2, v6 offset:16
	ds_bpermute_b32 v15, v2, v7 offset:16
	s_wait_loadcnt_dscnt 0xa02
	v_add_f64_e64 v[16:17], v[20:21], -v[16:17]
	s_wait_loadcnt 0x9
	v_mul_f64_e32 v[20:21], v[10:11], v[26:27]
	s_wait_loadcnt_dscnt 0x800
	v_add_f64_e64 v[14:15], v[22:23], -v[14:15]
	v_fmac_f64_e32 v[40:41], v[24:25], v[36:37]
	ds_bpermute_b32 v24, v2, v4 offset:8
	ds_bpermute_b32 v25, v2, v5 offset:8
	v_add_f64_e32 v[10:11], v[12:13], v[10:11]
	ds_bpermute_b32 v12, v2, v6 offset:20
	ds_bpermute_b32 v13, v2, v7 offset:20
	s_wait_loadcnt 0x7
	v_mul_f64_e32 v[16:17], v[8:9], v[16:17]
	s_wait_loadcnt_dscnt 0x600
	v_add_f64_e64 v[12:13], v[30:31], -v[12:13]
	s_wait_loadcnt 0x5
	v_mul_f64_e32 v[14:15], v[28:29], v[14:15]
	v_fmac_f64_e32 v[40:41], v[20:21], v[24:25]
	ds_bpermute_b32 v20, v2, v4 offset:12
	ds_bpermute_b32 v21, v2, v5 offset:12
	v_add_f64_e32 v[8:9], v[10:11], v[8:9]
	ds_bpermute_b32 v10, v2, v6 offset:24
	ds_bpermute_b32 v11, v2, v7 offset:24
	;; [unrolled: 1-line block ×4, first 2 shown]
	s_wait_loadcnt 0x4
	v_mul_f64_e32 v[12:13], v[104:105], v[12:13]
	s_wait_loadcnt_dscnt 0x302
	v_add_f64_e64 v[10:11], v[32:33], -v[10:11]
	s_wait_loadcnt_dscnt 0x200
	v_add_f64_e64 v[6:7], v[34:35], -v[6:7]
	v_fmac_f64_e32 v[40:41], v[16:17], v[20:21]
	ds_bpermute_b32 v16, v2, v4 offset:16
	ds_bpermute_b32 v17, v2, v5 offset:16
	v_add_f64_e32 v[8:9], v[8:9], v[28:29]
	s_wait_loadcnt 0x1
	v_mul_f64_e32 v[10:11], v[108:109], v[10:11]
	s_wait_dscnt 0x0
	v_fmac_f64_e32 v[40:41], v[14:15], v[16:17]
	ds_bpermute_b32 v14, v2, v4 offset:20
	ds_bpermute_b32 v15, v2, v5 offset:20
	v_add_f64_e32 v[8:9], v[8:9], v[104:105]
	s_wait_dscnt 0x0
	v_fmac_f64_e32 v[40:41], v[12:13], v[14:15]
	s_wait_loadcnt 0x0
	v_mul_f64_e32 v[12:13], v[18:19], v[6:7]
	ds_bpermute_b32 v6, v2, v4 offset:24
	ds_bpermute_b32 v7, v2, v5 offset:24
	;; [unrolled: 1-line block ×4, first 2 shown]
	s_wait_dscnt 0x2
	v_fmac_f64_e32 v[40:41], v[10:11], v[6:7]
	v_add_f64_e32 v[6:7], v[8:9], v[108:109]
	s_wait_dscnt 0x0
	v_mul_f64_e32 v[8:9], v[12:13], v[4:5]
	s_delay_alu instid0(VALU_DEP_3)
	v_mov_b64_e32 v[4:5], v[40:41]
.LBB34_55:                              ;   in Loop: Header=BB34_56 Depth=1
	s_delay_alu instid0(VALU_DEP_1) | instskip(NEXT) | instid1(VALU_DEP_4)
	v_add_f64_e32 v[40:41], v[4:5], v[8:9]
	v_add_f64_e32 v[36:37], v[6:7], v[18:19]
	s_add_nc_u64 s[18:19], s[18:19], s[20:21]
	v_add_nc_u64_e32 v[72:73], s[38:39], v[72:73]
	v_cmp_ge_i64_e64 s2, s[18:19], s[4:5]
	v_add_nc_u64_e32 v[74:75], s[38:39], v[74:75]
	v_add_nc_u64_e32 v[42:43], s[38:39], v[42:43]
	;; [unrolled: 1-line block ×29, first 2 shown]
	s_and_b32 vcc_lo, exec_lo, s2
	s_add_nc_u64 s[40:41], s[40:41], s[20:21]
	s_cbranch_vccnz .LBB34_82
.LBB34_56:                              ; =>This Inner Loop Header: Depth=1
	v_cmp_ge_i64_e64 s2, s[40:41], s[4:5]
	v_add_nc_u64_e32 v[104:105], s[40:41], v[38:39]
                                        ; implicit-def: $vgpr18_vgpr19
                                        ; implicit-def: $vgpr8_vgpr9
                                        ; implicit-def: $vgpr6_vgpr7
                                        ; implicit-def: $vgpr4_vgpr5
	s_and_b32 vcc_lo, exec_lo, s2
	s_mov_b32 s2, -1
	s_cbranch_vccz .LBB34_78
; %bb.57:                               ;   in Loop: Header=BB34_56 Depth=1
	s_load_b32 s2, s[36:37], 0xc
	v_mov_b64_e32 v[106:107], 0
	v_mov_b64_e32 v[108:109], 0
	s_wait_kmcnt 0x0
	s_and_b32 s2, s2, 0xffff
	s_delay_alu instid0(SALU_CYCLE_1) | instskip(SKIP_1) | instid1(VALU_DEP_1)
	v_mad_u32_u24 v3, v1, s2, v110
	s_mov_b32 s2, exec_lo
	v_and_b32_e32 v4, 31, v3
	s_delay_alu instid0(VALU_DEP_1)
	v_cmpx_gt_u32_e32 8, v4
	s_cbranch_execz .LBB34_61
; %bb.58:                               ;   in Loop: Header=BB34_56 Depth=1
	v_mov_b32_e32 v5, v2
	v_mov_b64_e32 v[108:109], 0
	v_mov_b64_e32 v[106:107], 0
	s_mov_b32 s17, exec_lo
	s_delay_alu instid0(VALU_DEP_3) | instskip(NEXT) | instid1(VALU_DEP_1)
	v_add_nc_u64_e32 v[4:5], v[104:105], v[4:5]
	v_add_nc_u64_e32 v[4:5], s[8:9], v[4:5]
	s_delay_alu instid0(VALU_DEP_1)
	v_cmpx_gt_i64_e64 s[4:5], v[4:5]
	s_cbranch_execz .LBB34_60
; %bb.59:                               ;   in Loop: Header=BB34_56 Depth=1
	v_lshlrev_b64_e32 v[4:5], 3, v[4:5]
	s_delay_alu instid0(VALU_DEP_1)
	v_add_nc_u64_e32 v[6:7], s[12:13], v[4:5]
	v_add_nc_u64_e32 v[4:5], s[14:15], v[4:5]
	global_load_b64 v[108:109], v[6:7], off
	global_load_b64 v[106:107], v[4:5], off
.LBB34_60:                              ;   in Loop: Header=BB34_56 Depth=1
	s_wait_xcnt 0x0
	s_or_b32 exec_lo, exec_lo, s17
.LBB34_61:                              ;   in Loop: Header=BB34_56 Depth=1
	s_delay_alu instid0(SALU_CYCLE_1)
	s_or_b32 exec_lo, exec_lo, s2
	v_add_nc_u64_e32 v[18:19], s[8:9], v[104:105]
	v_dual_mov_b32 v15, v2 :: v_dual_mov_b32 v16, v2
	v_dual_mov_b32 v17, v2 :: v_dual_mov_b32 v3, v2
	;; [unrolled: 1-line block ×7, first 2 shown]
	v_mov_b32_e32 v14, v2
	v_mov_b64_e32 v[34:35], v[16:17]
	v_cmp_gt_i64_e32 vcc_lo, s[4:5], v[18:19]
	v_mov_b64_e32 v[28:29], v[10:11]
	v_mov_b64_e32 v[30:31], v[12:13]
	;; [unrolled: 1-line block ×15, first 2 shown]
	s_and_saveexec_b32 s2, vcc_lo
	s_cbranch_execz .LBB34_63
; %bb.62:                               ;   in Loop: Header=BB34_56 Depth=1
	v_add_nc_u64_e32 v[4:5], v[72:73], v[70:71]
	v_add_nc_u64_e32 v[6:7], v[74:75], v[70:71]
	v_dual_mov_b32 v8, v2 :: v_dual_mov_b32 v9, v2
	v_dual_mov_b32 v10, v2 :: v_dual_mov_b32 v11, v2
	;; [unrolled: 1-line block ×3, first 2 shown]
	global_load_b64 v[4:5], v[4:5], off
	global_load_b64 v[20:21], v[6:7], off
	s_wait_xcnt 0x0
	v_dual_mov_b32 v6, v2 :: v_dual_mov_b32 v7, v2
	v_dual_mov_b32 v14, v2 :: v_dual_mov_b32 v15, v2
	;; [unrolled: 1-line block ×11, first 2 shown]
.LBB34_63:                              ;   in Loop: Header=BB34_56 Depth=1
	s_or_b32 exec_lo, exec_lo, s2
	v_add_nc_u64_e32 v[112:113], s[10:11], v[104:105]
	s_mov_b32 s2, exec_lo
	s_delay_alu instid0(VALU_DEP_1)
	v_cmpx_gt_i64_e64 s[4:5], v[112:113]
	s_cbranch_execz .LBB34_65
; %bb.64:                               ;   in Loop: Header=BB34_56 Depth=1
	v_add_nc_u64_e32 v[6:7], v[100:101], v[70:71]
	v_add_nc_u64_e32 v[22:23], v[102:103], v[70:71]
	global_load_b64 v[6:7], v[6:7], off
	global_load_b64 v[22:23], v[22:23], off
.LBB34_65:                              ;   in Loop: Header=BB34_56 Depth=1
	s_wait_xcnt 0x0
	s_or_b32 exec_lo, exec_lo, s2
	v_add_nc_u64_e32 v[112:113], s[22:23], v[104:105]
	s_mov_b32 s2, exec_lo
	s_delay_alu instid0(VALU_DEP_1)
	v_cmpx_gt_i64_e64 s[4:5], v[112:113]
	s_cbranch_execz .LBB34_67
; %bb.66:                               ;   in Loop: Header=BB34_56 Depth=1
	v_add_nc_u64_e32 v[8:9], v[96:97], v[70:71]
	v_add_nc_u64_e32 v[24:25], v[98:99], v[70:71]
	global_load_b64 v[8:9], v[8:9], off
	global_load_b64 v[24:25], v[24:25], off
.LBB34_67:                              ;   in Loop: Header=BB34_56 Depth=1
	s_wait_xcnt 0x0
	;; [unrolled: 13-line block ×7, first 2 shown]
	s_or_b32 exec_lo, exec_lo, s2
	s_wait_loadcnt 0x1
	ds_bpermute_b32 v112, v2, v108
	ds_bpermute_b32 v113, v2, v109
	s_wait_loadcnt 0x0
	ds_bpermute_b32 v114, v2, v106
	ds_bpermute_b32 v115, v2, v107
	v_add_f64_e32 v[116:117], v[36:37], v[4:5]
	s_mov_b32 s2, 0
	s_wait_dscnt 0x2
	v_add_f64_e64 v[20:21], v[20:21], -v[112:113]
	ds_bpermute_b32 v112, v2, v108 offset:4
	ds_bpermute_b32 v113, v2, v109 offset:4
	s_wait_dscnt 0x0
	v_add_f64_e64 v[22:23], v[22:23], -v[112:113]
	ds_bpermute_b32 v112, v2, v108 offset:8
	ds_bpermute_b32 v113, v2, v109 offset:8
	v_mul_f64_e32 v[20:21], v[4:5], v[20:21]
	s_wait_dscnt 0x0
	v_add_f64_e64 v[24:25], v[24:25], -v[112:113]
	ds_bpermute_b32 v112, v2, v106 offset:4
	ds_bpermute_b32 v113, v2, v107 offset:4
	v_mul_f64_e32 v[22:23], v[6:7], v[22:23]
	v_add_f64_e32 v[6:7], v[6:7], v[116:117]
	v_fma_f64 v[4:5], v[20:21], v[114:115], v[40:41]
	ds_bpermute_b32 v20, v2, v108 offset:12
	ds_bpermute_b32 v21, v2, v109 offset:12
	v_mul_f64_e32 v[24:25], v[8:9], v[24:25]
	s_wait_dscnt 0x0
	v_add_f64_e64 v[20:21], v[26:27], -v[20:21]
	ds_bpermute_b32 v26, v2, v106 offset:8
	ds_bpermute_b32 v27, v2, v107 offset:8
	v_add_f64_e32 v[6:7], v[8:9], v[6:7]
	ds_bpermute_b32 v8, v2, v108 offset:20
	ds_bpermute_b32 v9, v2, v109 offset:20
	v_fmac_f64_e32 v[4:5], v[22:23], v[112:113]
	ds_bpermute_b32 v22, v2, v108 offset:16
	ds_bpermute_b32 v23, v2, v109 offset:16
	s_wait_dscnt 0x2
	v_add_f64_e64 v[8:9], v[30:31], -v[8:9]
	s_wait_dscnt 0x0
	v_add_f64_e64 v[22:23], v[28:29], -v[22:23]
	v_mul_f64_e32 v[20:21], v[10:11], v[20:21]
	v_add_f64_e32 v[6:7], v[10:11], v[6:7]
	ds_bpermute_b32 v10, v2, v108 offset:24
	ds_bpermute_b32 v11, v2, v109 offset:24
	v_fmac_f64_e32 v[4:5], v[24:25], v[26:27]
	ds_bpermute_b32 v24, v2, v106 offset:12
	ds_bpermute_b32 v25, v2, v107 offset:12
	s_wait_dscnt 0x2
	v_add_f64_e64 v[10:11], v[32:33], -v[10:11]
	v_mul_f64_e32 v[8:9], v[14:15], v[8:9]
	v_mul_f64_e32 v[22:23], v[12:13], v[22:23]
	v_add_f64_e32 v[6:7], v[12:13], v[6:7]
	s_wait_dscnt 0x0
	v_fmac_f64_e32 v[4:5], v[20:21], v[24:25]
	ds_bpermute_b32 v20, v2, v106 offset:16
	ds_bpermute_b32 v21, v2, v107 offset:16
	;; [unrolled: 1-line block ×4, first 2 shown]
	v_mul_f64_e32 v[10:11], v[16:17], v[10:11]
	s_wait_dscnt 0x0
	v_add_f64_e64 v[12:13], v[34:35], -v[24:25]
	v_add_f64_e32 v[6:7], v[14:15], v[6:7]
	ds_bpermute_b32 v14, v2, v106 offset:28
	ds_bpermute_b32 v15, v2, v107 offset:28
	v_fmac_f64_e32 v[4:5], v[22:23], v[20:21]
	ds_bpermute_b32 v20, v2, v106 offset:20
	ds_bpermute_b32 v21, v2, v107 offset:20
	v_add_f64_e32 v[6:7], v[16:17], v[6:7]
	s_wait_dscnt 0x0
	v_fmac_f64_e32 v[4:5], v[8:9], v[20:21]
	v_mul_f64_e32 v[8:9], v[18:19], v[12:13]
	ds_bpermute_b32 v12, v2, v106 offset:24
	ds_bpermute_b32 v13, v2, v107 offset:24
	s_wait_dscnt 0x0
	v_fmac_f64_e32 v[4:5], v[10:11], v[12:13]
	v_mul_f64_e32 v[8:9], v[8:9], v[14:15]
.LBB34_78:                              ;   in Loop: Header=BB34_56 Depth=1
	s_and_b32 vcc_lo, exec_lo, s2
	s_cbranch_vccz .LBB34_55
; %bb.79:                               ;   in Loop: Header=BB34_56 Depth=1
	s_load_b32 s2, s[36:37], 0x0
	v_mov_b64_e32 v[4:5], 0
	v_mov_b64_e32 v[6:7], 0
	s_wait_kmcnt 0x0
	s_cmp_lt_u32 s16, s2
	s_cselect_b32 s2, 12, 18
	s_delay_alu instid0(SALU_CYCLE_1) | instskip(SKIP_4) | instid1(VALU_DEP_1)
	s_add_nc_u64 s[42:43], s[36:37], s[2:3]
	s_load_u16 s2, s[42:43], 0x0
	s_wait_kmcnt 0x0
	v_mad_u32_u24 v3, v1, s2, v110
	s_mov_b32 s2, exec_lo
	v_and_b32_e32 v8, 31, v3
	s_delay_alu instid0(VALU_DEP_1)
	v_cmpx_gt_u32_e32 8, v8
	s_cbranch_execz .LBB34_54
; %bb.80:                               ;   in Loop: Header=BB34_56 Depth=1
	v_mov_b32_e32 v9, v2
	v_mov_b64_e32 v[6:7], 0
	s_mov_b32 s17, exec_lo
	s_delay_alu instid0(VALU_DEP_2) | instskip(NEXT) | instid1(VALU_DEP_1)
	v_add_nc_u64_e32 v[4:5], v[104:105], v[8:9]
	v_add_nc_u64_e32 v[8:9], s[8:9], v[4:5]
	v_mov_b64_e32 v[4:5], 0
	s_delay_alu instid0(VALU_DEP_2)
	v_cmpx_gt_i64_e64 s[4:5], v[8:9]
	s_cbranch_execz .LBB34_53
; %bb.81:                               ;   in Loop: Header=BB34_56 Depth=1
	v_lshlrev_b64_e32 v[4:5], 3, v[8:9]
	s_delay_alu instid0(VALU_DEP_1)
	v_add_nc_u64_e32 v[6:7], s[12:13], v[4:5]
	v_add_nc_u64_e32 v[4:5], s[14:15], v[4:5]
	global_load_b64 v[6:7], v[6:7], off
	global_load_b64 v[4:5], v[4:5], off
	s_branch .LBB34_53
.LBB34_82:
	v_and_b32_e32 v1, 0x3ff, v0
	v_bfe_u32 v0, v0, 10, 10
	s_mov_b32 s2, exec_lo
	s_delay_alu instid0(VALU_DEP_1) | instskip(NEXT) | instid1(VALU_DEP_1)
	v_mad_u32_u24 v2, 0x41, v0, v1
	v_lshl_add_u32 v3, v2, 3, 0
	v_sub_nc_u32_e32 v8, v2, v0
	ds_store_b64 v3, v[40:41]
	ds_store_b64 v3, v[36:37] offset:8320
	s_wait_dscnt 0x0
	s_barrier_signal -1
	s_barrier_wait -1
	v_cmpx_gt_u32_e32 0x800, v8
	s_cbranch_execz .LBB34_98
; %bb.83:
	s_load_b128 s[8:11], s[0:1], 0x30
	v_dual_lshrrev_b32 v0, 5, v8 :: v_dual_bitop2_b32 v2, 31, v1 bitop3:0x40
                                        ; implicit-def: $vgpr4_vgpr5
	s_wait_xcnt 0x0
	s_delay_alu instid0(VALU_DEP_1)
	v_cmp_gt_u32_e64 s0, 16, v2
	v_mul_u32_u24_e32 v9, 0x41, v2
                                        ; implicit-def: $vgpr2_vgpr3
	s_and_saveexec_b32 s1, s0
	s_cbranch_execz .LBB34_85
; %bb.84:
	s_delay_alu instid0(VALU_DEP_1) | instskip(NEXT) | instid1(VALU_DEP_1)
	v_add_nc_u32_e32 v2, v0, v9
	v_lshl_add_u32 v2, v2, 3, 0
	ds_load_b64 v[4:5], v2
	ds_load_b64 v[2:3], v2 offset:8320
.LBB34_85:
	s_or_b32 exec_lo, exec_lo, s1
	v_mbcnt_lo_u32_b32 v16, -1, 0
	s_mov_b32 s17, 0
	v_cmp_eq_u32_e64 s1, 0, v1
	s_lshl_b64 s[2:3], s[16:17], 6
	s_wait_kmcnt 0x0
	s_cmp_lg_u64 s[8:9], 0
	v_xor_b32_e32 v6, 8, v16
	s_cselect_b32 s5, -1, 0
	s_cmp_lg_u64 s[10:11], 0
	v_mov_b32_e32 v1, 0
	s_cselect_b32 s4, -1, 0
	v_cmp_gt_i32_e32 vcc_lo, 32, v6
	v_cndmask_b32_e32 v6, v16, v6, vcc_lo
	s_delay_alu instid0(VALU_DEP_1)
	v_lshlrev_b32_e32 v10, 2, v6
	s_wait_dscnt 0x1
	ds_bpermute_b32 v6, v10, v4
	ds_bpermute_b32 v7, v10, v5
	s_wait_dscnt 0x0
	v_dual_add_f64 v[4:5], v[4:5], v[6:7] :: v_dual_bitop2_b32 v6, 4, v16 bitop3:0x14
	ds_bpermute_b32 v12, v10, v2
	ds_bpermute_b32 v13, v10, v3
	v_cmp_gt_i32_e32 vcc_lo, 32, v6
	s_wait_dscnt 0x0
	v_dual_add_f64 v[2:3], v[2:3], v[12:13] :: v_dual_cndmask_b32 v6, v16, v6, vcc_lo
	s_delay_alu instid0(VALU_DEP_1) | instskip(SKIP_4) | instid1(VALU_DEP_1)
	v_lshlrev_b32_e32 v11, 2, v6
	ds_bpermute_b32 v6, v11, v4
	ds_bpermute_b32 v7, v11, v5
	s_wait_dscnt 0x0
	v_dual_add_f64 v[4:5], v[4:5], v[6:7] :: v_dual_bitop2_b32 v6, 2, v16 bitop3:0x14
	v_cmp_gt_i32_e32 vcc_lo, 32, v6
	v_cndmask_b32_e32 v6, v16, v6, vcc_lo
	ds_bpermute_b32 v12, v11, v2
	ds_bpermute_b32 v13, v11, v3
	s_wait_dscnt 0x0
	v_dual_add_f64 v[2:3], v[2:3], v[12:13] :: v_dual_lshlrev_b32 v12, 2, v6
	ds_bpermute_b32 v6, v12, v4
	ds_bpermute_b32 v7, v12, v5
	s_wait_dscnt 0x0
	v_add_f64_e32 v[4:5], v[4:5], v[6:7]
	ds_bpermute_b32 v14, v12, v2
	ds_bpermute_b32 v15, v12, v3
	s_wait_dscnt 0x0
	v_dual_add_f64 v[6:7], v[2:3], v[14:15] :: v_dual_bitop2_b32 v2, 1, v16 bitop3:0x14
	s_delay_alu instid0(VALU_DEP_1) | instskip(SKIP_1) | instid1(VALU_DEP_1)
	v_cmp_gt_i32_e32 vcc_lo, 32, v2
	v_cndmask_b32_e32 v2, v16, v2, vcc_lo
	v_lshlrev_b32_e32 v13, 2, v2
	ds_bpermute_b32 v2, v13, v4
	ds_bpermute_b32 v3, v13, v5
	;; [unrolled: 1-line block ×4, first 2 shown]
	s_wait_dscnt 0x2
	v_add_f64_e32 v[2:3], v[4:5], v[2:3]
	s_wait_dscnt 0x0
	v_dual_add_f64 v[4:5], v[6:7], v[14:15] :: v_dual_bitop2_b32 v6, s2, v0 bitop3:0x54
	v_mov_b32_e32 v7, s3
	s_delay_alu instid0(VALU_DEP_1) | instskip(SKIP_1) | instid1(SALU_CYCLE_1)
	v_cmp_gt_i64_e32 vcc_lo, s[6:7], v[6:7]
	s_and_b32 s13, s1, vcc_lo
	s_and_saveexec_b32 s12, s13
	s_cbranch_execz .LBB34_90
; %bb.86:
	s_and_not1_b32 vcc_lo, exec_lo, s5
	s_cbranch_vccnz .LBB34_88
; %bb.87:
	v_lshl_add_u64 v[14:15], v[6:7], 3, s[8:9]
	global_store_b64 v[14:15], v[2:3], off
.LBB34_88:
	s_and_not1_b32 vcc_lo, exec_lo, s4
	s_cbranch_vccnz .LBB34_90
; %bb.89:
	v_lshl_add_u64 v[6:7], v[6:7], 3, s[10:11]
	global_store_b64 v[6:7], v[4:5], off
.LBB34_90:
	s_wait_xcnt 0x0
	s_or_b32 exec_lo, exec_lo, s12
	v_cmp_gt_u32_e32 vcc_lo, 0x400, v8
	s_and_b32 exec_lo, exec_lo, vcc_lo
	s_cbranch_execz .LBB34_98
; %bb.91:
	s_and_saveexec_b32 s12, s0
	s_cbranch_execz .LBB34_93
; %bb.92:
	v_add_nc_u32_e32 v2, v0, v9
	s_delay_alu instid0(VALU_DEP_1)
	v_lshl_add_u32 v4, v2, 3, 0
	ds_load_b64 v[2:3], v4 offset:256
	ds_load_b64 v[4:5], v4 offset:8576
.LBB34_93:
	s_or_b32 exec_lo, exec_lo, s12
	s_wait_dscnt 0x1
	ds_bpermute_b32 v6, v10, v2
	ds_bpermute_b32 v7, v10, v3
	s_wait_dscnt 0x2
	ds_bpermute_b32 v8, v10, v4
	ds_bpermute_b32 v9, v10, v5
	v_add_nc_u32_e32 v10, 32, v0
	s_delay_alu instid0(VALU_DEP_1)
	v_or_b32_e32 v10, s2, v10
	s_wait_dscnt 0x2
	v_add_f64_e32 v[2:3], v[2:3], v[6:7]
	s_wait_dscnt 0x0
	v_add_f64_e32 v[4:5], v[4:5], v[8:9]
	ds_bpermute_b32 v6, v11, v2
	ds_bpermute_b32 v7, v11, v3
	;; [unrolled: 1-line block ×4, first 2 shown]
	v_mov_b32_e32 v11, s3
	s_delay_alu instid0(VALU_DEP_1)
	v_cmp_gt_i64_e32 vcc_lo, s[6:7], v[10:11]
	s_and_b32 s0, s1, vcc_lo
	s_wait_dscnt 0x2
	v_add_f64_e32 v[2:3], v[2:3], v[6:7]
	s_wait_dscnt 0x0
	v_add_f64_e32 v[4:5], v[4:5], v[8:9]
	ds_bpermute_b32 v6, v12, v2
	ds_bpermute_b32 v7, v12, v3
	;; [unrolled: 1-line block ×4, first 2 shown]
	s_wait_dscnt 0x2
	v_add_f64_e32 v[6:7], v[2:3], v[6:7]
	s_wait_dscnt 0x0
	v_add_f64_e32 v[2:3], v[4:5], v[8:9]
	ds_bpermute_b32 v8, v13, v6
	ds_bpermute_b32 v9, v13, v7
	ds_bpermute_b32 v4, v13, v2
	ds_bpermute_b32 v5, v13, v3
	s_and_b32 exec_lo, exec_lo, s0
	s_cbranch_execz .LBB34_98
; %bb.94:
	v_add_nc_u64_e32 v[0:1], s[2:3], v[0:1]
	s_and_not1_b32 vcc_lo, exec_lo, s5
	s_cbranch_vccnz .LBB34_96
; %bb.95:
	s_wait_dscnt 0x2
	v_add_f64_e32 v[6:7], v[6:7], v[8:9]
	s_delay_alu instid0(VALU_DEP_2)
	v_lshl_add_u64 v[8:9], v[0:1], 3, s[8:9]
	global_store_b64 v[8:9], v[6:7], off offset:256
.LBB34_96:
	s_and_not1_b32 vcc_lo, exec_lo, s4
	s_cbranch_vccnz .LBB34_98
; %bb.97:
	s_wait_dscnt 0x0
	v_add_f64_e32 v[2:3], v[2:3], v[4:5]
	v_lshl_add_u64 v[0:1], v[0:1], 3, s[10:11]
	global_store_b64 v[0:1], v[2:3], off offset:256
.LBB34_98:
	s_sendmsg sendmsg(MSG_DEALLOC_VGPRS)
	s_endpgm
	.section	.rodata,"a",@progbits
	.p2align	6, 0x0
	.amdhsa_kernel _ZN2at6native12_GLOBAL__N_135GammaBetaBackwardCUDAKernelTemplateIddLj64ELj16ELj128ELb0ELb0ELb0EEEvllPKT_S5_PKT0_S8_PS3_S9_
		.amdhsa_group_segment_fixed_size 0
		.amdhsa_private_segment_fixed_size 0
		.amdhsa_kernarg_size 320
		.amdhsa_user_sgpr_count 2
		.amdhsa_user_sgpr_dispatch_ptr 0
		.amdhsa_user_sgpr_queue_ptr 0
		.amdhsa_user_sgpr_kernarg_segment_ptr 1
		.amdhsa_user_sgpr_dispatch_id 0
		.amdhsa_user_sgpr_kernarg_preload_length 0
		.amdhsa_user_sgpr_kernarg_preload_offset 0
		.amdhsa_user_sgpr_private_segment_size 0
		.amdhsa_wavefront_size32 1
		.amdhsa_uses_dynamic_stack 0
		.amdhsa_enable_private_segment 0
		.amdhsa_system_sgpr_workgroup_id_x 1
		.amdhsa_system_sgpr_workgroup_id_y 1
		.amdhsa_system_sgpr_workgroup_id_z 0
		.amdhsa_system_sgpr_workgroup_info 0
		.amdhsa_system_vgpr_workitem_id 1
		.amdhsa_next_free_vgpr 118
		.amdhsa_next_free_sgpr 52
		.amdhsa_named_barrier_count 0
		.amdhsa_reserve_vcc 1
		.amdhsa_float_round_mode_32 0
		.amdhsa_float_round_mode_16_64 0
		.amdhsa_float_denorm_mode_32 3
		.amdhsa_float_denorm_mode_16_64 3
		.amdhsa_fp16_overflow 0
		.amdhsa_memory_ordered 1
		.amdhsa_forward_progress 1
		.amdhsa_inst_pref_size 60
		.amdhsa_round_robin_scheduling 0
		.amdhsa_exception_fp_ieee_invalid_op 0
		.amdhsa_exception_fp_denorm_src 0
		.amdhsa_exception_fp_ieee_div_zero 0
		.amdhsa_exception_fp_ieee_overflow 0
		.amdhsa_exception_fp_ieee_underflow 0
		.amdhsa_exception_fp_ieee_inexact 0
		.amdhsa_exception_int_div_zero 0
	.end_amdhsa_kernel
	.section	.text._ZN2at6native12_GLOBAL__N_135GammaBetaBackwardCUDAKernelTemplateIddLj64ELj16ELj128ELb0ELb0ELb0EEEvllPKT_S5_PKT0_S8_PS3_S9_,"axG",@progbits,_ZN2at6native12_GLOBAL__N_135GammaBetaBackwardCUDAKernelTemplateIddLj64ELj16ELj128ELb0ELb0ELb0EEEvllPKT_S5_PKT0_S8_PS3_S9_,comdat
.Lfunc_end34:
	.size	_ZN2at6native12_GLOBAL__N_135GammaBetaBackwardCUDAKernelTemplateIddLj64ELj16ELj128ELb0ELb0ELb0EEEvllPKT_S5_PKT0_S8_PS3_S9_, .Lfunc_end34-_ZN2at6native12_GLOBAL__N_135GammaBetaBackwardCUDAKernelTemplateIddLj64ELj16ELj128ELb0ELb0ELb0EEEvllPKT_S5_PKT0_S8_PS3_S9_
                                        ; -- End function
	.set _ZN2at6native12_GLOBAL__N_135GammaBetaBackwardCUDAKernelTemplateIddLj64ELj16ELj128ELb0ELb0ELb0EEEvllPKT_S5_PKT0_S8_PS3_S9_.num_vgpr, 118
	.set _ZN2at6native12_GLOBAL__N_135GammaBetaBackwardCUDAKernelTemplateIddLj64ELj16ELj128ELb0ELb0ELb0EEEvllPKT_S5_PKT0_S8_PS3_S9_.num_agpr, 0
	.set _ZN2at6native12_GLOBAL__N_135GammaBetaBackwardCUDAKernelTemplateIddLj64ELj16ELj128ELb0ELb0ELb0EEEvllPKT_S5_PKT0_S8_PS3_S9_.numbered_sgpr, 52
	.set _ZN2at6native12_GLOBAL__N_135GammaBetaBackwardCUDAKernelTemplateIddLj64ELj16ELj128ELb0ELb0ELb0EEEvllPKT_S5_PKT0_S8_PS3_S9_.num_named_barrier, 0
	.set _ZN2at6native12_GLOBAL__N_135GammaBetaBackwardCUDAKernelTemplateIddLj64ELj16ELj128ELb0ELb0ELb0EEEvllPKT_S5_PKT0_S8_PS3_S9_.private_seg_size, 0
	.set _ZN2at6native12_GLOBAL__N_135GammaBetaBackwardCUDAKernelTemplateIddLj64ELj16ELj128ELb0ELb0ELb0EEEvllPKT_S5_PKT0_S8_PS3_S9_.uses_vcc, 1
	.set _ZN2at6native12_GLOBAL__N_135GammaBetaBackwardCUDAKernelTemplateIddLj64ELj16ELj128ELb0ELb0ELb0EEEvllPKT_S5_PKT0_S8_PS3_S9_.uses_flat_scratch, 0
	.set _ZN2at6native12_GLOBAL__N_135GammaBetaBackwardCUDAKernelTemplateIddLj64ELj16ELj128ELb0ELb0ELb0EEEvllPKT_S5_PKT0_S8_PS3_S9_.has_dyn_sized_stack, 0
	.set _ZN2at6native12_GLOBAL__N_135GammaBetaBackwardCUDAKernelTemplateIddLj64ELj16ELj128ELb0ELb0ELb0EEEvllPKT_S5_PKT0_S8_PS3_S9_.has_recursion, 0
	.set _ZN2at6native12_GLOBAL__N_135GammaBetaBackwardCUDAKernelTemplateIddLj64ELj16ELj128ELb0ELb0ELb0EEEvllPKT_S5_PKT0_S8_PS3_S9_.has_indirect_call, 0
	.section	.AMDGPU.csdata,"",@progbits
; Kernel info:
; codeLenInByte = 7636
; TotalNumSgprs: 54
; NumVgprs: 118
; ScratchSize: 0
; MemoryBound: 1
; FloatMode: 240
; IeeeMode: 1
; LDSByteSize: 0 bytes/workgroup (compile time only)
; SGPRBlocks: 0
; VGPRBlocks: 7
; NumSGPRsForWavesPerEU: 54
; NumVGPRsForWavesPerEU: 118
; NamedBarCnt: 0
; Occupancy: 8
; WaveLimiterHint : 0
; COMPUTE_PGM_RSRC2:SCRATCH_EN: 0
; COMPUTE_PGM_RSRC2:USER_SGPR: 2
; COMPUTE_PGM_RSRC2:TRAP_HANDLER: 0
; COMPUTE_PGM_RSRC2:TGID_X_EN: 1
; COMPUTE_PGM_RSRC2:TGID_Y_EN: 1
; COMPUTE_PGM_RSRC2:TGID_Z_EN: 0
; COMPUTE_PGM_RSRC2:TIDIG_COMP_CNT: 1
	.section	.text._ZN2at6native12_GLOBAL__N_135GammaBetaBackwardCUDAKernelTemplateIddLj64ELj16ELj256ELb0ELb1ELb0EEEvllPKT_S5_PKT0_S8_PS3_S9_,"axG",@progbits,_ZN2at6native12_GLOBAL__N_135GammaBetaBackwardCUDAKernelTemplateIddLj64ELj16ELj256ELb0ELb1ELb0EEEvllPKT_S5_PKT0_S8_PS3_S9_,comdat
	.globl	_ZN2at6native12_GLOBAL__N_135GammaBetaBackwardCUDAKernelTemplateIddLj64ELj16ELj256ELb0ELb1ELb0EEEvllPKT_S5_PKT0_S8_PS3_S9_ ; -- Begin function _ZN2at6native12_GLOBAL__N_135GammaBetaBackwardCUDAKernelTemplateIddLj64ELj16ELj256ELb0ELb1ELb0EEEvllPKT_S5_PKT0_S8_PS3_S9_
	.p2align	8
	.type	_ZN2at6native12_GLOBAL__N_135GammaBetaBackwardCUDAKernelTemplateIddLj64ELj16ELj256ELb0ELb1ELb0EEEvllPKT_S5_PKT0_S8_PS3_S9_,@function
_ZN2at6native12_GLOBAL__N_135GammaBetaBackwardCUDAKernelTemplateIddLj64ELj16ELj256ELb0ELb1ELb0EEEvllPKT_S5_PKT0_S8_PS3_S9_: ; @_ZN2at6native12_GLOBAL__N_135GammaBetaBackwardCUDAKernelTemplateIddLj64ELj16ELj256ELb0ELb1ELb0EEEvllPKT_S5_PKT0_S8_PS3_S9_
; %bb.0:
	s_load_b128 s[12:15], s[0:1], 0x0
	s_bfe_u32 s2, ttmp6, 0x40010
	s_bfe_u32 s4, ttmp6, 0x40004
	s_add_co_i32 s2, s2, 1
	s_getreg_b32 s3, hwreg(HW_REG_IB_STS2, 6, 4)
	s_mul_i32 s2, ttmp7, s2
	s_mov_b32 s17, 0
	s_add_co_i32 s4, s4, s2
	s_cmp_eq_u32 s3, 0
	v_bfe_u32 v31, v0, 10, 10
	s_cselect_b32 s2, ttmp7, s4
	s_delay_alu instid0(SALU_CYCLE_1)
	s_lshl_b32 s16, s2, 8
	s_wait_kmcnt 0x0
	v_cmp_gt_i64_e64 s2, s[12:13], s[16:17]
	s_and_b32 vcc_lo, exec_lo, s2
	s_cbranch_vccnz .LBB35_2
; %bb.1:
	v_bfe_u32 v1, v0, 10, 10
	s_mov_b32 s2, s17
	s_branch .LBB35_3
.LBB35_2:
	s_mov_b32 s2, -1
                                        ; implicit-def: $vgpr1
.LBB35_3:
	v_mov_b64_e32 v[14:15], 0
	v_mov_b64_e32 v[2:3], 0
	v_and_b32_e32 v30, 0x3ff, v0
	s_and_not1_b32 vcc_lo, exec_lo, s2
	s_cbranch_vccnz .LBB35_11
; %bb.4:
	v_dual_mov_b32 v1, 0 :: v_dual_lshlrev_b32 v0, 4, v31
	s_clause 0x1
	s_load_b32 s2, s[0:1], 0x44
	s_load_b32 s18, s[0:1], 0x4c
	s_bfe_u32 s21, ttmp6, 0x4000c
	s_and_b32 s20, ttmp6, 15
	s_add_co_i32 s21, s21, 1
	v_add_nc_u64_e32 v[2:3], s[16:17], v[0:1]
	s_mul_i32 s21, ttmp9, s21
	s_load_b256 s[4:11], s[0:1], 0x10
	s_add_co_i32 s20, s20, s21
	v_dual_mov_b32 v41, 44 :: v_dual_mov_b32 v7, v1
	v_mov_b64_e32 v[14:15], 0
	s_delay_alu instid0(VALU_DEP_3)
	v_mul_u64_e32 v[8:9], s[14:15], v[2:3]
	s_mov_b32 s19, 0
	v_dual_mov_b32 v0, 16 :: v_dual_mov_b32 v32, 4
	v_dual_mov_b32 v33, 8 :: v_dual_mov_b32 v34, 12
	;; [unrolled: 1-line block ×4, first 2 shown]
	s_wait_kmcnt 0x0
	s_and_b32 s18, s18, 0xffff
	s_cmp_eq_u32 s3, 0
	v_mad_u32_u24 v4, v31, s18, v30
	v_mov_b32_e32 v11, v1
	s_cselect_b32 s18, ttmp9, s20
	v_dual_mov_b32 v39, 36 :: v_dual_mov_b32 v40, 40
	s_delay_alu instid0(VALU_DEP_3) | instskip(SKIP_3) | instid1(VALU_DEP_3)
	v_and_b32_e32 v6, 31, v4
	v_lshl_add_u32 v10, s18, 6, v30
	s_lshl_b32 s18, s2, 8
	v_dual_mov_b32 v42, 48 :: v_dual_mov_b32 v43, 52
	v_add_nc_u64_e32 v[4:5], v[2:3], v[6:7]
	s_delay_alu instid0(VALU_DEP_3)
	v_lshlrev_b64_e32 v[10:11], 3, v[10:11]
	v_mov_b64_e32 v[2:3], 0
	v_cmp_gt_u32_e64 s2, 16, v6
	v_dual_mov_b32 v44, 56 :: v_dual_mov_b32 v45, 60
	s_mul_u64 s[22:23], s[14:15], s[18:19]
	v_lshlrev_b64_e32 v[6:7], 3, v[4:5]
	s_lshl_b64 s[20:21], s[18:19], 3
	s_lshl_b64 s[22:23], s[22:23], 3
	v_lshl_add_u64 v[8:9], v[8:9], 3, v[10:11]
	s_lshl_b64 s[14:15], s[14:15], 3
	s_branch .LBB35_7
.LBB35_5:                               ;   in Loop: Header=BB35_7 Depth=1
	s_wait_xcnt 0x0
	s_or_b32 exec_lo, exec_lo, s25
.LBB35_6:                               ;   in Loop: Header=BB35_7 Depth=1
	s_delay_alu instid0(SALU_CYCLE_1)
	s_or_b32 exec_lo, exec_lo, s24
	v_add_nc_u64_e32 v[16:17], s[6:7], v[8:9]
	v_add_nc_u64_e32 v[18:19], s[4:5], v[8:9]
	s_wait_loadcnt 0x1
	ds_bpermute_b32 v52, v1, v12
	ds_bpermute_b32 v53, v1, v13
	s_wait_loadcnt 0x0
	ds_bpermute_b32 v56, v1, v10
	ds_bpermute_b32 v57, v1, v11
	s_add_nc_u64 s[16:17], s[16:17], s[18:19]
	global_load_b64 v[24:25], v[16:17], off
	s_wait_xcnt 0x0
	v_add_nc_u64_e32 v[16:17], s[14:15], v[16:17]
	v_cmp_lt_i64_e64 s24, s[16:17], s[12:13]
	v_add_nc_u64_e32 v[6:7], s[20:21], v[6:7]
	v_add_nc_u64_e32 v[4:5], s[18:19], v[4:5]
	;; [unrolled: 1-line block ×3, first 2 shown]
	global_load_b64 v[26:27], v[16:17], off
	global_load_b64 v[20:21], v[18:19], off
	s_wait_xcnt 0x1
	v_add_nc_u64_e32 v[16:17], s[14:15], v[16:17]
	s_wait_xcnt 0x0
	v_add_nc_u64_e32 v[18:19], s[14:15], v[18:19]
	s_and_b32 vcc_lo, exec_lo, s24
	global_load_b64 v[28:29], v[16:17], off
	global_load_b64 v[22:23], v[18:19], off
	v_add_nc_u64_e32 v[46:47], s[14:15], v[18:19]
	v_add_nc_u64_e32 v[48:49], s[14:15], v[16:17]
	global_load_b64 v[18:19], v[46:47], off
	global_load_b64 v[50:51], v[48:49], off
	s_wait_xcnt 0x1
	v_add_nc_u64_e32 v[46:47], s[14:15], v[46:47]
	s_wait_xcnt 0x0
	v_add_nc_u64_e32 v[48:49], s[14:15], v[48:49]
	global_load_b64 v[16:17], v[46:47], off
	global_load_b64 v[54:55], v[48:49], off
	s_wait_xcnt 0x0
	v_add_nc_u64_e32 v[48:49], s[14:15], v[48:49]
	v_add_nc_u64_e32 v[46:47], s[14:15], v[46:47]
	global_load_b64 v[58:59], v[48:49], off
	s_wait_xcnt 0x0
	v_add_nc_u64_e32 v[48:49], s[14:15], v[48:49]
	s_wait_loadcnt_dscnt 0x902
	v_add_f64_e64 v[24:25], v[24:25], -v[52:53]
	ds_bpermute_b32 v52, v32, v12
	ds_bpermute_b32 v53, v32, v13
	s_wait_loadcnt 0x7
	v_add_f64_e32 v[14:15], v[14:15], v[20:21]
	s_wait_dscnt 0x0
	v_add_f64_e64 v[26:27], v[26:27], -v[52:53]
	ds_bpermute_b32 v52, v33, v12
	ds_bpermute_b32 v53, v33, v13
	v_mul_f64_e32 v[24:25], v[20:21], v[24:25]
	s_wait_loadcnt 0x5
	v_add_f64_e32 v[14:15], v[14:15], v[22:23]
	s_wait_dscnt 0x0
	v_add_f64_e64 v[52:53], v[28:29], -v[52:53]
	global_load_b64 v[28:29], v[46:47], off
	s_wait_xcnt 0x0
	v_add_nc_u64_e32 v[46:47], s[14:15], v[46:47]
	v_mul_f64_e32 v[26:27], v[22:23], v[26:27]
	ds_bpermute_b32 v22, v37, v12
	ds_bpermute_b32 v23, v37, v13
	v_fmac_f64_e32 v[2:3], v[24:25], v[56:57]
	ds_bpermute_b32 v24, v32, v10
	ds_bpermute_b32 v25, v32, v11
	global_load_b64 v[56:57], v[48:49], off
	s_wait_xcnt 0x0
	v_add_nc_u64_e32 v[48:49], s[14:15], v[48:49]
	s_wait_loadcnt 0x6
	v_add_f64_e32 v[14:15], v[14:15], v[18:19]
	v_mul_f64_e32 v[52:53], v[18:19], v[52:53]
	ds_bpermute_b32 v18, v38, v12
	ds_bpermute_b32 v19, v38, v13
	s_wait_dscnt 0x2
	v_fmac_f64_e32 v[2:3], v[26:27], v[24:25]
	global_load_b64 v[26:27], v[46:47], off
	ds_bpermute_b32 v24, v33, v10
	ds_bpermute_b32 v25, v33, v11
	s_wait_xcnt 0x0
	v_add_nc_u64_e32 v[46:47], s[14:15], v[46:47]
	s_wait_loadcnt 0x5
	v_add_f64_e32 v[14:15], v[14:15], v[16:17]
	s_wait_dscnt 0x0
	v_fmac_f64_e32 v[2:3], v[52:53], v[24:25]
	global_load_b64 v[24:25], v[46:47], off
	ds_bpermute_b32 v52, v34, v12
	ds_bpermute_b32 v53, v34, v13
	s_wait_xcnt 0x0
	v_add_nc_u64_e32 v[46:47], s[14:15], v[46:47]
	s_wait_dscnt 0x0
	v_add_f64_e64 v[50:51], v[50:51], -v[52:53]
	ds_bpermute_b32 v52, v34, v10
	ds_bpermute_b32 v53, v34, v11
	v_mul_f64_e32 v[50:51], v[16:17], v[50:51]
	ds_bpermute_b32 v16, v37, v10
	ds_bpermute_b32 v17, v37, v11
	s_wait_dscnt 0x2
	v_fmac_f64_e32 v[2:3], v[50:51], v[52:53]
	global_load_b64 v[50:51], v[48:49], off
	ds_bpermute_b32 v52, v0, v12
	ds_bpermute_b32 v53, v0, v13
	s_wait_xcnt 0x0
	v_add_nc_u64_e32 v[48:49], s[14:15], v[48:49]
	s_wait_loadcnt_dscnt 0x600
	v_add_f64_e64 v[52:53], v[54:55], -v[52:53]
	ds_bpermute_b32 v54, v35, v12
	ds_bpermute_b32 v55, v35, v13
	s_wait_loadcnt_dscnt 0x500
	v_add_f64_e64 v[54:55], v[58:59], -v[54:55]
	ds_bpermute_b32 v58, v36, v12
	ds_bpermute_b32 v59, v36, v13
	s_wait_loadcnt 0x4
	v_mul_f64_e32 v[52:53], v[28:29], v[52:53]
	v_add_f64_e32 v[14:15], v[14:15], v[28:29]
	s_wait_loadcnt_dscnt 0x300
	v_add_f64_e64 v[56:57], v[56:57], -v[58:59]
	ds_bpermute_b32 v58, v0, v10
	ds_bpermute_b32 v59, v0, v11
	s_wait_dscnt 0x0
	v_fmac_f64_e32 v[2:3], v[52:53], v[58:59]
	ds_bpermute_b32 v52, v35, v10
	ds_bpermute_b32 v53, v35, v11
	;; [unrolled: 1-line block ×4, first 2 shown]
	s_wait_loadcnt 0x2
	v_mul_f64_e32 v[54:55], v[26:27], v[54:55]
	v_add_f64_e32 v[14:15], v[14:15], v[26:27]
	s_wait_loadcnt 0x1
	v_mul_f64_e32 v[56:57], v[24:25], v[56:57]
	s_wait_dscnt 0x2
	s_delay_alu instid0(VALU_DEP_3)
	v_fmac_f64_e32 v[2:3], v[54:55], v[52:53]
	global_load_b64 v[52:53], v[48:49], off
	global_load_b64 v[54:55], v[46:47], off
	s_wait_xcnt 0x1
	v_add_nc_u64_e32 v[48:49], s[14:15], v[48:49]
	s_wait_xcnt 0x0
	v_add_nc_u64_e32 v[46:47], s[14:15], v[46:47]
	v_add_f64_e32 v[14:15], v[14:15], v[24:25]
	s_wait_dscnt 0x0
	v_fmac_f64_e32 v[2:3], v[56:57], v[58:59]
	global_load_b64 v[56:57], v[48:49], off
	global_load_b64 v[58:59], v[46:47], off
	s_wait_xcnt 0x0
	v_add_nc_u64_e32 v[46:47], s[14:15], v[46:47]
	v_add_nc_u64_e32 v[48:49], s[14:15], v[48:49]
	global_load_b64 v[20:21], v[46:47], off
	s_wait_xcnt 0x0
	v_add_nc_u64_e32 v[46:47], s[14:15], v[46:47]
	s_wait_loadcnt 0x5
	v_add_f64_e64 v[22:23], v[50:51], -v[22:23]
	global_load_b64 v[50:51], v[48:49], off
	s_wait_xcnt 0x0
	v_add_nc_u64_e32 v[48:49], s[14:15], v[48:49]
	s_wait_loadcnt 0x5
	v_add_f64_e64 v[18:19], v[52:53], -v[18:19]
	s_wait_loadcnt 0x4
	v_mul_f64_e32 v[22:23], v[54:55], v[22:23]
	ds_bpermute_b32 v52, v39, v12
	ds_bpermute_b32 v53, v39, v13
	v_add_f64_e32 v[14:15], v[14:15], v[54:55]
	s_wait_loadcnt_dscnt 0x300
	v_add_f64_e64 v[52:53], v[56:57], -v[52:53]
	s_wait_loadcnt 0x2
	v_mul_f64_e32 v[18:19], v[58:59], v[18:19]
	v_fmac_f64_e32 v[2:3], v[22:23], v[16:17]
	global_load_b64 v[16:17], v[48:49], off
	global_load_b64 v[22:23], v[46:47], off
	ds_bpermute_b32 v56, v38, v10
	ds_bpermute_b32 v57, v38, v11
	s_wait_xcnt 0x1
	v_add_nc_u64_e32 v[48:49], s[14:15], v[48:49]
	s_wait_xcnt 0x0
	v_add_nc_u64_e32 v[46:47], s[14:15], v[46:47]
	v_add_f64_e32 v[14:15], v[14:15], v[58:59]
	ds_bpermute_b32 v58, v41, v12
	ds_bpermute_b32 v59, v41, v13
	global_load_b64 v[28:29], v[48:49], off
	s_wait_xcnt 0x0
	v_add_nc_u64_e32 v[48:49], s[14:15], v[48:49]
	global_load_b64 v[26:27], v[48:49], off
	s_wait_xcnt 0x0
	v_add_nc_u64_e32 v[48:49], s[14:15], v[48:49]
	s_wait_loadcnt 0x5
	v_mul_f64_e32 v[52:53], v[20:21], v[52:53]
	s_wait_dscnt 0x2
	v_fmac_f64_e32 v[2:3], v[18:19], v[56:57]
	global_load_b64 v[18:19], v[46:47], off
	ds_bpermute_b32 v56, v39, v10
	ds_bpermute_b32 v57, v39, v11
	s_wait_xcnt 0x0
	v_add_nc_u64_e32 v[46:47], s[14:15], v[46:47]
	v_add_f64_e32 v[14:15], v[14:15], v[20:21]
	ds_bpermute_b32 v20, v42, v12
	ds_bpermute_b32 v21, v42, v13
	s_wait_dscnt 0x2
	v_fmac_f64_e32 v[2:3], v[52:53], v[56:57]
	global_load_b64 v[52:53], v[46:47], off
	ds_bpermute_b32 v56, v40, v12
	ds_bpermute_b32 v57, v40, v13
	s_wait_xcnt 0x0
	v_add_nc_u64_e32 v[46:47], s[14:15], v[46:47]
	global_load_b64 v[24:25], v[46:47], off
	s_wait_xcnt 0x0
	v_add_nc_u64_e32 v[46:47], s[14:15], v[46:47]
	global_load_b64 v[54:55], v[46:47], off
	s_wait_xcnt 0x0
	v_add_nc_u64_e32 v[46:47], s[14:15], v[46:47]
	s_wait_loadcnt_dscnt 0x800
	v_add_f64_e64 v[50:51], v[50:51], -v[56:57]
	global_load_b64 v[56:57], v[48:49], off
	s_wait_xcnt 0x0
	v_add_nc_u64_e32 v[48:49], s[14:15], v[48:49]
	global_load_b64 v[46:47], v[46:47], off
	global_load_b64 v[48:49], v[48:49], off
	s_wait_loadcnt 0xa
	v_add_f64_e64 v[16:17], v[16:17], -v[58:59]
	s_wait_loadcnt 0x9
	v_mul_f64_e32 v[50:51], v[22:23], v[50:51]
	ds_bpermute_b32 v58, v40, v10
	ds_bpermute_b32 v59, v40, v11
	v_add_f64_e32 v[14:15], v[14:15], v[22:23]
	ds_bpermute_b32 v22, v43, v12
	ds_bpermute_b32 v23, v43, v13
	s_wait_loadcnt 0x8
	v_add_f64_e64 v[20:21], v[28:29], -v[20:21]
	ds_bpermute_b32 v28, v41, v10
	ds_bpermute_b32 v29, v41, v11
	s_wait_loadcnt_dscnt 0x702
	v_add_f64_e64 v[22:23], v[26:27], -v[22:23]
	s_wait_loadcnt 0x6
	v_mul_f64_e32 v[16:17], v[18:19], v[16:17]
	v_fmac_f64_e32 v[2:3], v[50:51], v[58:59]
	v_add_f64_e32 v[14:15], v[14:15], v[18:19]
	ds_bpermute_b32 v18, v42, v10
	ds_bpermute_b32 v19, v42, v11
	s_wait_loadcnt 0x5
	v_mul_f64_e32 v[20:21], v[52:53], v[20:21]
	s_wait_dscnt 0x2
	v_fmac_f64_e32 v[2:3], v[16:17], v[28:29]
	ds_bpermute_b32 v16, v44, v12
	ds_bpermute_b32 v17, v44, v13
	v_add_f64_e32 v[14:15], v[14:15], v[52:53]
	ds_bpermute_b32 v12, v45, v12
	ds_bpermute_b32 v13, v45, v13
	s_wait_loadcnt 0x4
	v_mul_f64_e32 v[22:23], v[24:25], v[22:23]
	s_wait_loadcnt_dscnt 0x202
	v_add_f64_e64 v[16:17], v[56:57], -v[16:17]
	s_wait_loadcnt_dscnt 0x0
	v_add_f64_e64 v[12:13], v[48:49], -v[12:13]
	v_fmac_f64_e32 v[2:3], v[20:21], v[18:19]
	ds_bpermute_b32 v18, v43, v10
	ds_bpermute_b32 v19, v43, v11
	v_add_f64_e32 v[14:15], v[14:15], v[24:25]
	v_mul_f64_e32 v[16:17], v[54:55], v[16:17]
	v_mul_f64_e32 v[12:13], v[46:47], v[12:13]
	s_wait_dscnt 0x0
	v_fmac_f64_e32 v[2:3], v[22:23], v[18:19]
	ds_bpermute_b32 v18, v44, v10
	ds_bpermute_b32 v19, v44, v11
	v_add_f64_e32 v[14:15], v[14:15], v[54:55]
	ds_bpermute_b32 v10, v45, v10
	ds_bpermute_b32 v11, v45, v11
	s_wait_dscnt 0x2
	v_fmac_f64_e32 v[2:3], v[16:17], v[18:19]
	v_add_f64_e32 v[14:15], v[14:15], v[46:47]
	s_wait_dscnt 0x0
	s_delay_alu instid0(VALU_DEP_2)
	v_fmac_f64_e32 v[2:3], v[12:13], v[10:11]
	s_cbranch_vccz .LBB35_10
.LBB35_7:                               ; =>This Inner Loop Header: Depth=1
	v_mov_b64_e32 v[10:11], 0
	v_mov_b64_e32 v[12:13], 0
	s_and_saveexec_b32 s24, s2
	s_cbranch_execz .LBB35_6
; %bb.8:                                ;   in Loop: Header=BB35_7 Depth=1
	v_mov_b64_e32 v[12:13], 0
	v_mov_b64_e32 v[10:11], 0
	s_mov_b32 s25, exec_lo
	v_cmpx_gt_i64_e64 s[12:13], v[4:5]
	s_cbranch_execz .LBB35_5
; %bb.9:                                ;   in Loop: Header=BB35_7 Depth=1
	v_add_nc_u64_e32 v[16:17], s[8:9], v[6:7]
	v_add_nc_u64_e32 v[18:19], s[10:11], v[6:7]
	global_load_b64 v[12:13], v[16:17], off
	global_load_b64 v[10:11], v[18:19], off
	s_branch .LBB35_5
.LBB35_10:
	v_mov_b32_e32 v1, v31
.LBB35_11:
	s_load_b128 s[4:7], s[0:1], 0x30
	s_delay_alu instid0(VALU_DEP_1) | instskip(SKIP_2) | instid1(VALU_DEP_1)
	v_mad_u32_u24 v0, 0x41, v1, v30
	s_wait_xcnt 0x0
	s_mov_b32 s0, exec_lo
	v_lshl_add_u32 v4, v0, 3, 0
	v_sub_nc_u32_e32 v8, v0, v1
	ds_store_b64 v4, v[2:3]
	ds_store_b64 v4, v[14:15] offset:8320
	s_wait_dscnt 0x0
	s_barrier_signal -1
	s_barrier_wait -1
	v_cmpx_gt_u32_e32 0x800, v8
	s_cbranch_execz .LBB35_27
; %bb.12:
	v_dual_lshrrev_b32 v0, 5, v8 :: v_dual_bitop2_b32 v1, 31, v30 bitop3:0x40
                                        ; implicit-def: $vgpr2_vgpr3
                                        ; implicit-def: $vgpr4_vgpr5
	s_delay_alu instid0(VALU_DEP_1)
	v_cmp_gt_u32_e64 s0, 16, v1
	v_mul_u32_u24_e32 v9, 0x41, v1
	s_and_saveexec_b32 s1, s0
	s_cbranch_execz .LBB35_14
; %bb.13:
	s_delay_alu instid0(VALU_DEP_1) | instskip(NEXT) | instid1(VALU_DEP_1)
	v_add_nc_u32_e32 v1, v0, v9
	v_lshl_add_u32 v1, v1, 3, 0
	ds_load_b64 v[4:5], v1
	ds_load_b64 v[2:3], v1 offset:8320
.LBB35_14:
	s_or_b32 exec_lo, exec_lo, s1
	v_mbcnt_lo_u32_b32 v1, -1, 0
	s_bfe_u32 s1, ttmp6, 0x4000c
	s_and_b32 s2, ttmp6, 15
	s_add_co_i32 s1, s1, 1
	s_delay_alu instid0(SALU_CYCLE_1)
	s_mul_i32 s1, ttmp9, s1
	v_xor_b32_e32 v6, 8, v1
	s_add_co_i32 s2, s2, s1
	s_cmp_eq_u32 s3, 0
	s_mov_b32 s3, 0
	s_cselect_b32 s2, ttmp9, s2
	v_cmp_gt_i32_e32 vcc_lo, 32, v6
	s_lshl_b64 s[2:3], s[2:3], 6
	s_wait_kmcnt 0x0
	s_cmp_lg_u64 s[4:5], 0
	v_cmp_eq_u32_e64 s1, 0, v30
	s_cselect_b32 s9, -1, 0
	v_cndmask_b32_e32 v6, v1, v6, vcc_lo
	s_cmp_lg_u64 s[6:7], 0
	s_cselect_b32 s8, -1, 0
	s_delay_alu instid0(VALU_DEP_1)
	v_lshlrev_b32_e32 v10, 2, v6
	s_wait_dscnt 0x1
	ds_bpermute_b32 v6, v10, v4
	ds_bpermute_b32 v7, v10, v5
	s_wait_dscnt 0x0
	v_dual_add_f64 v[4:5], v[4:5], v[6:7] :: v_dual_bitop2_b32 v6, 4, v1 bitop3:0x14
	ds_bpermute_b32 v12, v10, v2
	ds_bpermute_b32 v13, v10, v3
	v_cmp_gt_i32_e32 vcc_lo, 32, v6
	s_wait_dscnt 0x0
	v_dual_add_f64 v[2:3], v[2:3], v[12:13] :: v_dual_cndmask_b32 v6, v1, v6, vcc_lo
	s_delay_alu instid0(VALU_DEP_1) | instskip(SKIP_4) | instid1(VALU_DEP_1)
	v_lshlrev_b32_e32 v11, 2, v6
	ds_bpermute_b32 v6, v11, v4
	ds_bpermute_b32 v7, v11, v5
	s_wait_dscnt 0x0
	v_dual_add_f64 v[4:5], v[4:5], v[6:7] :: v_dual_bitop2_b32 v6, 2, v1 bitop3:0x14
	v_cmp_gt_i32_e32 vcc_lo, 32, v6
	v_cndmask_b32_e32 v6, v1, v6, vcc_lo
	ds_bpermute_b32 v12, v11, v2
	ds_bpermute_b32 v13, v11, v3
	s_wait_dscnt 0x0
	v_dual_add_f64 v[2:3], v[2:3], v[12:13] :: v_dual_lshlrev_b32 v12, 2, v6
	ds_bpermute_b32 v6, v12, v4
	ds_bpermute_b32 v7, v12, v5
	s_wait_dscnt 0x0
	v_add_f64_e32 v[4:5], v[4:5], v[6:7]
	ds_bpermute_b32 v14, v12, v2
	ds_bpermute_b32 v15, v12, v3
	s_wait_dscnt 0x0
	v_dual_add_f64 v[6:7], v[2:3], v[14:15] :: v_dual_bitop2_b32 v2, 1, v1 bitop3:0x14
	s_delay_alu instid0(VALU_DEP_1) | instskip(SKIP_1) | instid1(VALU_DEP_1)
	v_cmp_gt_i32_e32 vcc_lo, 32, v2
	v_cndmask_b32_e32 v1, v1, v2, vcc_lo
	v_dual_lshlrev_b32 v13, 2, v1 :: v_dual_mov_b32 v1, 0
	ds_bpermute_b32 v2, v13, v4
	ds_bpermute_b32 v3, v13, v5
	;; [unrolled: 1-line block ×4, first 2 shown]
	s_wait_dscnt 0x2
	v_add_f64_e32 v[2:3], v[4:5], v[2:3]
	s_wait_dscnt 0x0
	v_add_f64_e32 v[4:5], v[6:7], v[14:15]
	s_and_saveexec_b32 s10, s1
	s_cbranch_execz .LBB35_19
; %bb.15:
	v_dual_mov_b32 v7, s3 :: v_dual_bitop2_b32 v6, s2, v0 bitop3:0x54
	s_and_not1_b32 vcc_lo, exec_lo, s9
	s_cbranch_vccnz .LBB35_17
; %bb.16:
	s_delay_alu instid0(VALU_DEP_1)
	v_lshl_add_u64 v[14:15], v[6:7], 3, s[4:5]
	global_store_b64 v[14:15], v[2:3], off
.LBB35_17:
	s_and_not1_b32 vcc_lo, exec_lo, s8
	s_cbranch_vccnz .LBB35_19
; %bb.18:
	v_lshl_add_u64 v[6:7], v[6:7], 3, s[6:7]
	global_store_b64 v[6:7], v[4:5], off
.LBB35_19:
	s_wait_xcnt 0x0
	s_or_b32 exec_lo, exec_lo, s10
	v_cmp_gt_u32_e32 vcc_lo, 0x400, v8
	s_and_b32 exec_lo, exec_lo, vcc_lo
	s_cbranch_execz .LBB35_27
; %bb.20:
	s_and_saveexec_b32 s10, s0
	s_cbranch_execz .LBB35_22
; %bb.21:
	v_add_nc_u32_e32 v2, v0, v9
	s_delay_alu instid0(VALU_DEP_1)
	v_lshl_add_u32 v4, v2, 3, 0
	ds_load_b64 v[2:3], v4 offset:256
	ds_load_b64 v[4:5], v4 offset:8576
.LBB35_22:
	s_or_b32 exec_lo, exec_lo, s10
	s_wait_dscnt 0x1
	ds_bpermute_b32 v6, v10, v2
	ds_bpermute_b32 v7, v10, v3
	s_wait_dscnt 0x2
	ds_bpermute_b32 v8, v10, v4
	ds_bpermute_b32 v9, v10, v5
	s_wait_dscnt 0x2
	v_add_f64_e32 v[2:3], v[2:3], v[6:7]
	s_wait_dscnt 0x0
	v_add_f64_e32 v[4:5], v[4:5], v[8:9]
	ds_bpermute_b32 v6, v11, v2
	ds_bpermute_b32 v7, v11, v3
	ds_bpermute_b32 v8, v11, v4
	ds_bpermute_b32 v9, v11, v5
	s_wait_dscnt 0x2
	v_add_f64_e32 v[2:3], v[2:3], v[6:7]
	s_wait_dscnt 0x0
	v_add_f64_e32 v[4:5], v[4:5], v[8:9]
	ds_bpermute_b32 v6, v12, v2
	ds_bpermute_b32 v7, v12, v3
	ds_bpermute_b32 v8, v12, v4
	ds_bpermute_b32 v9, v12, v5
	s_wait_dscnt 0x2
	v_add_f64_e32 v[6:7], v[2:3], v[6:7]
	s_wait_dscnt 0x0
	v_add_f64_e32 v[2:3], v[4:5], v[8:9]
	ds_bpermute_b32 v8, v13, v6
	ds_bpermute_b32 v9, v13, v7
	ds_bpermute_b32 v4, v13, v2
	ds_bpermute_b32 v5, v13, v3
	s_and_b32 exec_lo, exec_lo, s1
	s_cbranch_execz .LBB35_27
; %bb.23:
	v_add_nc_u64_e32 v[0:1], s[2:3], v[0:1]
	s_and_not1_b32 vcc_lo, exec_lo, s9
	s_cbranch_vccnz .LBB35_25
; %bb.24:
	s_wait_dscnt 0x2
	v_add_f64_e32 v[6:7], v[6:7], v[8:9]
	s_delay_alu instid0(VALU_DEP_2)
	v_lshl_add_u64 v[8:9], v[0:1], 3, s[4:5]
	global_store_b64 v[8:9], v[6:7], off offset:256
.LBB35_25:
	s_and_not1_b32 vcc_lo, exec_lo, s8
	s_cbranch_vccnz .LBB35_27
; %bb.26:
	s_wait_dscnt 0x0
	v_add_f64_e32 v[2:3], v[2:3], v[4:5]
	v_lshl_add_u64 v[0:1], v[0:1], 3, s[6:7]
	global_store_b64 v[0:1], v[2:3], off offset:256
.LBB35_27:
	s_endpgm
	.section	.rodata,"a",@progbits
	.p2align	6, 0x0
	.amdhsa_kernel _ZN2at6native12_GLOBAL__N_135GammaBetaBackwardCUDAKernelTemplateIddLj64ELj16ELj256ELb0ELb1ELb0EEEvllPKT_S5_PKT0_S8_PS3_S9_
		.amdhsa_group_segment_fixed_size 0
		.amdhsa_private_segment_fixed_size 0
		.amdhsa_kernarg_size 320
		.amdhsa_user_sgpr_count 2
		.amdhsa_user_sgpr_dispatch_ptr 0
		.amdhsa_user_sgpr_queue_ptr 0
		.amdhsa_user_sgpr_kernarg_segment_ptr 1
		.amdhsa_user_sgpr_dispatch_id 0
		.amdhsa_user_sgpr_kernarg_preload_length 0
		.amdhsa_user_sgpr_kernarg_preload_offset 0
		.amdhsa_user_sgpr_private_segment_size 0
		.amdhsa_wavefront_size32 1
		.amdhsa_uses_dynamic_stack 0
		.amdhsa_enable_private_segment 0
		.amdhsa_system_sgpr_workgroup_id_x 1
		.amdhsa_system_sgpr_workgroup_id_y 1
		.amdhsa_system_sgpr_workgroup_id_z 0
		.amdhsa_system_sgpr_workgroup_info 0
		.amdhsa_system_vgpr_workitem_id 1
		.amdhsa_next_free_vgpr 60
		.amdhsa_next_free_sgpr 26
		.amdhsa_named_barrier_count 0
		.amdhsa_reserve_vcc 1
		.amdhsa_float_round_mode_32 0
		.amdhsa_float_round_mode_16_64 0
		.amdhsa_float_denorm_mode_32 3
		.amdhsa_float_denorm_mode_16_64 3
		.amdhsa_fp16_overflow 0
		.amdhsa_memory_ordered 1
		.amdhsa_forward_progress 1
		.amdhsa_inst_pref_size 25
		.amdhsa_round_robin_scheduling 0
		.amdhsa_exception_fp_ieee_invalid_op 0
		.amdhsa_exception_fp_denorm_src 0
		.amdhsa_exception_fp_ieee_div_zero 0
		.amdhsa_exception_fp_ieee_overflow 0
		.amdhsa_exception_fp_ieee_underflow 0
		.amdhsa_exception_fp_ieee_inexact 0
		.amdhsa_exception_int_div_zero 0
	.end_amdhsa_kernel
	.section	.text._ZN2at6native12_GLOBAL__N_135GammaBetaBackwardCUDAKernelTemplateIddLj64ELj16ELj256ELb0ELb1ELb0EEEvllPKT_S5_PKT0_S8_PS3_S9_,"axG",@progbits,_ZN2at6native12_GLOBAL__N_135GammaBetaBackwardCUDAKernelTemplateIddLj64ELj16ELj256ELb0ELb1ELb0EEEvllPKT_S5_PKT0_S8_PS3_S9_,comdat
.Lfunc_end35:
	.size	_ZN2at6native12_GLOBAL__N_135GammaBetaBackwardCUDAKernelTemplateIddLj64ELj16ELj256ELb0ELb1ELb0EEEvllPKT_S5_PKT0_S8_PS3_S9_, .Lfunc_end35-_ZN2at6native12_GLOBAL__N_135GammaBetaBackwardCUDAKernelTemplateIddLj64ELj16ELj256ELb0ELb1ELb0EEEvllPKT_S5_PKT0_S8_PS3_S9_
                                        ; -- End function
	.set _ZN2at6native12_GLOBAL__N_135GammaBetaBackwardCUDAKernelTemplateIddLj64ELj16ELj256ELb0ELb1ELb0EEEvllPKT_S5_PKT0_S8_PS3_S9_.num_vgpr, 60
	.set _ZN2at6native12_GLOBAL__N_135GammaBetaBackwardCUDAKernelTemplateIddLj64ELj16ELj256ELb0ELb1ELb0EEEvllPKT_S5_PKT0_S8_PS3_S9_.num_agpr, 0
	.set _ZN2at6native12_GLOBAL__N_135GammaBetaBackwardCUDAKernelTemplateIddLj64ELj16ELj256ELb0ELb1ELb0EEEvllPKT_S5_PKT0_S8_PS3_S9_.numbered_sgpr, 26
	.set _ZN2at6native12_GLOBAL__N_135GammaBetaBackwardCUDAKernelTemplateIddLj64ELj16ELj256ELb0ELb1ELb0EEEvllPKT_S5_PKT0_S8_PS3_S9_.num_named_barrier, 0
	.set _ZN2at6native12_GLOBAL__N_135GammaBetaBackwardCUDAKernelTemplateIddLj64ELj16ELj256ELb0ELb1ELb0EEEvllPKT_S5_PKT0_S8_PS3_S9_.private_seg_size, 0
	.set _ZN2at6native12_GLOBAL__N_135GammaBetaBackwardCUDAKernelTemplateIddLj64ELj16ELj256ELb0ELb1ELb0EEEvllPKT_S5_PKT0_S8_PS3_S9_.uses_vcc, 1
	.set _ZN2at6native12_GLOBAL__N_135GammaBetaBackwardCUDAKernelTemplateIddLj64ELj16ELj256ELb0ELb1ELb0EEEvllPKT_S5_PKT0_S8_PS3_S9_.uses_flat_scratch, 0
	.set _ZN2at6native12_GLOBAL__N_135GammaBetaBackwardCUDAKernelTemplateIddLj64ELj16ELj256ELb0ELb1ELb0EEEvllPKT_S5_PKT0_S8_PS3_S9_.has_dyn_sized_stack, 0
	.set _ZN2at6native12_GLOBAL__N_135GammaBetaBackwardCUDAKernelTemplateIddLj64ELj16ELj256ELb0ELb1ELb0EEEvllPKT_S5_PKT0_S8_PS3_S9_.has_recursion, 0
	.set _ZN2at6native12_GLOBAL__N_135GammaBetaBackwardCUDAKernelTemplateIddLj64ELj16ELj256ELb0ELb1ELb0EEEvllPKT_S5_PKT0_S8_PS3_S9_.has_indirect_call, 0
	.section	.AMDGPU.csdata,"",@progbits
; Kernel info:
; codeLenInByte = 3116
; TotalNumSgprs: 28
; NumVgprs: 60
; ScratchSize: 0
; MemoryBound: 0
; FloatMode: 240
; IeeeMode: 1
; LDSByteSize: 0 bytes/workgroup (compile time only)
; SGPRBlocks: 0
; VGPRBlocks: 3
; NumSGPRsForWavesPerEU: 28
; NumVGPRsForWavesPerEU: 60
; NamedBarCnt: 0
; Occupancy: 16
; WaveLimiterHint : 0
; COMPUTE_PGM_RSRC2:SCRATCH_EN: 0
; COMPUTE_PGM_RSRC2:USER_SGPR: 2
; COMPUTE_PGM_RSRC2:TRAP_HANDLER: 0
; COMPUTE_PGM_RSRC2:TGID_X_EN: 1
; COMPUTE_PGM_RSRC2:TGID_Y_EN: 1
; COMPUTE_PGM_RSRC2:TGID_Z_EN: 0
; COMPUTE_PGM_RSRC2:TIDIG_COMP_CNT: 1
	.section	.text._ZN2at6native12_GLOBAL__N_135GammaBetaBackwardCUDAKernelTemplateIddLj64ELj16ELj256ELb0ELb0ELb0EEEvllPKT_S5_PKT0_S8_PS3_S9_,"axG",@progbits,_ZN2at6native12_GLOBAL__N_135GammaBetaBackwardCUDAKernelTemplateIddLj64ELj16ELj256ELb0ELb0ELb0EEEvllPKT_S5_PKT0_S8_PS3_S9_,comdat
	.globl	_ZN2at6native12_GLOBAL__N_135GammaBetaBackwardCUDAKernelTemplateIddLj64ELj16ELj256ELb0ELb0ELb0EEEvllPKT_S5_PKT0_S8_PS3_S9_ ; -- Begin function _ZN2at6native12_GLOBAL__N_135GammaBetaBackwardCUDAKernelTemplateIddLj64ELj16ELj256ELb0ELb0ELb0EEEvllPKT_S5_PKT0_S8_PS3_S9_
	.p2align	8
	.type	_ZN2at6native12_GLOBAL__N_135GammaBetaBackwardCUDAKernelTemplateIddLj64ELj16ELj256ELb0ELb0ELb0EEEvllPKT_S5_PKT0_S8_PS3_S9_,@function
_ZN2at6native12_GLOBAL__N_135GammaBetaBackwardCUDAKernelTemplateIddLj64ELj16ELj256ELb0ELb0ELb0EEEvllPKT_S5_PKT0_S8_PS3_S9_: ; @_ZN2at6native12_GLOBAL__N_135GammaBetaBackwardCUDAKernelTemplateIddLj64ELj16ELj256ELb0ELb0ELb0EEEvllPKT_S5_PKT0_S8_PS3_S9_
; %bb.0:
	s_load_b256 s[4:11], s[0:1], 0x0
	s_bfe_u32 s3, ttmp6, 0x4000c
	s_bfe_u32 s12, ttmp6, 0x40010
	s_add_co_i32 s3, s3, 1
	s_add_co_i32 s12, s12, 1
	s_and_b32 s2, ttmp6, 15
	s_bfe_u32 s13, ttmp6, 0x40004
	s_mul_i32 s3, ttmp9, s3
	s_mul_i32 s12, ttmp7, s12
	s_getreg_b32 s14, hwreg(HW_REG_IB_STS2, 6, 4)
	s_add_co_i32 s2, s2, s3
	s_add_co_i32 s3, s13, s12
	s_cmp_eq_u32 s14, 0
	s_mov_b32 s19, 0
	s_cselect_b32 s16, ttmp9, s2
	s_cselect_b32 s2, ttmp7, s3
	s_lshl_b32 s17, s16, 6
	s_load_b128 s[12:15], s[0:1], 0x20
	s_or_b32 s18, s17, 63
	s_wait_kmcnt 0x0
	v_cmp_le_i64_e64 s20, s[6:7], s[18:19]
	s_lshl_b32 s18, s2, 8
	s_delay_alu instid0(SALU_CYCLE_1) | instskip(SKIP_2) | instid1(VALU_DEP_1)
	v_cmp_gt_i64_e64 s3, s[4:5], s[18:19]
	s_and_b32 vcc_lo, exec_lo, s20
	v_cndmask_b32_e64 v1, 0, 1, s3
	v_cmp_ne_u32_e64 s2, 1, v1
	s_cbranch_vccz .LBB36_81
; %bb.1:
	v_mov_b64_e32 v[2:3], 0
	v_mov_b64_e32 v[64:65], 0
	s_and_b32 vcc_lo, exec_lo, s2
	scratch_store_b64 off, v[2:3], off      ; 8-byte Folded Spill
	s_cbranch_vccnz .LBB36_83
; %bb.2:
	v_bfe_u32 v1, v0, 10, 10
	s_wait_xcnt 0x0
	v_mov_b32_e32 v2, 0
	scratch_store_b32 off, v0, off offset:344 ; 4-byte Folded Spill
	s_wait_xcnt 0x0
	v_and_b32_e32 v0, 0x3ff, v0
	s_load_b32 s20, s[0:1], 0x44
	v_dual_mov_b32 v5, v2 :: v_dual_lshlrev_b32 v4, 4, v1
	s_delay_alu instid0(VALU_DEP_2)
	v_dual_mov_b32 v23, v2 :: v_dual_add_nc_u32 v22, s17, v0
	s_clause 0x2
	scratch_store_b32 off, v1, off offset:88
	scratch_store_b32 off, v0, off offset:104
	scratch_store_b64 off, v[4:5], off offset:96
	v_add_nc_u64_e32 v[34:35], s[18:19], v[4:5]
	v_cmp_gt_i64_e64 s2, s[6:7], v[22:23]
	v_lshlrev_b64_e32 v[40:41], 3, v[22:23]
	s_mov_b32 s21, 0
	s_mov_b64 s[24:25], 0xffffffffffffff01
	s_mov_b32 s23, s21
	s_mov_b64 s[26:27], 0xffffffffffffff02
	s_wait_xcnt 0x0
	v_mul_u64_e32 v[4:5], s[6:7], v[34:35]
	v_add_nc_u64_e32 v[6:7], 15, v[34:35]
	v_add_nc_u64_e32 v[8:9], 14, v[34:35]
	;; [unrolled: 1-line block ×7, first 2 shown]
	v_mul_u64_e32 v[6:7], s[6:7], v[6:7]
	v_mul_u64_e32 v[8:9], s[6:7], v[8:9]
	v_add_nc_u64_e32 v[20:21], 8, v[34:35]
	v_add_nc_u64_e32 v[24:25], 7, v[34:35]
	;; [unrolled: 1-line block ×7, first 2 shown]
	v_mul_u64_e32 v[10:11], s[6:7], v[10:11]
	v_mul_u64_e32 v[24:25], s[6:7], v[24:25]
	;; [unrolled: 1-line block ×12, first 2 shown]
	s_wait_kmcnt 0x0
	s_lshl_b32 s22, s20, 8
	s_mov_b64 s[28:29], 0xffffffffffffff03
	s_mul_u64 s[60:61], s[6:7], s[22:23]
	v_lshlrev_b64_e32 v[34:35], 3, v[4:5]
	v_add_nc_u64_e32 v[4:5], s[6:7], v[4:5]
	s_mov_b64 s[30:31], 0xffffffffffffff04
	s_mov_b64 s[34:35], 0xffffffffffffff05
	;; [unrolled: 1-line block ×5, first 2 shown]
	v_add_nc_u64_e32 v[32:33], s[8:9], v[34:35]
	v_lshlrev_b64_e32 v[4:5], 3, v[4:5]
	v_lshlrev_b64_e32 v[6:7], 3, v[6:7]
	;; [unrolled: 1-line block ×3, first 2 shown]
	s_mov_b64 s[42:43], 0xffffffffffffff09
	s_mov_b64 s[44:45], 0xffffffffffffff0a
	;; [unrolled: 1-line block ×4, first 2 shown]
	v_add_nc_u64_e32 v[104:105], s[8:9], v[4:5]
	v_add_nc_u64_e32 v[106:107], s[10:11], v[4:5]
	v_mov_b64_e32 v[4:5], 0
	scratch_store_b64 off, v[32:33], off offset:8 ; 8-byte Folded Spill
	s_wait_xcnt 0x0
	v_add_nc_u64_e32 v[32:33], s[10:11], v[34:35]
	v_lshlrev_b64_e32 v[10:11], 3, v[10:11]
	s_mov_b64 s[50:51], 0xffffffffffffff0d
	s_mov_b64 s[52:53], 0xffffffffffffff0e
	v_lshlrev_b64_e32 v[12:13], 3, v[12:13]
	v_lshlrev_b64_e32 v[14:15], 3, v[14:15]
	;; [unrolled: 1-line block ×3, first 2 shown]
	scratch_store_b64 off, v[32:33], off offset:16 ; 8-byte Folded Spill
	s_wait_xcnt 0x0
	v_add_nc_u64_e32 v[32:33], s[8:9], v[6:7]
	v_add_nc_u64_e32 v[6:7], s[10:11], v[6:7]
	v_lshlrev_b64_e32 v[18:19], 3, v[18:19]
	v_lshlrev_b64_e32 v[20:21], 3, v[20:21]
	;; [unrolled: 1-line block ×3, first 2 shown]
	v_add_nc_u64_e32 v[58:59], s[8:9], v[12:13]
	v_add_nc_u64_e32 v[60:61], s[10:11], v[12:13]
	s_clause 0x1
	scratch_store_b64 off, v[32:33], off offset:24
	scratch_store_b64 off, v[6:7], off offset:32
	s_wait_xcnt 0x0
	v_add_nc_u64_e32 v[6:7], s[8:9], v[8:9]
	v_add_nc_u64_e32 v[62:63], s[8:9], v[14:15]
	;; [unrolled: 1-line block ×7, first 2 shown]
	scratch_store_b64 off, v[6:7], off offset:40 ; 8-byte Folded Spill
	s_wait_xcnt 0x0
	v_add_nc_u64_e32 v[6:7], s[10:11], v[8:9]
	v_lshlrev_b64_e32 v[8:9], 3, v[26:27]
	v_add_nc_u64_e32 v[76:77], s[8:9], v[20:21]
	v_add_nc_u64_e32 v[78:79], s[10:11], v[20:21]
	;; [unrolled: 1-line block ×4, first 2 shown]
	v_mov_b64_e32 v[0:1], 0
	scratch_store_b64 off, v[6:7], off offset:48 ; 8-byte Folded Spill
	s_wait_xcnt 0x0
	v_add_nc_u64_e32 v[6:7], s[8:9], v[10:11]
	v_add_nc_u64_e32 v[84:85], s[8:9], v[8:9]
	;; [unrolled: 1-line block ×3, first 2 shown]
	v_lshlrev_b64_e32 v[8:9], 3, v[30:31]
	s_mov_b64 s[54:55], 0xffffffffffffff0f
	s_mov_b64 s[56:57], 0xffffffffffffff10
	s_add_nc_u64 s[58:59], s[0:1], 64
	scratch_store_b64 off, v[6:7], off offset:56 ; 8-byte Folded Spill
	s_wait_xcnt 0x0
	v_add_nc_u64_e32 v[6:7], s[10:11], v[10:11]
	v_lshlrev_b64_e32 v[10:11], 3, v[22:23]
	v_add_nc_u64_e32 v[96:97], s[8:9], v[8:9]
	v_add_nc_u64_e32 v[98:99], s[10:11], v[8:9]
	s_lshl_b64 s[60:61], s[60:61], 3
	s_add_nc_u64 s[62:63], s[18:19], 0xff
	s_mov_b64 s[64:65], s[18:19]
	scratch_store_b64 off, v[6:7], off offset:64 ; 8-byte Folded Spill
	s_wait_xcnt 0x0
	v_lshlrev_b64_e32 v[6:7], 3, v[24:25]
	v_add_nc_u64_e32 v[88:89], s[8:9], v[10:11]
	v_add_nc_u64_e32 v[90:91], s[10:11], v[10:11]
	scratch_store_b64 off, v[4:5], off      ; 8-byte Folded Spill
	v_add_nc_u64_e32 v[80:81], s[8:9], v[6:7]
	v_add_nc_u64_e32 v[82:83], s[10:11], v[6:7]
	v_lshlrev_b64_e32 v[6:7], 3, v[28:29]
	s_delay_alu instid0(VALU_DEP_1)
	v_add_nc_u64_e32 v[92:93], s[8:9], v[6:7]
	v_add_nc_u64_e32 v[94:95], s[10:11], v[6:7]
.LBB36_3:                               ; =>This Inner Loop Header: Depth=1
	scratch_load_b64 v[4:5], off, off offset:96 ; 8-byte Folded Reload
	v_cmp_ge_i64_e64 s20, s[62:63], s[4:5]
                                        ; implicit-def: $vgpr38_vgpr39
                                        ; implicit-def: $vgpr54_vgpr55
                                        ; implicit-def: $vgpr64_vgpr65
	s_and_b32 vcc_lo, exec_lo, s20
	s_mov_b32 s20, -1
	s_wait_loadcnt 0x0
	v_add_nc_u64_e32 v[36:37], s[62:63], v[4:5]
                                        ; implicit-def: $vgpr4_vgpr5_vgpr6_vgpr7_vgpr8_vgpr9_vgpr10_vgpr11_vgpr12_vgpr13_vgpr14_vgpr15_vgpr16_vgpr17_vgpr18_vgpr19_vgpr20_vgpr21_vgpr22_vgpr23_vgpr24_vgpr25_vgpr26_vgpr27_vgpr28_vgpr29_vgpr30_vgpr31_vgpr32_vgpr33_vgpr34_vgpr35
                                        ; implicit-def: $vgpr6
                                        ; implicit-def: $vgpr4_vgpr5
	s_cbranch_vccz .LBB36_41
; %bb.4:                                ;   in Loop: Header=BB36_3 Depth=1
	s_load_b32 s20, s[58:59], 0xc
	s_clause 0x1
	scratch_load_b32 v3, off, off offset:88
	scratch_load_b32 v4, off, off offset:104
	v_mov_b64_e32 v[44:45], 0
	v_mov_b64_e32 v[110:111], 0
	;; [unrolled: 1-line block ×3, first 2 shown]
	s_wait_kmcnt 0x0
	s_and_b32 s20, s20, 0xffff
	s_wait_loadcnt 0x0
	v_mad_u32_u24 v3, v3, s20, v4
	s_mov_b32 s20, exec_lo
	s_delay_alu instid0(VALU_DEP_1) | instskip(SKIP_1) | instid1(VALU_DEP_1)
	v_and_b32_e32 v4, 31, v3
	s_wait_xcnt 0x0
	v_cmpx_gt_u32_e32 16, v4
	s_cbranch_execz .LBB36_8
; %bb.5:                                ;   in Loop: Header=BB36_3 Depth=1
	v_mov_b32_e32 v5, v2
	v_mov_b64_e32 v[108:109], 0
	v_mov_b64_e32 v[110:111], 0
	s_mov_b32 s33, exec_lo
	s_delay_alu instid0(VALU_DEP_3) | instskip(NEXT) | instid1(VALU_DEP_1)
	v_add_nc_u64_e32 v[4:5], v[36:37], v[4:5]
	v_add_nc_u64_e32 v[4:5], s[24:25], v[4:5]
	s_delay_alu instid0(VALU_DEP_1)
	v_cmpx_gt_i64_e64 s[4:5], v[4:5]
	s_cbranch_execz .LBB36_7
; %bb.6:                                ;   in Loop: Header=BB36_3 Depth=1
	v_lshlrev_b64_e32 v[4:5], 3, v[4:5]
	s_delay_alu instid0(VALU_DEP_1)
	v_add_nc_u64_e32 v[6:7], s[12:13], v[4:5]
	v_add_nc_u64_e32 v[4:5], s[14:15], v[4:5]
	global_load_b64 v[108:109], v[6:7], off
	global_load_b64 v[110:111], v[4:5], off
.LBB36_7:                               ;   in Loop: Header=BB36_3 Depth=1
	s_wait_xcnt 0x0
	s_or_b32 exec_lo, exec_lo, s33
.LBB36_8:                               ;   in Loop: Header=BB36_3 Depth=1
	s_delay_alu instid0(SALU_CYCLE_1)
	s_or_b32 exec_lo, exec_lo, s20
	v_add_nc_u64_e32 v[34:35], s[24:25], v[36:37]
	v_dual_mov_b32 v31, v2 :: v_dual_mov_b32 v32, v2
	v_dual_mov_b32 v33, v2 :: v_dual_mov_b32 v3, v2
	;; [unrolled: 1-line block ×15, first 2 shown]
	v_mov_b32_e32 v30, v2
	v_cmp_gt_i64_e32 vcc_lo, s[4:5], v[34:35]
	v_mov_b64_e32 v[34:35], v[32:33]
	s_delay_alu instid0(VALU_DEP_3)
	v_mov_b64_e32 v[32:33], v[30:31]
	v_mov_b64_e32 v[30:31], v[28:29]
	;; [unrolled: 1-line block ×15, first 2 shown]
	s_and_b32 s33, s2, vcc_lo
	s_delay_alu instid0(SALU_CYCLE_1)
	s_and_saveexec_b32 s20, s33
	s_cbranch_execz .LBB36_10
; %bb.9:                                ;   in Loop: Header=BB36_3 Depth=1
	s_clause 0x1
	scratch_load_b64 v[4:5], off, off offset:8
	scratch_load_b64 v[6:7], off, off offset:16
	v_dual_mov_b32 v8, v2 :: v_dual_mov_b32 v9, v2
	v_dual_mov_b32 v10, v2 :: v_dual_mov_b32 v11, v2
	;; [unrolled: 1-line block ×14, first 2 shown]
	s_wait_loadcnt 0x1
	v_add_nc_u64_e32 v[4:5], v[4:5], v[40:41]
	s_wait_loadcnt 0x0
	v_add_nc_u64_e32 v[6:7], v[6:7], v[40:41]
	global_load_b64 v[4:5], v[4:5], off
	global_load_b64 v[44:45], v[6:7], off
	s_wait_xcnt 0x0
	v_dual_mov_b32 v6, v2 :: v_dual_mov_b32 v7, v2
.LBB36_10:                              ;   in Loop: Header=BB36_3 Depth=1
	s_or_b32 exec_lo, exec_lo, s20
	v_add_nc_u64_e32 v[38:39], s[26:27], v[36:37]
	v_mov_b64_e32 v[126:127], 0
	v_mov_b64_e32 v[64:65], 0
	s_delay_alu instid0(VALU_DEP_3) | instskip(SKIP_1) | instid1(SALU_CYCLE_1)
	v_cmp_gt_i64_e32 vcc_lo, s[4:5], v[38:39]
	s_and_b32 s33, s2, vcc_lo
	s_and_saveexec_b32 s20, s33
	s_cbranch_execz .LBB36_12
; %bb.11:                               ;   in Loop: Header=BB36_3 Depth=1
	v_add_nc_u64_e32 v[6:7], v[104:105], v[40:41]
	v_add_nc_u64_e32 v[38:39], v[106:107], v[40:41]
	global_load_b64 v[6:7], v[6:7], off
	global_load_b64 v[64:65], v[38:39], off
.LBB36_12:                              ;   in Loop: Header=BB36_3 Depth=1
	s_wait_xcnt 0x0
	s_or_b32 exec_lo, exec_lo, s20
	v_add_nc_u64_e32 v[38:39], s[28:29], v[36:37]
	s_delay_alu instid0(VALU_DEP_1) | instskip(SKIP_1) | instid1(SALU_CYCLE_1)
	v_cmp_gt_i64_e32 vcc_lo, s[4:5], v[38:39]
	s_and_b32 s33, s2, vcc_lo
	s_and_saveexec_b32 s20, s33
	s_cbranch_execz .LBB36_14
; %bb.13:                               ;   in Loop: Header=BB36_3 Depth=1
	v_add_nc_u64_e32 v[8:9], v[100:101], v[40:41]
	v_add_nc_u64_e32 v[38:39], v[102:103], v[40:41]
	global_load_b64 v[8:9], v[8:9], off
	global_load_b64 v[126:127], v[38:39], off
.LBB36_14:                              ;   in Loop: Header=BB36_3 Depth=1
	s_wait_xcnt 0x0
	s_or_b32 exec_lo, exec_lo, s20
	v_add_nc_u64_e32 v[38:39], s[30:31], v[36:37]
	v_mov_b64_e32 v[46:47], 0
	s_delay_alu instid0(VALU_DEP_2)
	v_cmp_gt_i64_e32 vcc_lo, s[4:5], v[38:39]
	v_mov_b64_e32 v[38:39], 0
	s_and_b32 s33, s2, vcc_lo
	scratch_store_b64 off, v[38:39], off offset:80 ; 8-byte Folded Spill
	s_wait_xcnt 0x0
	s_and_saveexec_b32 s20, s33
	s_cbranch_execz .LBB36_16
; %bb.15:                               ;   in Loop: Header=BB36_3 Depth=1
	v_add_nc_u64_e32 v[10:11], v[96:97], v[40:41]
	v_add_nc_u64_e32 v[38:39], v[98:99], v[40:41]
	global_load_b64 v[10:11], v[10:11], off
	global_load_b64 v[38:39], v[38:39], off
	s_wait_loadcnt 0x0
	scratch_store_b64 off, v[38:39], off offset:80 ; 8-byte Folded Spill
.LBB36_16:                              ;   in Loop: Header=BB36_3 Depth=1
	s_wait_xcnt 0x0
	s_or_b32 exec_lo, exec_lo, s20
	v_add_nc_u64_e32 v[38:39], s[34:35], v[36:37]
	s_delay_alu instid0(VALU_DEP_1) | instskip(SKIP_1) | instid1(SALU_CYCLE_1)
	v_cmp_gt_i64_e32 vcc_lo, s[4:5], v[38:39]
	s_and_b32 s33, s2, vcc_lo
	s_and_saveexec_b32 s20, s33
	s_cbranch_execz .LBB36_18
; %bb.17:                               ;   in Loop: Header=BB36_3 Depth=1
	v_add_nc_u64_e32 v[12:13], v[92:93], v[40:41]
	v_add_nc_u64_e32 v[38:39], v[94:95], v[40:41]
	global_load_b64 v[12:13], v[12:13], off
	global_load_b64 v[46:47], v[38:39], off
.LBB36_18:                              ;   in Loop: Header=BB36_3 Depth=1
	s_wait_xcnt 0x0
	s_or_b32 exec_lo, exec_lo, s20
	v_add_nc_u64_e32 v[38:39], s[36:37], v[36:37]
	v_mov_b64_e32 v[50:51], 0
	s_delay_alu instid0(VALU_DEP_2)
	v_cmp_gt_i64_e32 vcc_lo, s[4:5], v[38:39]
	v_mov_b64_e32 v[38:39], 0
	s_and_b32 s33, s2, vcc_lo
	scratch_store_b64 off, v[38:39], off offset:72 ; 8-byte Folded Spill
	s_wait_xcnt 0x0
	s_and_saveexec_b32 s20, s33
	s_cbranch_execz .LBB36_20
; %bb.19:                               ;   in Loop: Header=BB36_3 Depth=1
	v_add_nc_u64_e32 v[14:15], v[88:89], v[40:41]
	v_add_nc_u64_e32 v[38:39], v[90:91], v[40:41]
	global_load_b64 v[14:15], v[14:15], off
	global_load_b64 v[50:51], v[38:39], off
.LBB36_20:                              ;   in Loop: Header=BB36_3 Depth=1
	s_wait_xcnt 0x0
	s_or_b32 exec_lo, exec_lo, s20
	v_add_nc_u64_e32 v[38:39], s[38:39], v[36:37]
	s_delay_alu instid0(VALU_DEP_1) | instskip(SKIP_1) | instid1(SALU_CYCLE_1)
	v_cmp_gt_i64_e32 vcc_lo, s[4:5], v[38:39]
	s_and_b32 s33, s2, vcc_lo
	s_and_saveexec_b32 s20, s33
	s_cbranch_execz .LBB36_22
; %bb.21:                               ;   in Loop: Header=BB36_3 Depth=1
	v_add_nc_u64_e32 v[16:17], v[84:85], v[40:41]
	v_add_nc_u64_e32 v[38:39], v[86:87], v[40:41]
	global_load_b64 v[16:17], v[16:17], off
	global_load_b64 v[38:39], v[38:39], off
	s_wait_loadcnt 0x0
	scratch_store_b64 off, v[38:39], off offset:72 ; 8-byte Folded Spill
.LBB36_22:                              ;   in Loop: Header=BB36_3 Depth=1
	s_wait_xcnt 0x0
	s_or_b32 exec_lo, exec_lo, s20
	v_add_nc_u64_e32 v[38:39], s[40:41], v[36:37]
	v_mov_b64_e32 v[112:113], 0
	v_mov_b64_e32 v[48:49], 0
	s_delay_alu instid0(VALU_DEP_3) | instskip(SKIP_1) | instid1(SALU_CYCLE_1)
	v_cmp_gt_i64_e32 vcc_lo, s[4:5], v[38:39]
	s_and_b32 s33, s2, vcc_lo
	s_and_saveexec_b32 s20, s33
	s_cbranch_execz .LBB36_24
; %bb.23:                               ;   in Loop: Header=BB36_3 Depth=1
	v_add_nc_u64_e32 v[18:19], v[80:81], v[40:41]
	v_add_nc_u64_e32 v[38:39], v[82:83], v[40:41]
	global_load_b64 v[18:19], v[18:19], off
	global_load_b64 v[48:49], v[38:39], off
.LBB36_24:                              ;   in Loop: Header=BB36_3 Depth=1
	s_wait_xcnt 0x0
	s_or_b32 exec_lo, exec_lo, s20
	v_add_nc_u64_e32 v[38:39], s[42:43], v[36:37]
	s_delay_alu instid0(VALU_DEP_1) | instskip(SKIP_1) | instid1(SALU_CYCLE_1)
	v_cmp_gt_i64_e32 vcc_lo, s[4:5], v[38:39]
	s_and_b32 s33, s2, vcc_lo
	s_and_saveexec_b32 s20, s33
	s_cbranch_execz .LBB36_26
; %bb.25:                               ;   in Loop: Header=BB36_3 Depth=1
	v_add_nc_u64_e32 v[20:21], v[76:77], v[40:41]
	v_add_nc_u64_e32 v[38:39], v[78:79], v[40:41]
	global_load_b64 v[20:21], v[20:21], off
	global_load_b64 v[112:113], v[38:39], off
.LBB36_26:                              ;   in Loop: Header=BB36_3 Depth=1
	s_wait_xcnt 0x0
	s_or_b32 exec_lo, exec_lo, s20
	v_add_nc_u64_e32 v[38:39], s[44:45], v[36:37]
	v_mov_b64_e32 v[52:53], 0
	v_mov_b64_e32 v[118:119], 0
	s_delay_alu instid0(VALU_DEP_3) | instskip(SKIP_1) | instid1(SALU_CYCLE_1)
	v_cmp_gt_i64_e32 vcc_lo, s[4:5], v[38:39]
	s_and_b32 s33, s2, vcc_lo
	s_and_saveexec_b32 s20, s33
	s_cbranch_execz .LBB36_28
; %bb.27:                               ;   in Loop: Header=BB36_3 Depth=1
	v_add_nc_u64_e32 v[22:23], v[72:73], v[40:41]
	v_add_nc_u64_e32 v[42:43], v[74:75], v[40:41]
	global_load_b64 v[22:23], v[22:23], off
	global_load_b64 v[118:119], v[42:43], off
.LBB36_28:                              ;   in Loop: Header=BB36_3 Depth=1
	s_wait_xcnt 0x0
	s_or_b32 exec_lo, exec_lo, s20
	v_add_nc_u64_e32 v[42:43], s[46:47], v[36:37]
	s_delay_alu instid0(VALU_DEP_1) | instskip(SKIP_1) | instid1(SALU_CYCLE_1)
	v_cmp_gt_i64_e32 vcc_lo, s[4:5], v[42:43]
	s_and_b32 s33, s2, vcc_lo
	s_and_saveexec_b32 s20, s33
	s_cbranch_execz .LBB36_30
; %bb.29:                               ;   in Loop: Header=BB36_3 Depth=1
	v_add_nc_u64_e32 v[24:25], v[68:69], v[40:41]
	v_add_nc_u64_e32 v[38:39], v[70:71], v[40:41]
	global_load_b64 v[24:25], v[24:25], off
	global_load_b64 v[52:53], v[38:39], off
.LBB36_30:                              ;   in Loop: Header=BB36_3 Depth=1
	;; [unrolled: 30-line block ×3, first 2 shown]
	s_wait_xcnt 0x0
	s_or_b32 exec_lo, exec_lo, s20
	v_add_nc_u64_e32 v[42:43], s[52:53], v[36:37]
	v_mov_b64_e32 v[120:121], 0
	v_mov_b64_e32 v[124:125], 0
	s_delay_alu instid0(VALU_DEP_3) | instskip(SKIP_1) | instid1(SALU_CYCLE_1)
	v_cmp_gt_i64_e32 vcc_lo, s[4:5], v[42:43]
	s_and_b32 s33, s2, vcc_lo
	s_and_saveexec_b32 s20, s33
	s_cbranch_execz .LBB36_36
; %bb.35:                               ;   in Loop: Header=BB36_3 Depth=1
	s_clause 0x1
	scratch_load_b64 v[30:31], off, off offset:56
	scratch_load_b64 v[38:39], off, off offset:64
	s_wait_loadcnt 0x1
	v_add_nc_u64_e32 v[30:31], v[30:31], v[40:41]
	s_wait_loadcnt 0x0
	v_add_nc_u64_e32 v[42:43], v[38:39], v[40:41]
	global_load_b64 v[30:31], v[30:31], off
	global_load_b64 v[124:125], v[42:43], off
.LBB36_36:                              ;   in Loop: Header=BB36_3 Depth=1
	s_wait_xcnt 0x0
	s_or_b32 exec_lo, exec_lo, s20
	v_add_nc_u64_e32 v[42:43], s[54:55], v[36:37]
	s_delay_alu instid0(VALU_DEP_1) | instskip(SKIP_1) | instid1(SALU_CYCLE_1)
	v_cmp_gt_i64_e32 vcc_lo, s[4:5], v[42:43]
	s_and_b32 s33, s2, vcc_lo
	s_and_saveexec_b32 s20, s33
	s_cbranch_execz .LBB36_38
; %bb.37:                               ;   in Loop: Header=BB36_3 Depth=1
	s_clause 0x1
	scratch_load_b64 v[32:33], off, off offset:40
	scratch_load_b64 v[38:39], off, off offset:48
	s_wait_loadcnt 0x1
	v_add_nc_u64_e32 v[32:33], v[32:33], v[40:41]
	s_wait_loadcnt 0x0
	v_add_nc_u64_e32 v[42:43], v[38:39], v[40:41]
	global_load_b64 v[32:33], v[32:33], off
	global_load_b64 v[120:121], v[42:43], off
.LBB36_38:                              ;   in Loop: Header=BB36_3 Depth=1
	s_wait_xcnt 0x0
	s_or_b32 exec_lo, exec_lo, s20
	v_add_nc_u64_e32 v[42:43], s[56:57], v[36:37]
	s_wait_loadcnt 0x0
	v_mov_b64_e32 v[38:39], v[46:47]
	v_mov_b64_e32 v[54:55], 0
	s_delay_alu instid0(VALU_DEP_3) | instskip(SKIP_1) | instid1(SALU_CYCLE_1)
	v_cmp_gt_i64_e32 vcc_lo, s[4:5], v[42:43]
	s_and_b32 s33, s2, vcc_lo
	s_and_saveexec_b32 s20, s33
	s_cbranch_execz .LBB36_40
; %bb.39:                               ;   in Loop: Header=BB36_3 Depth=1
	s_clause 0x1
	scratch_load_b64 v[34:35], off, off offset:24
	scratch_load_b64 v[42:43], off, off offset:32
	s_wait_loadcnt 0x1
	v_add_nc_u64_e32 v[34:35], v[34:35], v[40:41]
	s_wait_loadcnt 0x0
	v_add_nc_u64_e32 v[42:43], v[42:43], v[40:41]
	global_load_b64 v[34:35], v[34:35], off
	global_load_b64 v[54:55], v[42:43], off
.LBB36_40:                              ;   in Loop: Header=BB36_3 Depth=1
	s_wait_xcnt 0x0
	s_or_b32 exec_lo, exec_lo, s20
	ds_bpermute_b32 v42, v2, v108
	ds_bpermute_b32 v43, v2, v109
	ds_bpermute_b32 v46, v2, v108 offset:8
	ds_bpermute_b32 v47, v2, v109 offset:8
	s_mov_b32 s20, 0
	scratch_load_b64 v[114:115], off, off offset:80 th:TH_LOAD_LU ; 8-byte Folded Reload
	s_wait_dscnt 0x2
	v_add_f64_e64 v[42:43], v[44:45], -v[42:43]
	ds_bpermute_b32 v44, v2, v108 offset:4
	ds_bpermute_b32 v45, v2, v109 offset:4
	s_wait_dscnt 0x2
	v_add_f64_e64 v[46:47], v[126:127], -v[46:47]
	ds_bpermute_b32 v126, v2, v110 offset:4
	ds_bpermute_b32 v127, v2, v111 offset:4
	s_wait_dscnt 0x2
	v_add_f64_e64 v[44:45], v[64:65], -v[44:45]
	ds_bpermute_b32 v64, v2, v110
	ds_bpermute_b32 v65, v2, v111
	v_mul_f64_e32 v[42:43], v[4:5], v[42:43]
	v_mul_f64_e32 v[46:47], v[8:9], v[46:47]
	;; [unrolled: 1-line block ×3, first 2 shown]
	s_wait_dscnt 0x0
	s_delay_alu instid0(VALU_DEP_3)
	v_fma_f64 v[64:65], v[42:43], v[64:65], v[0:1]
	scratch_load_b64 v[42:43], off, off     ; 8-byte Folded Reload
	v_fmac_f64_e32 v[64:65], v[44:45], v[126:127]
	ds_bpermute_b32 v44, v2, v110 offset:8
	ds_bpermute_b32 v45, v2, v111 offset:8
	s_wait_dscnt 0x0
	v_fmac_f64_e32 v[64:65], v[46:47], v[44:45]
	ds_bpermute_b32 v44, v2, v110 offset:12
	ds_bpermute_b32 v45, v2, v111 offset:12
	s_wait_loadcnt 0x0
	v_add_f64_e32 v[4:5], v[42:43], v[4:5]
	ds_bpermute_b32 v42, v2, v108 offset:12
	ds_bpermute_b32 v43, v2, v109 offset:12
	s_wait_dscnt 0x0
	v_add_f64_e64 v[42:43], v[114:115], -v[42:43]
	v_add_f64_e32 v[4:5], v[6:7], v[4:5]
	ds_bpermute_b32 v6, v2, v108 offset:16
	ds_bpermute_b32 v7, v2, v109 offset:16
	s_wait_dscnt 0x0
	v_add_f64_e64 v[6:7], v[38:39], -v[6:7]
	scratch_load_b64 v[38:39], off, off offset:72 th:TH_LOAD_LU ; 8-byte Folded Reload
	v_mul_f64_e32 v[42:43], v[10:11], v[42:43]
	v_add_f64_e32 v[4:5], v[8:9], v[4:5]
	ds_bpermute_b32 v8, v2, v108 offset:20
	ds_bpermute_b32 v9, v2, v109 offset:20
	s_wait_dscnt 0x0
	v_add_f64_e64 v[8:9], v[50:51], -v[8:9]
	v_mul_f64_e32 v[6:7], v[12:13], v[6:7]
	v_fmac_f64_e32 v[64:65], v[42:43], v[44:45]
	ds_bpermute_b32 v42, v2, v110 offset:16
	ds_bpermute_b32 v43, v2, v111 offset:16
	v_add_f64_e32 v[4:5], v[10:11], v[4:5]
	ds_bpermute_b32 v10, v2, v108 offset:24
	ds_bpermute_b32 v11, v2, v109 offset:24
	v_mul_f64_e32 v[8:9], v[14:15], v[8:9]
	s_wait_dscnt 0x2
	v_fmac_f64_e32 v[64:65], v[6:7], v[42:43]
	ds_bpermute_b32 v6, v2, v108 offset:28
	ds_bpermute_b32 v7, v2, v109 offset:28
	v_add_f64_e32 v[4:5], v[12:13], v[4:5]
	ds_bpermute_b32 v12, v2, v110 offset:20
	ds_bpermute_b32 v13, v2, v111 offset:20
	s_wait_dscnt 0x2
	v_add_f64_e64 v[6:7], v[48:49], -v[6:7]
	s_wait_dscnt 0x0
	v_fmac_f64_e32 v[64:65], v[8:9], v[12:13]
	ds_bpermute_b32 v8, v2, v108 offset:32
	ds_bpermute_b32 v9, v2, v109 offset:32
	ds_bpermute_b32 v12, v2, v110 offset:24
	ds_bpermute_b32 v13, v2, v111 offset:24
	v_add_f64_e32 v[4:5], v[14:15], v[4:5]
	s_wait_dscnt 0x2
	v_add_f64_e64 v[8:9], v[112:113], -v[8:9]
	v_mul_f64_e32 v[6:7], v[18:19], v[6:7]
	s_delay_alu instid0(VALU_DEP_3) | instskip(NEXT) | instid1(VALU_DEP_3)
	v_add_f64_e32 v[4:5], v[16:17], v[4:5]
	v_mul_f64_e32 v[8:9], v[20:21], v[8:9]
	s_delay_alu instid0(VALU_DEP_2) | instskip(NEXT) | instid1(VALU_DEP_1)
	v_add_f64_e32 v[4:5], v[18:19], v[4:5]
	v_add_f64_e32 v[4:5], v[20:21], v[4:5]
	s_delay_alu instid0(VALU_DEP_1) | instskip(NEXT) | instid1(VALU_DEP_1)
	v_add_f64_e32 v[4:5], v[22:23], v[4:5]
	v_add_f64_e32 v[4:5], v[24:25], v[4:5]
	s_delay_alu instid0(VALU_DEP_1)
	v_add_f64_e32 v[4:5], v[26:27], v[4:5]
	s_wait_loadcnt 0x0
	v_add_f64_e64 v[10:11], v[38:39], -v[10:11]
	ds_bpermute_b32 v38, v2, v110 offset:60
	ds_bpermute_b32 v39, v2, v111 offset:60
	v_add_f64_e32 v[4:5], v[28:29], v[4:5]
	v_mul_f64_e32 v[10:11], v[16:17], v[10:11]
	s_delay_alu instid0(VALU_DEP_2) | instskip(SKIP_1) | instid1(VALU_DEP_2)
	v_add_f64_e32 v[4:5], v[30:31], v[4:5]
	s_wait_dscnt 0x2
	v_fmac_f64_e32 v[64:65], v[10:11], v[12:13]
	ds_bpermute_b32 v10, v2, v108 offset:36
	ds_bpermute_b32 v11, v2, v109 offset:36
	;; [unrolled: 1-line block ×4, first 2 shown]
	v_add_f64_e32 v[4:5], v[32:33], v[4:5]
	s_wait_dscnt 0x2
	v_add_f64_e64 v[10:11], v[118:119], -v[10:11]
	s_wait_dscnt 0x0
	v_fmac_f64_e32 v[64:65], v[6:7], v[12:13]
	ds_bpermute_b32 v6, v2, v108 offset:40
	ds_bpermute_b32 v7, v2, v109 offset:40
	ds_bpermute_b32 v12, v2, v110 offset:32
	ds_bpermute_b32 v13, v2, v111 offset:32
	s_wait_dscnt 0x2
	v_add_f64_e64 v[6:7], v[52:53], -v[6:7]
	v_mul_f64_e32 v[10:11], v[22:23], v[10:11]
	s_wait_dscnt 0x0
	v_fmac_f64_e32 v[64:65], v[8:9], v[12:13]
	ds_bpermute_b32 v8, v2, v108 offset:44
	ds_bpermute_b32 v9, v2, v109 offset:44
	ds_bpermute_b32 v12, v2, v110 offset:36
	ds_bpermute_b32 v13, v2, v111 offset:36
	s_wait_dscnt 0x2
	v_add_f64_e64 v[8:9], v[122:123], -v[8:9]
	v_mul_f64_e32 v[6:7], v[24:25], v[6:7]
	;; [unrolled: 9-line block ×5, first 2 shown]
	s_wait_dscnt 0x0
	v_fmac_f64_e32 v[64:65], v[10:11], v[12:13]
	ds_bpermute_b32 v10, v2, v110 offset:52
	ds_bpermute_b32 v11, v2, v111 offset:52
	v_mul_f64_e32 v[8:9], v[32:33], v[8:9]
	s_wait_dscnt 0x0
	v_fmac_f64_e32 v[64:65], v[6:7], v[10:11]
	ds_bpermute_b32 v6, v2, v110 offset:56
	ds_bpermute_b32 v7, v2, v111 offset:56
	s_wait_dscnt 0x0
	v_fmac_f64_e32 v[64:65], v[8:9], v[6:7]
	ds_bpermute_b32 v6, v2, v108 offset:60
	ds_bpermute_b32 v7, v2, v109 offset:60
.LBB36_41:                              ;   in Loop: Header=BB36_3 Depth=1
	s_and_b32 vcc_lo, exec_lo, s20
	s_cbranch_vccz .LBB36_79
; %bb.42:                               ;   in Loop: Header=BB36_3 Depth=1
	s_load_b32 s20, s[58:59], 0x0
	v_mov_b64_e32 v[42:43], 0
	v_mov_b64_e32 v[108:109], 0
	;; [unrolled: 1-line block ×3, first 2 shown]
	s_wait_kmcnt 0x0
	s_cmp_lt_u32 s16, s20
	s_cselect_b32 s20, 12, 18
	s_delay_alu instid0(SALU_CYCLE_1)
	s_add_nc_u64 s[66:67], s[58:59], s[20:21]
	s_load_u16 s20, s[66:67], 0x0
	s_clause 0x1
	scratch_load_b32 v3, off, off offset:88
	scratch_load_b32 v4, off, off offset:104
	s_wait_loadcnt 0x0
	s_wait_kmcnt 0x0
	v_mad_u32_u24 v3, v3, s20, v4
	s_mov_b32 s20, exec_lo
	s_delay_alu instid0(VALU_DEP_1) | instskip(SKIP_1) | instid1(VALU_DEP_1)
	v_and_b32_e32 v4, 31, v3
	s_wait_xcnt 0x0
	v_cmpx_gt_u32_e32 16, v4
	s_cbranch_execz .LBB36_46
; %bb.43:                               ;   in Loop: Header=BB36_3 Depth=1
	v_mov_b32_e32 v5, v2
	v_mov_b64_e32 v[64:65], 0
	v_mov_b64_e32 v[108:109], 0
	s_mov_b32 s33, exec_lo
	s_delay_alu instid0(VALU_DEP_3) | instskip(NEXT) | instid1(VALU_DEP_1)
	v_add_nc_u64_e32 v[4:5], v[36:37], v[4:5]
	v_add_nc_u64_e32 v[4:5], s[24:25], v[4:5]
	s_delay_alu instid0(VALU_DEP_1)
	v_cmpx_gt_i64_e64 s[4:5], v[4:5]
	s_cbranch_execz .LBB36_45
; %bb.44:                               ;   in Loop: Header=BB36_3 Depth=1
	v_lshlrev_b64_e32 v[4:5], 3, v[4:5]
	s_wait_dscnt 0x0
	s_delay_alu instid0(VALU_DEP_1)
	v_add_nc_u64_e32 v[6:7], s[12:13], v[4:5]
	v_add_nc_u64_e32 v[4:5], s[14:15], v[4:5]
	global_load_b64 v[64:65], v[6:7], off
	global_load_b64 v[108:109], v[4:5], off
.LBB36_45:                              ;   in Loop: Header=BB36_3 Depth=1
	s_wait_xcnt 0x0
	s_or_b32 exec_lo, exec_lo, s33
.LBB36_46:                              ;   in Loop: Header=BB36_3 Depth=1
	s_delay_alu instid0(SALU_CYCLE_1)
	s_or_b32 exec_lo, exec_lo, s20
	v_dual_mov_b32 v31, v2 :: v_dual_mov_b32 v32, v2
	v_dual_mov_b32 v33, v2 :: v_dual_mov_b32 v3, v2
	;; [unrolled: 1-line block ×3, first 2 shown]
	s_wait_dscnt 0x0
	v_dual_mov_b32 v6, v2 :: v_dual_mov_b32 v7, v2
	v_dual_mov_b32 v8, v2 :: v_dual_mov_b32 v9, v2
	;; [unrolled: 1-line block ×12, first 2 shown]
	v_mov_b32_e32 v30, v2
	v_mov_b64_e32 v[34:35], v[32:33]
	s_delay_alu instid0(VALU_DEP_2) | instskip(NEXT) | instid1(VALU_DEP_4)
	v_mov_b64_e32 v[32:33], v[30:31]
	v_mov_b64_e32 v[30:31], v[28:29]
	;; [unrolled: 1-line block ×15, first 2 shown]
	s_and_saveexec_b32 s20, s2
	s_cbranch_execz .LBB36_48
; %bb.47:                               ;   in Loop: Header=BB36_3 Depth=1
	s_clause 0x1
	scratch_load_b64 v[4:5], off, off offset:8
	scratch_load_b64 v[6:7], off, off offset:16
	v_dual_mov_b32 v8, v2 :: v_dual_mov_b32 v9, v2
	v_dual_mov_b32 v10, v2 :: v_dual_mov_b32 v11, v2
	;; [unrolled: 1-line block ×14, first 2 shown]
	s_wait_loadcnt 0x1
	v_add_nc_u64_e32 v[4:5], v[4:5], v[40:41]
	s_wait_loadcnt 0x0
	v_add_nc_u64_e32 v[6:7], v[6:7], v[40:41]
	global_load_b64 v[4:5], v[4:5], off
	global_load_b64 v[42:43], v[6:7], off
	s_wait_xcnt 0x0
	v_dual_mov_b32 v6, v2 :: v_dual_mov_b32 v7, v2
.LBB36_48:                              ;   in Loop: Header=BB36_3 Depth=1
	s_or_b32 exec_lo, exec_lo, s20
	v_mov_b64_e32 v[44:45], 0
	v_mov_b64_e32 v[48:49], 0
	s_and_saveexec_b32 s20, s2
	s_cbranch_execz .LBB36_50
; %bb.49:                               ;   in Loop: Header=BB36_3 Depth=1
	v_add_nc_u64_e32 v[6:7], v[104:105], v[40:41]
	v_add_nc_u64_e32 v[36:37], v[106:107], v[40:41]
	global_load_b64 v[6:7], v[6:7], off
	global_load_b64 v[48:49], v[36:37], off
.LBB36_50:                              ;   in Loop: Header=BB36_3 Depth=1
	s_wait_xcnt 0x0
	s_or_b32 exec_lo, exec_lo, s20
	s_and_saveexec_b32 s20, s2
	s_cbranch_execz .LBB36_52
; %bb.51:                               ;   in Loop: Header=BB36_3 Depth=1
	v_add_nc_u64_e32 v[8:9], v[100:101], v[40:41]
	v_add_nc_u64_e32 v[36:37], v[102:103], v[40:41]
	global_load_b64 v[8:9], v[8:9], off
	global_load_b64 v[44:45], v[36:37], off
.LBB36_52:                              ;   in Loop: Header=BB36_3 Depth=1
	s_wait_xcnt 0x0
	s_or_b32 exec_lo, exec_lo, s20
	v_mov_b64_e32 v[46:47], 0
	v_mov_b64_e32 v[120:121], 0
	s_and_saveexec_b32 s20, s2
	s_cbranch_execz .LBB36_54
; %bb.53:                               ;   in Loop: Header=BB36_3 Depth=1
	v_add_nc_u64_e32 v[10:11], v[96:97], v[40:41]
	v_add_nc_u64_e32 v[36:37], v[98:99], v[40:41]
	global_load_b64 v[10:11], v[10:11], off
	global_load_b64 v[120:121], v[36:37], off
.LBB36_54:                              ;   in Loop: Header=BB36_3 Depth=1
	s_wait_xcnt 0x0
	s_or_b32 exec_lo, exec_lo, s20
	s_and_saveexec_b32 s20, s2
	s_cbranch_execz .LBB36_56
; %bb.55:                               ;   in Loop: Header=BB36_3 Depth=1
	v_add_nc_u64_e32 v[12:13], v[92:93], v[40:41]
	v_add_nc_u64_e32 v[36:37], v[94:95], v[40:41]
	global_load_b64 v[12:13], v[12:13], off
	global_load_b64 v[46:47], v[36:37], off
.LBB36_56:                              ;   in Loop: Header=BB36_3 Depth=1
	s_wait_xcnt 0x0
	;; [unrolled: 22-line block ×6, first 2 shown]
	s_or_b32 exec_lo, exec_lo, s20
	v_mov_b64_e32 v[110:111], 0
	v_mov_b64_e32 v[116:117], 0
	s_and_saveexec_b32 s20, s2
	s_cbranch_execz .LBB36_74
; %bb.73:                               ;   in Loop: Header=BB36_3 Depth=1
	s_clause 0x1
	scratch_load_b64 v[30:31], off, off offset:56
	scratch_load_b64 v[52:53], off, off offset:64
	s_wait_loadcnt 0x2
	v_mov_b64_e32 v[50:51], v[48:49]
	v_mov_b64_e32 v[48:49], v[112:113]
	s_wait_loadcnt 0x1
	v_add_nc_u64_e32 v[30:31], v[30:31], v[40:41]
	s_wait_loadcnt 0x0
	v_add_nc_u64_e32 v[112:113], v[52:53], v[40:41]
	global_load_b64 v[30:31], v[30:31], off
	global_load_b64 v[116:117], v[112:113], off
	s_wait_xcnt 0x0
	v_mov_b64_e32 v[112:113], v[48:49]
	v_mov_b64_e32 v[48:49], v[50:51]
.LBB36_74:                              ;   in Loop: Header=BB36_3 Depth=1
	s_or_b32 exec_lo, exec_lo, s20
	s_and_saveexec_b32 s20, s2
	s_cbranch_execz .LBB36_76
; %bb.75:                               ;   in Loop: Header=BB36_3 Depth=1
	scratch_load_b64 v[32:33], off, off offset:40 ; 8-byte Folded Reload
	s_wait_loadcnt 0x1
	v_mov_b64_e32 v[50:51], v[48:49]
	scratch_load_b64 v[48:49], off, off offset:48 ; 8-byte Folded Reload
	s_wait_loadcnt 0x1
	v_add_nc_u64_e32 v[32:33], v[32:33], v[40:41]
	s_wait_loadcnt 0x0
	v_add_nc_u64_e32 v[110:111], v[48:49], v[40:41]
	v_mov_b64_e32 v[48:49], v[50:51]
	global_load_b64 v[32:33], v[32:33], off
	global_load_b64 v[110:111], v[110:111], off
.LBB36_76:                              ;   in Loop: Header=BB36_3 Depth=1
	s_wait_xcnt 0x0
	s_or_b32 exec_lo, exec_lo, s20
	s_wait_loadcnt 0x0
	v_mov_b64_e32 v[52:53], v[46:47]
	v_mov_b64_e32 v[50:51], v[44:45]
	;; [unrolled: 1-line block ×3, first 2 shown]
	s_and_saveexec_b32 s20, s2
	s_cbranch_execz .LBB36_78
; %bb.77:                               ;   in Loop: Header=BB36_3 Depth=1
	s_clause 0x1
	scratch_load_b64 v[34:35], off, off offset:24
	scratch_load_b64 v[44:45], off, off offset:32
	v_mov_b64_e32 v[46:47], v[112:113]
	s_wait_loadcnt 0x1
	v_add_nc_u64_e32 v[34:35], v[34:35], v[40:41]
	s_wait_loadcnt 0x0
	v_add_nc_u64_e32 v[112:113], v[44:45], v[40:41]
	global_load_b64 v[34:35], v[34:35], off
	global_load_b64 v[54:55], v[112:113], off
	s_wait_xcnt 0x0
	v_mov_b64_e32 v[112:113], v[46:47]
.LBB36_78:                              ;   in Loop: Header=BB36_3 Depth=1
	s_or_b32 exec_lo, exec_lo, s20
	ds_bpermute_b32 v118, v2, v64
	ds_bpermute_b32 v119, v2, v65
	;; [unrolled: 1-line block ×4, first 2 shown]
	ds_bpermute_b32 v44, v2, v64 offset:8
	ds_bpermute_b32 v45, v2, v65 offset:8
	s_wait_dscnt 0x4
	v_add_f64_e64 v[118:119], v[42:43], -v[118:119]
	ds_bpermute_b32 v42, v2, v64 offset:4
	ds_bpermute_b32 v43, v2, v65 offset:4
	s_wait_dscnt 0x2
	v_add_f64_e64 v[44:45], v[50:51], -v[44:45]
	s_wait_dscnt 0x0
	v_add_f64_e64 v[42:43], v[48:49], -v[42:43]
	v_mul_f64_e32 v[118:119], v[4:5], v[118:119]
	s_delay_alu instid0(VALU_DEP_3) | instskip(NEXT) | instid1(VALU_DEP_3)
	v_mul_f64_e32 v[44:45], v[8:9], v[44:45]
	v_mul_f64_e32 v[42:43], v[6:7], v[42:43]
	s_delay_alu instid0(VALU_DEP_3)
	v_fmac_f64_e32 v[0:1], v[118:119], v[46:47]
	scratch_load_b64 v[46:47], off, off th:TH_LOAD_LU ; 8-byte Folded Reload
	ds_bpermute_b32 v118, v2, v108 offset:4
	ds_bpermute_b32 v119, v2, v109 offset:4
	s_wait_dscnt 0x0
	v_fmac_f64_e32 v[0:1], v[42:43], v[118:119]
	ds_bpermute_b32 v42, v2, v108 offset:8
	ds_bpermute_b32 v43, v2, v109 offset:8
	s_wait_dscnt 0x0
	v_fmac_f64_e32 v[0:1], v[44:45], v[42:43]
	ds_bpermute_b32 v42, v2, v108 offset:12
	ds_bpermute_b32 v43, v2, v109 offset:12
	s_wait_loadcnt 0x0
	v_add_f64_e32 v[4:5], v[46:47], v[4:5]
	ds_bpermute_b32 v46, v2, v64 offset:12
	ds_bpermute_b32 v47, v2, v65 offset:12
	s_wait_dscnt 0x0
	v_add_f64_e64 v[46:47], v[120:121], -v[46:47]
	v_add_f64_e32 v[4:5], v[6:7], v[4:5]
	ds_bpermute_b32 v6, v2, v64 offset:16
	ds_bpermute_b32 v7, v2, v65 offset:16
	s_wait_dscnt 0x0
	v_add_f64_e64 v[6:7], v[52:53], -v[6:7]
	v_mul_f64_e32 v[46:47], v[10:11], v[46:47]
	v_add_f64_e32 v[4:5], v[8:9], v[4:5]
	ds_bpermute_b32 v8, v2, v64 offset:20
	ds_bpermute_b32 v9, v2, v65 offset:20
	s_wait_dscnt 0x0
	v_add_f64_e64 v[8:9], v[124:125], -v[8:9]
	v_mul_f64_e32 v[6:7], v[12:13], v[6:7]
	v_fmac_f64_e32 v[0:1], v[46:47], v[42:43]
	ds_bpermute_b32 v42, v2, v108 offset:16
	ds_bpermute_b32 v43, v2, v109 offset:16
	v_add_f64_e32 v[4:5], v[10:11], v[4:5]
	ds_bpermute_b32 v10, v2, v64 offset:24
	ds_bpermute_b32 v11, v2, v65 offset:24
	s_wait_dscnt 0x0
	v_add_f64_e64 v[10:11], v[112:113], -v[10:11]
	v_mul_f64_e32 v[8:9], v[14:15], v[8:9]
	v_fmac_f64_e32 v[0:1], v[6:7], v[42:43]
	ds_bpermute_b32 v6, v2, v64 offset:28
	ds_bpermute_b32 v7, v2, v65 offset:28
	v_add_f64_e32 v[4:5], v[12:13], v[4:5]
	ds_bpermute_b32 v12, v2, v108 offset:20
	ds_bpermute_b32 v13, v2, v109 offset:20
	s_wait_dscnt 0x2
	v_add_f64_e64 v[6:7], v[36:37], -v[6:7]
	v_mul_f64_e32 v[10:11], v[16:17], v[10:11]
	s_wait_dscnt 0x0
	v_fmac_f64_e32 v[0:1], v[8:9], v[12:13]
	ds_bpermute_b32 v8, v2, v64 offset:32
	ds_bpermute_b32 v9, v2, v65 offset:32
	ds_bpermute_b32 v12, v2, v108 offset:24
	ds_bpermute_b32 v13, v2, v109 offset:24
	v_add_f64_e32 v[4:5], v[14:15], v[4:5]
	s_wait_dscnt 0x2
	v_add_f64_e64 v[8:9], v[56:57], -v[8:9]
	v_mul_f64_e32 v[6:7], v[18:19], v[6:7]
	s_wait_dscnt 0x0
	v_fmac_f64_e32 v[0:1], v[10:11], v[12:13]
	ds_bpermute_b32 v10, v2, v64 offset:36
	ds_bpermute_b32 v11, v2, v65 offset:36
	ds_bpermute_b32 v12, v2, v108 offset:28
	ds_bpermute_b32 v13, v2, v109 offset:28
	v_add_f64_e32 v[4:5], v[16:17], v[4:5]
	;; [unrolled: 10-line block ×4, first 2 shown]
	s_wait_dscnt 0x2
	v_add_f64_e64 v[8:9], v[38:39], -v[8:9]
	v_mul_f64_e32 v[6:7], v[24:25], v[6:7]
	ds_bpermute_b32 v38, v2, v108 offset:60
	ds_bpermute_b32 v39, v2, v109 offset:60
	s_wait_dscnt 0x2
	v_fmac_f64_e32 v[0:1], v[10:11], v[12:13]
	ds_bpermute_b32 v10, v2, v64 offset:48
	ds_bpermute_b32 v11, v2, v65 offset:48
	;; [unrolled: 1-line block ×4, first 2 shown]
	v_add_f64_e32 v[4:5], v[22:23], v[4:5]
	s_wait_dscnt 0x2
	v_add_f64_e64 v[10:11], v[126:127], -v[10:11]
	v_mul_f64_e32 v[8:9], v[26:27], v[8:9]
	s_wait_dscnt 0x0
	v_fmac_f64_e32 v[0:1], v[6:7], v[12:13]
	ds_bpermute_b32 v6, v2, v64 offset:52
	ds_bpermute_b32 v7, v2, v65 offset:52
	;; [unrolled: 1-line block ×4, first 2 shown]
	v_add_f64_e32 v[4:5], v[24:25], v[4:5]
	s_wait_dscnt 0x2
	v_add_f64_e64 v[6:7], v[116:117], -v[6:7]
	v_mul_f64_e32 v[10:11], v[28:29], v[10:11]
	s_wait_dscnt 0x0
	v_fmac_f64_e32 v[0:1], v[8:9], v[12:13]
	ds_bpermute_b32 v8, v2, v108 offset:48
	ds_bpermute_b32 v9, v2, v109 offset:48
	;; [unrolled: 1-line block ×4, first 2 shown]
	v_add_f64_e32 v[4:5], v[26:27], v[4:5]
	v_mul_f64_e32 v[6:7], v[30:31], v[6:7]
	s_wait_dscnt 0x2
	v_fmac_f64_e32 v[0:1], v[10:11], v[8:9]
	s_wait_dscnt 0x0
	v_add_f64_e64 v[8:9], v[110:111], -v[12:13]
	ds_bpermute_b32 v10, v2, v108 offset:52
	ds_bpermute_b32 v11, v2, v109 offset:52
	v_add_f64_e32 v[4:5], v[28:29], v[4:5]
	s_wait_dscnt 0x0
	v_fmac_f64_e32 v[0:1], v[6:7], v[10:11]
	v_mul_f64_e32 v[6:7], v[32:33], v[8:9]
	ds_bpermute_b32 v8, v2, v108 offset:56
	ds_bpermute_b32 v9, v2, v109 offset:56
	v_add_f64_e32 v[4:5], v[30:31], v[4:5]
	s_wait_dscnt 0x0
	v_fmac_f64_e32 v[0:1], v[6:7], v[8:9]
	ds_bpermute_b32 v6, v2, v64 offset:60
	ds_bpermute_b32 v7, v2, v65 offset:60
	v_add_f64_e32 v[4:5], v[32:33], v[4:5]
	v_mov_b64_e32 v[64:65], v[0:1]
.LBB36_79:                              ;   in Loop: Header=BB36_3 Depth=1
	s_wait_dscnt 0x0
	v_add_f64_e64 v[0:1], v[54:55], -v[6:7]
	s_delay_alu instid0(VALU_DEP_3)
	v_add_f64_e32 v[4:5], v[4:5], v[34:35]
	s_add_nc_u64 s[64:65], s[64:65], s[22:23]
	v_add_nc_u64_e32 v[58:59], s[60:61], v[58:59]
	v_cmp_lt_i64_e64 s20, s[64:65], s[4:5]
	v_add_nc_u64_e32 v[60:61], s[60:61], v[60:61]
	v_add_nc_u64_e32 v[62:63], s[60:61], v[62:63]
	;; [unrolled: 1-line block ×23, first 2 shown]
	s_and_b32 vcc_lo, exec_lo, s20
	s_add_nc_u64 s[62:63], s[62:63], s[22:23]
	v_mul_f64_e32 v[0:1], v[34:35], v[0:1]
	s_clause 0x1
	scratch_store_b64 off, v[4:5], off
	scratch_load_b64 v[4:5], off, off offset:8
	v_fmac_f64_e32 v[64:65], v[0:1], v[38:39]
	scratch_load_b64 v[0:1], off, off offset:64 ; 8-byte Folded Reload
	s_wait_loadcnt 0x1
	v_add_nc_u64_e32 v[4:5], s[60:61], v[4:5]
	s_wait_loadcnt 0x0
	v_add_nc_u64_e32 v[0:1], s[60:61], v[0:1]
	s_clause 0x2
	scratch_store_b64 off, v[4:5], off offset:8
	scratch_load_b64 v[4:5], off, off offset:16
	scratch_store_b64 off, v[0:1], off offset:64
	s_wait_loadcnt 0x0
	v_add_nc_u64_e32 v[4:5], s[60:61], v[4:5]
	s_clause 0x1
	scratch_store_b64 off, v[4:5], off offset:16
	scratch_load_b64 v[4:5], off, off offset:24
	s_wait_loadcnt 0x0
	v_add_nc_u64_e32 v[4:5], s[60:61], v[4:5]
	s_clause 0x1
	scratch_store_b64 off, v[4:5], off offset:24
	scratch_load_b64 v[4:5], off, off offset:32
	;; [unrolled: 5-line block ×5, first 2 shown]
	s_wait_loadcnt 0x0
	v_add_nc_u64_e32 v[4:5], s[60:61], v[4:5]
	scratch_store_b64 off, v[4:5], off offset:56 ; 8-byte Folded Spill
	s_cbranch_vccz .LBB36_82
; %bb.80:                               ;   in Loop: Header=BB36_3 Depth=1
	v_mov_b64_e32 v[0:1], v[64:65]
	s_branch .LBB36_3
.LBB36_81:
                                        ; implicit-def: $vgpr2_vgpr3
                                        ; kill: killed $vgpr2_vgpr3
                                        ; implicit-def: $vgpr64_vgpr65
	s_branch .LBB36_84
.LBB36_82:
	scratch_load_b32 v0, off, off offset:344 ; 4-byte Folded Reload
.LBB36_83:
	s_cbranch_execnz .LBB36_132
.LBB36_84:
	s_wait_xcnt 0x0
	v_mov_b64_e32 v[2:3], 0
	v_mov_b64_e32 v[64:65], 0
	s_and_not1_b32 vcc_lo, exec_lo, s3
	scratch_store_b64 off, v[2:3], off      ; 8-byte Folded Spill
	s_cbranch_vccnz .LBB36_132
; %bb.85:
	s_wait_loadcnt 0x0
	v_bfe_u32 v1, v0, 10, 10
	s_wait_xcnt 0x0
	v_mov_b32_e32 v2, 0
	s_load_b32 s2, s[0:1], 0x44
	s_mov_b32 s3, 0
	v_mov_b64_e32 v[64:65], 0
	s_delay_alu instid0(VALU_DEP_2)
	v_dual_mov_b32 v5, v2 :: v_dual_lshlrev_b32 v4, 7, v1
	s_mov_b32 s21, s3
	s_add_nc_u64 s[22:23], s[0:1], 64
	s_add_nc_u64 s[26:27], s[18:19], 0xff
	s_mov_b64 s[28:29], 0xffffffffffffff03
	v_lshl_add_u64 v[20:21], s[18:19], 3, v[4:5]
	s_mov_b64 s[30:31], 0xffffffffffffff04
	s_mov_b64 s[34:35], 0xffffffffffffff05
	;; [unrolled: 1-line block ×4, first 2 shown]
	v_add_nc_u64_e32 v[6:7], 8, v[20:21]
	v_add_nc_u64_e32 v[8:9], 16, v[20:21]
	;; [unrolled: 1-line block ×5, first 2 shown]
	s_mov_b64 s[40:41], 0xffffffffffffff08
	s_wait_kmcnt 0x0
	s_lshl_b32 s20, s2, 8
	v_mad_nc_u64_u32 v[16:17], s6, v6, s[8:9]
	v_mul_lo_u32 v3, s6, v7
	v_mul_lo_u32 v7, s7, v6
	v_mad_nc_u64_u32 v[18:19], s6, v6, s[10:11]
	v_mad_nc_u64_u32 v[22:23], s6, v8, s[8:9]
	v_mul_lo_u32 v6, s6, v9
	v_mul_lo_u32 v9, s7, v8
	v_mad_nc_u64_u32 v[24:25], s6, v10, s[8:9]
	;; [unrolled: 4-line block ×5, first 2 shown]
	v_add_nc_u64_e32 v[4:5], 48, v[20:21]
	v_add3_u32 v17, v7, v17, v3
	v_add3_u32 v19, v7, v19, v3
	;; [unrolled: 1-line block ×5, first 2 shown]
	s_clause 0x1
	scratch_store_b64 off, v[16:17], off offset:8
	scratch_store_b64 off, v[18:19], off offset:16
	v_add3_u32 v33, v13, v33, v10
	v_mul_lo_u32 v3, s6, v5
	v_mul_lo_u32 v10, s7, v4
	s_wait_xcnt 0x1
	v_mad_nc_u64_u32 v[16:17], s6, v4, s[8:9]
	v_add_nc_u64_e32 v[6:7], 56, v[20:21]
	v_add3_u32 v25, v11, v25, v8
	s_wait_xcnt 0x0
	v_mad_nc_u64_u32 v[18:19], s6, v4, s[10:11]
	scratch_store_b64 off, v[22:23], off offset:24 ; 8-byte Folded Spill
	v_add3_u32 v29, v11, v29, v8
	v_add3_u32 v35, v14, v35, v12
	scratch_store_b64 off, v[24:25], off offset:32 ; 8-byte Folded Spill
	v_add3_u32 v37, v14, v37, v12
	v_mul_lo_u32 v11, s6, v7
	v_mul_lo_u32 v12, s7, v6
	s_wait_xcnt 0x1
	v_mad_nc_u64_u32 v[22:23], s6, v6, s[8:9]
	s_wait_xcnt 0x0
	v_mad_nc_u64_u32 v[24:25], s6, v6, s[10:11]
	v_add_nc_u64_e32 v[6:7], 0x50, v[20:21]
	v_add3_u32 v17, v10, v17, v3
	v_add_nc_u64_e32 v[8:9], 64, v[20:21]
	v_add_nc_u64_e32 v[4:5], 0x48, v[20:21]
	s_clause 0x1
	scratch_store_b64 off, v[34:35], off offset:72
	scratch_store_b64 off, v[36:37], off offset:80
	v_add3_u32 v19, v10, v19, v3
	v_mul_lo_u32 v7, s6, v7
	v_mul_lo_u32 v15, s7, v6
	s_wait_xcnt 0x1
	v_mad_nc_u64_u32 v[34:35], s6, v6, s[8:9]
	s_clause 0x1
	scratch_store_b64 off, v[16:17], off offset:88
	scratch_store_b64 off, v[18:19], off offset:96
	s_wait_xcnt 0x1
	v_mad_nc_u64_u32 v[16:17], s6, v6, s[10:11]
	s_clause 0x3
	scratch_store_b64 off, v[26:27], off offset:40
	scratch_store_b64 off, v[28:29], off offset:48
	;; [unrolled: 1-line block ×4, first 2 shown]
	v_mul_lo_u32 v9, s6, v9
	v_mul_lo_u32 v13, s7, v8
	s_wait_xcnt 0x3
	v_mad_nc_u64_u32 v[26:27], s6, v8, s[8:9]
	s_wait_xcnt 0x2
	v_mad_nc_u64_u32 v[28:29], s6, v8, s[10:11]
	v_mul_lo_u32 v8, s6, v5
	v_mul_lo_u32 v14, s7, v4
	s_wait_xcnt 0x1
	v_mad_nc_u64_u32 v[30:31], s6, v4, s[8:9]
	s_wait_xcnt 0x0
	v_mad_nc_u64_u32 v[32:33], s6, v4, s[10:11]
	v_add3_u32 v23, v12, v23, v11
	v_add3_u32 v25, v12, v25, v11
	v_dual_mov_b32 v11, v2 :: v_dual_lshlrev_b32 v10, 4, v1
	v_add_nc_u64_e32 v[4:5], 0x58, v[20:21]
	v_add3_u32 v35, v15, v35, v7
	v_add3_u32 v17, v15, v17, v7
	;; [unrolled: 1-line block ×3, first 2 shown]
	v_add_nc_u64_e32 v[6:7], s[18:19], v[10:11]
	scratch_store_b64 off, v[10:11], off offset:324 ; 8-byte Folded Spill
	s_wait_xcnt 0x0
	v_add_nc_u64_e32 v[10:11], 0x68, v[20:21]
	v_add3_u32 v29, v13, v29, v9
	v_add3_u32 v31, v14, v31, v8
	;; [unrolled: 1-line block ×3, first 2 shown]
	v_add_nc_u64_e32 v[8:9], 0x60, v[20:21]
	s_clause 0x3
	scratch_store_b64 off, v[22:23], off offset:104
	scratch_store_b64 off, v[24:25], off offset:112
	;; [unrolled: 1-line block ×4, first 2 shown]
	v_mul_lo_u32 v3, s6, v5
	v_mul_lo_u32 v14, s7, v4
	s_wait_xcnt 0x3
	v_mad_nc_u64_u32 v[22:23], s6, v4, s[8:9]
	s_wait_xcnt 0x2
	v_mad_nc_u64_u32 v[24:25], s6, v4, s[10:11]
	v_mul_u64_e32 v[4:5], s[6:7], v[6:7]
	v_add_nc_u64_e32 v[12:13], 15, v[6:7]
	s_clause 0x3
	scratch_store_b64 off, v[30:31], off offset:136
	scratch_store_b64 off, v[32:33], off offset:144
	;; [unrolled: 1-line block ×4, first 2 shown]
	s_wait_xcnt 0x0
	v_mul_lo_u32 v17, s6, v11
	v_mul_lo_u32 v18, s7, v10
	v_mad_nc_u64_u32 v[30:31], s6, v10, s[8:9]
	v_mul_lo_u32 v15, s6, v9
	v_mul_lo_u32 v16, s7, v8
	v_mad_nc_u64_u32 v[26:27], s6, v8, s[8:9]
	v_mad_nc_u64_u32 v[28:29], s6, v8, s[10:11]
	v_add_nc_u64_e32 v[8:9], 0x70, v[20:21]
	v_mad_nc_u64_u32 v[32:33], s6, v10, s[10:11]
	v_mul_u64_e32 v[10:11], s[6:7], v[12:13]
	v_add_nc_u64_e32 v[20:21], 0x78, v[20:21]
	v_add3_u32 v23, v14, v23, v3
	v_add3_u32 v25, v14, v25, v3
	;; [unrolled: 1-line block ×3, first 2 shown]
	v_mul_lo_u32 v9, s6, v9
	v_mul_lo_u32 v12, s7, v8
	v_mad_nc_u64_u32 v[34:35], s6, v8, s[8:9]
	v_mad_nc_u64_u32 v[36:37], s6, v8, s[10:11]
	v_mul_lo_u32 v8, s7, v20
	v_mad_nc_u64_u32 v[38:39], s6, v20, s[8:9]
	v_add3_u32 v33, v18, v33, v17
	s_clause 0x1
	scratch_store_b64 off, v[30:31], off offset:200
	scratch_store_b32 off, v1, off offset:320
	s_wait_xcnt 0x0
	v_mul_lo_u32 v1, s6, v21
	v_mad_nc_u64_u32 v[20:21], s6, v20, s[10:11]
	v_add3_u32 v27, v16, v27, v15
	v_add3_u32 v29, v16, v29, v15
	;; [unrolled: 1-line block ×3, first 2 shown]
	s_clause 0x6
	scratch_store_b64 off, v[22:23], off offset:168
	scratch_store_b64 off, v[24:25], off offset:176
	;; [unrolled: 1-line block ×6, first 2 shown]
	scratch_store_b32 off, v0, off offset:344
	s_wait_xcnt 0x0
	v_and_b32_e32 v0, 0x3ff, v0
	v_add3_u32 v37, v12, v37, v9
	v_add3_u32 v39, v8, v39, v1
	;; [unrolled: 1-line block ×3, first 2 shown]
	v_lshlrev_b64_e32 v[8:9], 3, v[4:5]
	scratch_store_b32 off, v0, off offset:332 ; 4-byte Folded Spill
	s_wait_xcnt 0x0
	v_dual_mov_b32 v1, v2 :: v_dual_add_nc_u32 v0, s17, v0
	v_add_nc_u64_e32 v[4:5], s[6:7], v[4:5]
	v_add_nc_u64_e32 v[12:13], 12, v[6:7]
	v_add_nc_u64_e32 v[14:15], 11, v[6:7]
	v_add_nc_u64_e32 v[104:105], s[8:9], v[8:9]
	v_lshlrev_b64_e32 v[102:103], 3, v[0:1]
	v_add_nc_u64_e32 v[106:107], s[10:11], v[8:9]
	v_lshlrev_b64_e32 v[0:1], 3, v[10:11]
	v_add_nc_u64_e32 v[8:9], 14, v[6:7]
	v_add_nc_u64_e32 v[10:11], 13, v[6:7]
	;; [unrolled: 1-line block ×3, first 2 shown]
	v_lshlrev_b64_e32 v[4:5], 3, v[4:5]
	s_clause 0x1
	scratch_store_b64 off, v[38:39], off offset:232
	scratch_store_b64 off, v[20:21], off offset:240
	v_add_nc_u64_e32 v[18:19], 9, v[6:7]
	v_mul_u64_e32 v[8:9], s[6:7], v[8:9]
	v_mul_u64_e32 v[10:11], s[6:7], v[10:11]
	s_wait_xcnt 0x0
	v_add_nc_u64_e32 v[20:21], 8, v[6:7]
	v_mul_u64_e32 v[12:13], s[6:7], v[12:13]
	v_mul_u64_e32 v[14:15], s[6:7], v[14:15]
	;; [unrolled: 1-line block ×3, first 2 shown]
	v_add_nc_u64_e32 v[24:25], 6, v[6:7]
	v_add_nc_u64_e32 v[70:71], s[8:9], v[4:5]
	;; [unrolled: 1-line block ×3, first 2 shown]
	v_mov_b64_e32 v[4:5], 0
	scratch_store_b64 off, v[36:37], off offset:224 ; 8-byte Folded Spill
	v_mul_u64_e32 v[18:19], s[6:7], v[18:19]
	v_mul_u64_e32 v[20:21], s[6:7], v[20:21]
	v_add_nc_u64_e32 v[22:23], 7, v[6:7]
	v_mul_u64_e32 v[24:25], s[6:7], v[24:25]
	v_add_nc_u64_e32 v[26:27], 5, v[6:7]
	v_add_nc_u64_e32 v[28:29], 4, v[6:7]
	;; [unrolled: 1-line block ×5, first 2 shown]
	v_mul_u64_e32 v[22:23], s[6:7], v[22:23]
	v_add_nc_u64_e32 v[0:1], s[10:11], v[0:1]
	v_mul_u64_e32 v[26:27], s[6:7], v[26:27]
	v_mul_u64_e32 v[28:29], s[6:7], v[28:29]
	;; [unrolled: 1-line block ×4, first 2 shown]
	scratch_store_b64 off, v[32:33], off offset:248 ; 8-byte Folded Spill
	s_mul_u64 s[24:25], s[6:7], s[20:21]
	scratch_store_b64 off, v[0:1], off offset:256 ; 8-byte Folded Spill
	s_lshl_b64 s[24:25], s[24:25], 3
	s_mov_b64 s[42:43], 0xffffffffffffff09
	s_mov_b64 s[44:45], 0xffffffffffffff0a
	v_lshlrev_b64_e32 v[8:9], 3, v[8:9]
	v_lshlrev_b64_e32 v[10:11], 3, v[10:11]
	s_mov_b64 s[46:47], 0xffffffffffffff0b
	s_wait_xcnt 0x0
	v_lshlrev_b64_e32 v[0:1], 3, v[12:13]
	s_mov_b64 s[48:49], 0xffffffffffffff0c
	s_mov_b64 s[50:51], 0xffffffffffffff0d
	;; [unrolled: 1-line block ×3, first 2 shown]
	v_add_nc_u64_e32 v[12:13], s[8:9], v[8:9]
	v_add_nc_u64_e32 v[114:115], s[10:11], v[8:9]
	v_lshlrev_b64_e32 v[8:9], 3, v[14:15]
	v_add_nc_u64_e32 v[116:117], s[8:9], v[10:11]
	v_add_nc_u64_e32 v[118:119], s[10:11], v[10:11]
	v_lshlrev_b64_e32 v[10:11], 3, v[16:17]
	v_add_nc_u64_e32 v[120:121], s[8:9], v[0:1]
	scratch_store_b64 off, v[12:13], off offset:264 ; 8-byte Folded Spill
	v_add_nc_u64_e32 v[122:123], s[10:11], v[0:1]
	s_wait_xcnt 0x0
	v_lshlrev_b64_e32 v[12:13], 3, v[18:19]
	v_add_nc_u64_e32 v[124:125], s[8:9], v[8:9]
	v_add_nc_u64_e32 v[126:127], s[10:11], v[8:9]
	v_lshlrev_b64_e32 v[8:9], 3, v[20:21]
	v_add_nc_u64_e32 v[80:81], s[8:9], v[10:11]
	v_add_nc_u64_e32 v[0:1], s[10:11], v[10:11]
	v_lshlrev_b64_e32 v[10:11], 3, v[24:25]
	v_lshlrev_b64_e32 v[14:15], 3, v[22:23]
	v_add_nc_u64_e32 v[36:37], s[8:9], v[12:13]
	v_add_nc_u64_e32 v[38:39], s[10:11], v[12:13]
	;; [unrolled: 1-line block ×4, first 2 shown]
	v_lshlrev_b64_e32 v[8:9], 3, v[26:27]
	v_lshlrev_b64_e32 v[12:13], 3, v[28:29]
	v_add_nc_u64_e32 v[48:49], s[8:9], v[10:11]
	v_add_nc_u64_e32 v[50:51], s[10:11], v[10:11]
	v_lshlrev_b64_e32 v[10:11], 3, v[30:31]
	v_lshlrev_b64_e32 v[6:7], 3, v[6:7]
	v_add_nc_u64_e32 v[44:45], s[8:9], v[14:15]
	v_add_nc_u64_e32 v[46:47], s[10:11], v[14:15]
	;; [unrolled: 1-line block ×10, first 2 shown]
	s_mov_b64 s[8:9], 0xffffffffffffff01
	s_mov_b64 s[10:11], 0xffffffffffffff02
	s_mov_b64 s[54:55], 0xffffffffffffff0f
	s_mov_b64 s[56:57], 0xffffffffffffff10
	scratch_store_b64 off, v[4:5], off      ; 8-byte Folded Spill
	s_branch .LBB36_89
.LBB36_86:                              ;   in Loop: Header=BB36_89 Depth=1
	s_wait_xcnt 0x0
	s_or_b32 exec_lo, exec_lo, s17
.LBB36_87:                              ;   in Loop: Header=BB36_89 Depth=1
	s_delay_alu instid0(SALU_CYCLE_1)
	s_or_b32 exec_lo, exec_lo, s2
	v_add_nc_u64_e32 v[8:9], v[106:107], v[102:103]
	s_wait_loadcnt 0x1
	ds_bpermute_b32 v24, v2, v6
	ds_bpermute_b32 v25, v2, v7
	s_wait_loadcnt 0x0
	ds_bpermute_b32 v26, v2, v4 offset:28
	ds_bpermute_b32 v27, v2, v5 offset:28
	;; [unrolled: 1-line block ×4, first 2 shown]
	global_load_b64 v[16:17], v[8:9], off
	scratch_load_b64 v[8:9], off, off offset:16 ; 8-byte Folded Reload
	ds_bpermute_b32 v30, v2, v4 offset:36
	ds_bpermute_b32 v31, v2, v5 offset:36
	s_wait_loadcnt_dscnt 0x106
	v_add_f64_e64 v[16:17], v[16:17], -v[24:25]
	s_wait_loadcnt 0x0
	v_add_nc_u64_e32 v[8:9], v[8:9], v[102:103]
	ds_bpermute_b32 v24, v2, v6 offset:4
	ds_bpermute_b32 v25, v2, v7 offset:4
	global_load_b64 v[18:19], v[8:9], off
	s_wait_xcnt 0x0
	v_add_nc_u64_e32 v[8:9], v[104:105], v[102:103]
	global_load_b64 v[8:9], v[8:9], off
	scratch_load_b64 v[10:11], off, off offset:40 ; 8-byte Folded Reload
	s_wait_loadcnt_dscnt 0x200
	v_add_f64_e64 v[18:19], v[18:19], -v[24:25]
	ds_bpermute_b32 v24, v2, v6 offset:8
	ds_bpermute_b32 v25, v2, v7 offset:8
	s_wait_loadcnt 0x1
	v_mul_f64_e32 v[16:17], v[8:9], v[16:17]
	s_wait_loadcnt 0x0
	v_add_nc_u64_e32 v[10:11], v[10:11], v[102:103]
	global_load_b64 v[20:21], v[10:11], off
	scratch_load_b64 v[10:11], off, off offset:8 ; 8-byte Folded Reload
	s_wait_loadcnt_dscnt 0x100
	v_add_f64_e64 v[20:21], v[20:21], -v[24:25]
	s_wait_loadcnt 0x0
	v_add_nc_u64_e32 v[10:11], v[10:11], v[102:103]
	ds_bpermute_b32 v24, v2, v4
	ds_bpermute_b32 v25, v2, v5
	global_load_b64 v[14:15], v[10:11], off
	s_clause 0x1
	scratch_load_b64 v[10:11], off, off offset:48
	scratch_load_b64 v[12:13], off, off offset:24
	s_wait_dscnt 0x0
	v_fmac_f64_e32 v[64:65], v[16:17], v[24:25]
	ds_bpermute_b32 v24, v2, v4 offset:4
	ds_bpermute_b32 v25, v2, v5 offset:4
	;; [unrolled: 1-line block ×4, first 2 shown]
	s_wait_loadcnt 0x2
	v_mul_f64_e32 v[18:19], v[14:15], v[18:19]
	s_wait_loadcnt 0x1
	v_add_nc_u64_e32 v[10:11], v[10:11], v[102:103]
	s_wait_loadcnt 0x0
	v_add_nc_u64_e32 v[12:13], v[12:13], v[102:103]
	global_load_b64 v[22:23], v[10:11], off
	global_load_b64 v[12:13], v[12:13], off
	scratch_load_b64 v[10:11], off, off offset:32 ; 8-byte Folded Reload
	s_wait_dscnt 0x2
	v_fmac_f64_e32 v[64:65], v[18:19], v[24:25]
	scratch_load_b64 v[18:19], off, off offset:64 ; 8-byte Folded Reload
	s_wait_loadcnt_dscnt 0x300
	v_add_f64_e64 v[16:17], v[22:23], -v[16:17]
	s_wait_loadcnt 0x2
	v_mul_f64_e32 v[20:21], v[12:13], v[20:21]
	s_wait_loadcnt 0x1
	v_add_nc_u64_e32 v[10:11], v[10:11], v[102:103]
	global_load_b64 v[10:11], v[10:11], off
	s_wait_loadcnt 0x1
	v_add_nc_u64_e32 v[18:19], v[18:19], v[102:103]
	global_load_b64 v[22:23], v[18:19], off
	s_wait_xcnt 0x0
	ds_bpermute_b32 v18, v2, v4 offset:8
	ds_bpermute_b32 v19, v2, v5 offset:8
	s_wait_dscnt 0x0
	v_fmac_f64_e32 v[64:65], v[20:21], v[18:19]
	scratch_load_b64 v[18:19], off, off offset:56 ; 8-byte Folded Reload
	s_wait_loadcnt 0x2
	v_mul_f64_e32 v[24:25], v[10:11], v[16:17]
	scratch_load_b64 v[16:17], off, off offset:80 ; 8-byte Folded Reload
	s_wait_loadcnt 0x1
	v_add_nc_u64_e32 v[18:19], v[18:19], v[102:103]
	s_wait_loadcnt 0x0
	v_add_nc_u64_e32 v[16:17], v[16:17], v[102:103]
	global_load_b64 v[20:21], v[16:17], off
	global_load_b64 v[16:17], v[18:19], off
	s_wait_xcnt 0x0
	ds_bpermute_b32 v18, v2, v4 offset:12
	ds_bpermute_b32 v19, v2, v5 offset:12
	s_wait_dscnt 0x0
	v_fmac_f64_e32 v[64:65], v[24:25], v[18:19]
	scratch_load_b64 v[18:19], off, off offset:72 ; 8-byte Folded Reload
	ds_bpermute_b32 v24, v2, v6 offset:16
	ds_bpermute_b32 v25, v2, v7 offset:16
	s_wait_dscnt 0x0
	v_add_f64_e64 v[22:23], v[22:23], -v[24:25]
	ds_bpermute_b32 v24, v2, v6 offset:20
	ds_bpermute_b32 v25, v2, v7 offset:20
	s_wait_loadcnt_dscnt 0x200
	v_add_f64_e64 v[20:21], v[20:21], -v[24:25]
	s_wait_loadcnt 0x1
	v_mul_f64_e32 v[22:23], v[16:17], v[22:23]
	ds_bpermute_b32 v24, v2, v4 offset:16
	ds_bpermute_b32 v25, v2, v5 offset:16
	s_wait_dscnt 0x0
	v_fmac_f64_e32 v[64:65], v[22:23], v[24:25]
	scratch_load_b64 v[22:23], off, off offset:96 ; 8-byte Folded Reload
	s_wait_loadcnt 0x1
	v_add_nc_u64_e32 v[18:19], v[18:19], v[102:103]
	ds_bpermute_b32 v24, v2, v4 offset:20
	ds_bpermute_b32 v25, v2, v5 offset:20
	global_load_b64 v[18:19], v[18:19], off
	s_wait_loadcnt 0x1
	v_add_nc_u64_e32 v[22:23], v[22:23], v[102:103]
	global_load_b64 v[22:23], v[22:23], off
	s_wait_loadcnt 0x1
	v_mul_f64_e32 v[20:21], v[18:19], v[20:21]
	s_wait_dscnt 0x0
	s_delay_alu instid0(VALU_DEP_1)
	v_fmac_f64_e32 v[64:65], v[20:21], v[24:25]
	scratch_load_b64 v[20:21], off, off offset:88 ; 8-byte Folded Reload
	ds_bpermute_b32 v24, v2, v6 offset:24
	ds_bpermute_b32 v25, v2, v7 offset:24
	s_wait_loadcnt_dscnt 0x100
	s_wait_xcnt 0x1
	v_add_f64_e64 v[22:23], v[22:23], -v[24:25]
	ds_bpermute_b32 v24, v2, v4 offset:24
	ds_bpermute_b32 v25, v2, v5 offset:24
	s_wait_loadcnt 0x0
	v_add_nc_u64_e32 v[20:21], v[20:21], v[102:103]
	global_load_b64 v[20:21], v[20:21], off
	s_wait_loadcnt 0x0
	v_mul_f64_e32 v[22:23], v[20:21], v[22:23]
	s_wait_dscnt 0x0
	s_delay_alu instid0(VALU_DEP_1)
	v_fmac_f64_e32 v[64:65], v[22:23], v[24:25]
	scratch_load_b64 v[22:23], off, off offset:112 ; 8-byte Folded Reload
	ds_bpermute_b32 v24, v2, v6 offset:28
	ds_bpermute_b32 v25, v2, v7 offset:28
	s_wait_loadcnt 0x0
	v_add_nc_u64_e32 v[22:23], v[22:23], v[102:103]
	global_load_b64 v[22:23], v[22:23], off
	s_wait_loadcnt_dscnt 0x0
	v_add_f64_e64 v[22:23], v[22:23], -v[24:25]
	scratch_load_b64 v[24:25], off, off offset:104 ; 8-byte Folded Reload
	s_wait_loadcnt 0x0
	v_add_nc_u64_e32 v[24:25], v[24:25], v[102:103]
	global_load_b64 v[24:25], v[24:25], off
	s_wait_loadcnt 0x0
	v_mul_f64_e32 v[22:23], v[24:25], v[22:23]
	s_delay_alu instid0(VALU_DEP_1)
	v_fmac_f64_e32 v[64:65], v[22:23], v[26:27]
	scratch_load_b64 v[22:23], off, off offset:128 ; 8-byte Folded Reload
	ds_bpermute_b32 v26, v2, v6 offset:32
	ds_bpermute_b32 v27, v2, v7 offset:32
	s_wait_loadcnt 0x0
	v_add_nc_u64_e32 v[22:23], v[22:23], v[102:103]
	global_load_b64 v[22:23], v[22:23], off
	s_wait_loadcnt_dscnt 0x0
	v_add_f64_e64 v[22:23], v[22:23], -v[26:27]
	scratch_load_b64 v[26:27], off, off offset:120 ; 8-byte Folded Reload
	s_wait_loadcnt 0x0
	v_add_nc_u64_e32 v[26:27], v[26:27], v[102:103]
	global_load_b64 v[26:27], v[26:27], off
	s_wait_loadcnt 0x0
	v_mul_f64_e32 v[22:23], v[26:27], v[22:23]
	s_delay_alu instid0(VALU_DEP_1)
	v_fmac_f64_e32 v[64:65], v[22:23], v[28:29]
	scratch_load_b64 v[22:23], off, off offset:144 ; 8-byte Folded Reload
	ds_bpermute_b32 v28, v2, v6 offset:36
	ds_bpermute_b32 v29, v2, v7 offset:36
	s_wait_loadcnt 0x0
	v_add_nc_u64_e32 v[22:23], v[22:23], v[102:103]
	global_load_b64 v[22:23], v[22:23], off
	s_wait_loadcnt_dscnt 0x0
	v_add_f64_e64 v[22:23], v[22:23], -v[28:29]
	scratch_load_b64 v[28:29], off, off offset:136 ; 8-byte Folded Reload
	s_wait_loadcnt 0x0
	v_add_nc_u64_e32 v[28:29], v[28:29], v[102:103]
	global_load_b64 v[28:29], v[28:29], off
	s_wait_loadcnt 0x0
	v_mul_f64_e32 v[22:23], v[28:29], v[22:23]
	s_delay_alu instid0(VALU_DEP_1)
	v_fmac_f64_e32 v[64:65], v[22:23], v[30:31]
	scratch_load_b64 v[22:23], off, off th:TH_LOAD_LU ; 8-byte Folded Reload
	s_wait_loadcnt 0x0
	v_add_f64_e32 v[8:9], v[22:23], v[8:9]
	ds_bpermute_b32 v22, v2, v6 offset:48
	ds_bpermute_b32 v23, v2, v7 offset:48
	v_add_f64_e32 v[8:9], v[8:9], v[14:15]
	scratch_load_b64 v[14:15], off, off offset:160 ; 8-byte Folded Reload
	v_add_f64_e32 v[8:9], v[8:9], v[12:13]
	s_delay_alu instid0(VALU_DEP_1)
	v_add_f64_e32 v[8:9], v[8:9], v[10:11]
	ds_bpermute_b32 v10, v2, v6 offset:40
	ds_bpermute_b32 v11, v2, v7 offset:40
	v_add_f64_e32 v[8:9], v[8:9], v[16:17]
	s_clause 0x1
	scratch_load_b64 v[16:17], off, off offset:176
	scratch_load_b64 v[12:13], off, off offset:152
	v_add_f64_e32 v[8:9], v[8:9], v[18:19]
	s_delay_alu instid0(VALU_DEP_1) | instskip(SKIP_3) | instid1(VALU_DEP_1)
	v_add_f64_e32 v[8:9], v[8:9], v[20:21]
	ds_bpermute_b32 v20, v2, v4 offset:40
	ds_bpermute_b32 v21, v2, v5 offset:40
	v_add_f64_e32 v[8:9], v[8:9], v[24:25]
	v_add_f64_e32 v[8:9], v[8:9], v[26:27]
	s_wait_loadcnt 0x2
	v_add_nc_u64_e32 v[14:15], v[14:15], v[102:103]
	global_load_b64 v[14:15], v[14:15], off
	s_wait_loadcnt 0x2
	v_add_nc_u64_e32 v[16:17], v[16:17], v[102:103]
	s_wait_loadcnt 0x1
	v_add_nc_u64_e32 v[12:13], v[12:13], v[102:103]
	global_load_b64 v[12:13], v[12:13], off
	s_wait_loadcnt_dscnt 0x102
	v_add_f64_e64 v[10:11], v[14:15], -v[10:11]
	scratch_load_b64 v[14:15], off, off offset:192 ; 8-byte Folded Reload
	s_wait_loadcnt 0x1
	v_mul_f64_e32 v[10:11], v[12:13], v[10:11]
	s_wait_dscnt 0x0
	s_delay_alu instid0(VALU_DEP_1)
	v_fmac_f64_e32 v[64:65], v[10:11], v[20:21]
	s_wait_loadcnt 0x0
	v_add_nc_u64_e32 v[14:15], v[14:15], v[102:103]
	global_load_b64 v[16:17], v[16:17], off
	global_load_b64 v[14:15], v[14:15], off
	s_clause 0x1
	scratch_load_b64 v[18:19], off, off offset:208
	scratch_load_b64 v[10:11], off, off offset:168
	s_wait_loadcnt 0x2
	s_wait_xcnt 0x2
	v_add_f64_e64 v[14:15], v[14:15], -v[22:23]
	s_wait_loadcnt 0x1
	v_add_nc_u64_e32 v[18:19], v[18:19], v[102:103]
	ds_bpermute_b32 v22, v2, v6 offset:52
	ds_bpermute_b32 v23, v2, v7 offset:52
	global_load_b64 v[18:19], v[18:19], off
	s_wait_loadcnt_dscnt 0x0
	v_add_f64_e64 v[18:19], v[18:19], -v[22:23]
	scratch_load_b64 v[22:23], off, off offset:200 ; 8-byte Folded Reload
	v_add_nc_u64_e32 v[10:11], v[10:11], v[102:103]
	global_load_b64 v[20:21], v[10:11], off
	s_wait_xcnt 0x0
	ds_bpermute_b32 v10, v2, v6 offset:44
	ds_bpermute_b32 v11, v2, v7 offset:44
	s_wait_dscnt 0x0
	v_add_f64_e64 v[16:17], v[16:17], -v[10:11]
	scratch_load_b64 v[10:11], off, off offset:184 ; 8-byte Folded Reload
	s_wait_loadcnt 0x2
	v_add_nc_u64_e32 v[22:23], v[22:23], v[102:103]
	s_wait_loadcnt 0x1
	v_mul_f64_e32 v[16:17], v[20:21], v[16:17]
	s_wait_loadcnt 0x0
	v_add_nc_u64_e32 v[10:11], v[10:11], v[102:103]
	global_load_b64 v[24:25], v[10:11], off
	scratch_load_b64 v[10:11], off, off offset:224 ; 8-byte Folded Reload
	s_wait_loadcnt 0x1
	v_mul_f64_e32 v[14:15], v[24:25], v[14:15]
	s_wait_loadcnt 0x0
	v_add_nc_u64_e32 v[10:11], v[10:11], v[102:103]
	global_load_b64 v[26:27], v[10:11], off
	global_load_b64 v[22:23], v[22:23], off
	s_wait_xcnt 0x1
	v_add_f64_e32 v[10:11], v[8:9], v[28:29]
	scratch_load_b64 v[8:9], off, off offset:216 ; 8-byte Folded Reload
	v_add_f64_e32 v[12:13], v[10:11], v[12:13]
	scratch_load_b64 v[10:11], off, off offset:240 ; 8-byte Folded Reload
	v_add_f64_e32 v[12:13], v[12:13], v[20:21]
	ds_bpermute_b32 v20, v2, v4 offset:44
	ds_bpermute_b32 v21, v2, v5 offset:44
	s_wait_dscnt 0x0
	v_fmac_f64_e32 v[64:65], v[16:17], v[20:21]
	ds_bpermute_b32 v20, v2, v4 offset:48
	ds_bpermute_b32 v21, v2, v5 offset:48
	;; [unrolled: 1-line block ×6, first 2 shown]
	v_add_f64_e32 v[12:13], v[12:13], v[24:25]
	s_wait_dscnt 0x4
	v_fmac_f64_e32 v[64:65], v[14:15], v[20:21]
	ds_bpermute_b32 v14, v2, v4 offset:52
	ds_bpermute_b32 v15, v2, v5 offset:52
	s_wait_loadcnt_dscnt 0x304
	v_add_f64_e64 v[16:17], v[26:27], -v[16:17]
	s_wait_loadcnt 0x2
	v_mul_f64_e32 v[18:19], v[22:23], v[18:19]
	v_add_f64_e32 v[12:13], v[12:13], v[22:23]
	s_wait_dscnt 0x0
	s_delay_alu instid0(VALU_DEP_2)
	v_fmac_f64_e32 v[64:65], v[18:19], v[14:15]
	scratch_load_b64 v[18:19], off, off offset:232 ; 8-byte Folded Reload
	s_wait_loadcnt 0x1
	v_add_nc_u64_e32 v[10:11], v[10:11], v[102:103]
	v_add_nc_u64_e32 v[8:9], v[8:9], v[102:103]
	ds_bpermute_b32 v14, v2, v4 offset:56
	ds_bpermute_b32 v15, v2, v5 offset:56
	;; [unrolled: 1-line block ×4, first 2 shown]
	global_load_b64 v[10:11], v[10:11], off
	global_load_b64 v[8:9], v[8:9], off
	s_wait_loadcnt 0x2
	v_add_nc_u64_e32 v[18:19], v[18:19], v[102:103]
	global_load_b64 v[34:35], v[18:19], off
	s_wait_loadcnt 0x2
	s_wait_xcnt 0x2
	v_add_f64_e64 v[10:11], v[10:11], -v[6:7]
	s_wait_loadcnt 0x1
	v_mul_f64_e32 v[16:17], v[8:9], v[16:17]
	v_add_f64_e32 v[6:7], v[12:13], v[8:9]
	s_wait_dscnt 0x2
	s_delay_alu instid0(VALU_DEP_2) | instskip(SKIP_2) | instid1(VALU_DEP_4)
	v_fmac_f64_e32 v[64:65], v[16:17], v[14:15]
	s_wait_loadcnt 0x0
	s_wait_xcnt 0x1
	v_mul_f64_e32 v[8:9], v[34:35], v[10:11]
	s_wait_dscnt 0x0
	s_delay_alu instid0(VALU_DEP_1) | instskip(NEXT) | instid1(VALU_DEP_3)
	v_mul_f64_e32 v[8:9], v[8:9], v[4:5]
	v_mov_b64_e32 v[4:5], v[64:65]
.LBB36_88:                              ;   in Loop: Header=BB36_89 Depth=1
	s_delay_alu instid0(VALU_DEP_1)
	v_add_f64_e32 v[64:65], v[4:5], v[8:9]
	scratch_load_b64 v[4:5], off, off offset:8 ; 8-byte Folded Reload
	v_add_f64_e32 v[6:7], v[6:7], v[34:35]
	s_add_nc_u64 s[18:19], s[18:19], s[20:21]
	v_add_nc_u64_e32 v[104:105], s[24:25], v[104:105]
	v_cmp_ge_i64_e64 s2, s[18:19], s[4:5]
	v_add_nc_u64_e32 v[106:107], s[24:25], v[106:107]
	v_add_nc_u64_e32 v[114:115], s[24:25], v[114:115]
	;; [unrolled: 1-line block ×28, first 2 shown]
	s_and_b32 vcc_lo, exec_lo, s2
	s_add_nc_u64 s[26:27], s[26:27], s[20:21]
	s_wait_loadcnt 0x0
	v_add_nc_u64_e32 v[4:5], s[24:25], v[4:5]
	s_clause 0x2
	scratch_store_b64 off, v[6:7], off
	scratch_store_b64 off, v[4:5], off offset:8
	scratch_load_b64 v[4:5], off, off offset:24
	s_wait_loadcnt 0x0
	v_add_nc_u64_e32 v[4:5], s[24:25], v[4:5]
	s_clause 0x1
	scratch_store_b64 off, v[4:5], off offset:24
	scratch_load_b64 v[4:5], off, off offset:32
	s_wait_loadcnt 0x0
	v_add_nc_u64_e32 v[4:5], s[24:25], v[4:5]
	s_clause 0x1
	scratch_store_b64 off, v[4:5], off offset:32
	scratch_load_b64 v[4:5], off, off offset:56
	s_wait_loadcnt 0x0
	v_add_nc_u64_e32 v[4:5], s[24:25], v[4:5]
	s_clause 0x1
	scratch_store_b64 off, v[4:5], off offset:56
	scratch_load_b64 v[4:5], off, off offset:72
	s_wait_loadcnt 0x0
	v_add_nc_u64_e32 v[4:5], s[24:25], v[4:5]
	s_clause 0x1
	scratch_store_b64 off, v[4:5], off offset:72
	scratch_load_b64 v[4:5], off, off offset:88
	s_wait_loadcnt 0x0
	v_add_nc_u64_e32 v[4:5], s[24:25], v[4:5]
	s_clause 0x1
	scratch_store_b64 off, v[4:5], off offset:88
	scratch_load_b64 v[4:5], off, off offset:104
	s_wait_loadcnt 0x0
	v_add_nc_u64_e32 v[4:5], s[24:25], v[4:5]
	s_clause 0x1
	scratch_store_b64 off, v[4:5], off offset:104
	scratch_load_b64 v[4:5], off, off offset:120
	s_wait_loadcnt 0x0
	v_add_nc_u64_e32 v[4:5], s[24:25], v[4:5]
	s_clause 0x1
	scratch_store_b64 off, v[4:5], off offset:120
	scratch_load_b64 v[4:5], off, off offset:136
	s_wait_loadcnt 0x0
	v_add_nc_u64_e32 v[4:5], s[24:25], v[4:5]
	s_clause 0x1
	scratch_store_b64 off, v[4:5], off offset:136
	scratch_load_b64 v[4:5], off, off offset:152
	s_wait_loadcnt 0x0
	v_add_nc_u64_e32 v[4:5], s[24:25], v[4:5]
	s_clause 0x1
	scratch_store_b64 off, v[4:5], off offset:152
	scratch_load_b64 v[4:5], off, off offset:168
	s_wait_loadcnt 0x0
	v_add_nc_u64_e32 v[4:5], s[24:25], v[4:5]
	s_clause 0x1
	scratch_store_b64 off, v[4:5], off offset:168
	scratch_load_b64 v[4:5], off, off offset:184
	s_wait_loadcnt 0x0
	v_add_nc_u64_e32 v[4:5], s[24:25], v[4:5]
	s_clause 0x1
	scratch_store_b64 off, v[4:5], off offset:184
	scratch_load_b64 v[4:5], off, off offset:200
	s_wait_loadcnt 0x0
	v_add_nc_u64_e32 v[4:5], s[24:25], v[4:5]
	s_clause 0x1
	scratch_store_b64 off, v[4:5], off offset:200
	scratch_load_b64 v[4:5], off, off offset:216
	s_wait_loadcnt 0x0
	v_add_nc_u64_e32 v[4:5], s[24:25], v[4:5]
	s_clause 0x1
	scratch_store_b64 off, v[4:5], off offset:216
	scratch_load_b64 v[4:5], off, off offset:232
	s_wait_loadcnt 0x0
	v_add_nc_u64_e32 v[4:5], s[24:25], v[4:5]
	s_clause 0x1
	scratch_store_b64 off, v[4:5], off offset:232
	scratch_load_b64 v[4:5], off, off offset:16
	s_wait_loadcnt 0x0
	v_add_nc_u64_e32 v[4:5], s[24:25], v[4:5]
	s_clause 0x1
	scratch_store_b64 off, v[4:5], off offset:16
	scratch_load_b64 v[4:5], off, off offset:40
	s_wait_loadcnt 0x0
	v_add_nc_u64_e32 v[4:5], s[24:25], v[4:5]
	s_clause 0x1
	scratch_store_b64 off, v[4:5], off offset:40
	scratch_load_b64 v[4:5], off, off offset:48
	s_wait_loadcnt 0x0
	v_add_nc_u64_e32 v[4:5], s[24:25], v[4:5]
	s_clause 0x1
	scratch_store_b64 off, v[4:5], off offset:48
	scratch_load_b64 v[4:5], off, off offset:64
	s_wait_loadcnt 0x0
	v_add_nc_u64_e32 v[4:5], s[24:25], v[4:5]
	s_clause 0x1
	scratch_store_b64 off, v[4:5], off offset:64
	scratch_load_b64 v[4:5], off, off offset:80
	s_wait_loadcnt 0x0
	v_add_nc_u64_e32 v[4:5], s[24:25], v[4:5]
	s_clause 0x1
	scratch_store_b64 off, v[4:5], off offset:80
	scratch_load_b64 v[4:5], off, off offset:96
	s_wait_loadcnt 0x0
	v_add_nc_u64_e32 v[4:5], s[24:25], v[4:5]
	s_clause 0x1
	scratch_store_b64 off, v[4:5], off offset:96
	scratch_load_b64 v[4:5], off, off offset:112
	s_wait_loadcnt 0x0
	v_add_nc_u64_e32 v[4:5], s[24:25], v[4:5]
	s_clause 0x1
	scratch_store_b64 off, v[4:5], off offset:112
	scratch_load_b64 v[4:5], off, off offset:128
	s_wait_loadcnt 0x0
	v_add_nc_u64_e32 v[4:5], s[24:25], v[4:5]
	s_clause 0x1
	scratch_store_b64 off, v[4:5], off offset:128
	scratch_load_b64 v[4:5], off, off offset:144
	s_wait_loadcnt 0x0
	v_add_nc_u64_e32 v[4:5], s[24:25], v[4:5]
	s_clause 0x1
	scratch_store_b64 off, v[4:5], off offset:144
	scratch_load_b64 v[4:5], off, off offset:160
	s_wait_loadcnt 0x0
	v_add_nc_u64_e32 v[4:5], s[24:25], v[4:5]
	s_clause 0x1
	scratch_store_b64 off, v[4:5], off offset:160
	scratch_load_b64 v[4:5], off, off offset:176
	s_wait_loadcnt 0x0
	v_add_nc_u64_e32 v[4:5], s[24:25], v[4:5]
	s_clause 0x1
	scratch_store_b64 off, v[4:5], off offset:176
	scratch_load_b64 v[4:5], off, off offset:192
	s_wait_loadcnt 0x0
	v_add_nc_u64_e32 v[4:5], s[24:25], v[4:5]
	s_clause 0x1
	scratch_store_b64 off, v[4:5], off offset:192
	scratch_load_b64 v[4:5], off, off offset:208
	s_wait_loadcnt 0x0
	v_add_nc_u64_e32 v[4:5], s[24:25], v[4:5]
	s_clause 0x1
	scratch_store_b64 off, v[4:5], off offset:208
	scratch_load_b64 v[4:5], off, off offset:224
	s_wait_loadcnt 0x0
	v_add_nc_u64_e32 v[4:5], s[24:25], v[4:5]
	s_clause 0x1
	scratch_store_b64 off, v[4:5], off offset:224
	scratch_load_b64 v[4:5], off, off offset:240
	s_wait_loadcnt 0x0
	v_add_nc_u64_e32 v[4:5], s[24:25], v[4:5]
	s_clause 0x1
	scratch_store_b64 off, v[4:5], off offset:240
	scratch_load_b64 v[4:5], off, off offset:248
	s_wait_loadcnt 0x0
	v_add_nc_u64_e32 v[4:5], s[24:25], v[4:5]
	s_clause 0x1
	scratch_store_b64 off, v[4:5], off offset:248
	scratch_load_b64 v[4:5], off, off offset:256
	s_wait_loadcnt 0x0
	v_add_nc_u64_e32 v[4:5], s[24:25], v[4:5]
	s_clause 0x1
	scratch_store_b64 off, v[4:5], off offset:256
	scratch_load_b64 v[4:5], off, off offset:264
	s_wait_loadcnt 0x0
	v_add_nc_u64_e32 v[4:5], s[24:25], v[4:5]
	scratch_store_b64 off, v[4:5], off offset:264 ; 8-byte Folded Spill
	s_cbranch_vccnz .LBB36_131
.LBB36_89:                              ; =>This Inner Loop Header: Depth=1
	scratch_load_b64 v[4:5], off, off offset:324 ; 8-byte Folded Reload
	v_cmp_ge_i64_e64 s17, s[26:27], s[4:5]
	s_mov_b32 s2, -1
                                        ; implicit-def: $vgpr34_vgpr35
                                        ; implicit-def: $vgpr8_vgpr9
                                        ; implicit-def: $vgpr6_vgpr7
	s_and_b32 vcc_lo, exec_lo, s17
	s_wait_loadcnt 0x0
	v_add_nc_u64_e32 v[74:75], s[26:27], v[4:5]
                                        ; implicit-def: $vgpr4_vgpr5
	s_cbranch_vccz .LBB36_127
; %bb.90:                               ;   in Loop: Header=BB36_89 Depth=1
	s_load_b32 s2, s[22:23], 0xc
	s_clause 0x1
	scratch_load_b32 v3, off, off offset:320
	scratch_load_b32 v4, off, off offset:332
	v_mov_b64_e32 v[98:99], 0
	v_mov_b64_e32 v[76:77], 0
	;; [unrolled: 1-line block ×3, first 2 shown]
	s_wait_kmcnt 0x0
	s_and_b32 s2, s2, 0xffff
	s_wait_loadcnt 0x0
	v_mad_u32_u24 v3, v3, s2, v4
	s_mov_b32 s2, exec_lo
	s_delay_alu instid0(VALU_DEP_1) | instskip(SKIP_1) | instid1(VALU_DEP_1)
	v_and_b32_e32 v4, 31, v3
	s_wait_xcnt 0x0
	v_cmpx_gt_u32_e32 16, v4
	s_cbranch_execz .LBB36_94
; %bb.91:                               ;   in Loop: Header=BB36_89 Depth=1
	v_mov_b32_e32 v5, v2
	v_mov_b64_e32 v[78:79], 0
	v_mov_b64_e32 v[76:77], 0
	s_mov_b32 s17, exec_lo
	s_delay_alu instid0(VALU_DEP_3) | instskip(NEXT) | instid1(VALU_DEP_1)
	v_add_nc_u64_e32 v[4:5], v[74:75], v[4:5]
	v_add_nc_u64_e32 v[4:5], s[8:9], v[4:5]
	s_delay_alu instid0(VALU_DEP_1)
	v_cmpx_gt_i64_e64 s[4:5], v[4:5]
	s_cbranch_execz .LBB36_93
; %bb.92:                               ;   in Loop: Header=BB36_89 Depth=1
	v_lshlrev_b64_e32 v[4:5], 3, v[4:5]
	s_delay_alu instid0(VALU_DEP_1)
	v_add_nc_u64_e32 v[6:7], s[12:13], v[4:5]
	v_add_nc_u64_e32 v[4:5], s[14:15], v[4:5]
	global_load_b64 v[78:79], v[6:7], off
	global_load_b64 v[76:77], v[4:5], off
.LBB36_93:                              ;   in Loop: Header=BB36_89 Depth=1
	s_wait_xcnt 0x0
	s_or_b32 exec_lo, exec_lo, s17
.LBB36_94:                              ;   in Loop: Header=BB36_89 Depth=1
	s_delay_alu instid0(SALU_CYCLE_1)
	s_or_b32 exec_lo, exec_lo, s2
	v_add_nc_u64_e32 v[34:35], s[8:9], v[74:75]
	v_dual_mov_b32 v31, v2 :: v_dual_mov_b32 v32, v2
	v_dual_mov_b32 v33, v2 :: v_dual_mov_b32 v3, v2
	;; [unrolled: 1-line block ×15, first 2 shown]
	v_mov_b32_e32 v30, v2
	v_cmp_gt_i64_e32 vcc_lo, s[4:5], v[34:35]
	v_mov_b64_e32 v[34:35], v[32:33]
	s_delay_alu instid0(VALU_DEP_3)
	v_mov_b64_e32 v[32:33], v[30:31]
	v_mov_b64_e32 v[30:31], v[28:29]
	;; [unrolled: 1-line block ×15, first 2 shown]
	s_and_saveexec_b32 s2, vcc_lo
	s_cbranch_execz .LBB36_96
; %bb.95:                               ;   in Loop: Header=BB36_89 Depth=1
	v_add_nc_u64_e32 v[4:5], v[104:105], v[102:103]
	v_add_nc_u64_e32 v[6:7], v[106:107], v[102:103]
	v_dual_mov_b32 v8, v2 :: v_dual_mov_b32 v9, v2
	v_dual_mov_b32 v10, v2 :: v_dual_mov_b32 v11, v2
	;; [unrolled: 1-line block ×3, first 2 shown]
	global_load_b64 v[4:5], v[4:5], off
	global_load_b64 v[98:99], v[6:7], off
	s_wait_xcnt 0x0
	v_dual_mov_b32 v6, v2 :: v_dual_mov_b32 v7, v2
	v_dual_mov_b32 v14, v2 :: v_dual_mov_b32 v15, v2
	;; [unrolled: 1-line block ×12, first 2 shown]
.LBB36_96:                              ;   in Loop: Header=BB36_89 Depth=1
	s_or_b32 exec_lo, exec_lo, s2
	v_add_nc_u64_e32 v[82:83], s[10:11], v[74:75]
	v_mov_b64_e32 v[96:97], 0
	s_delay_alu instid0(VALU_DEP_2)
	v_cmp_gt_i64_e32 vcc_lo, s[4:5], v[82:83]
	v_mov_b64_e32 v[82:83], 0
	scratch_store_b64 off, v[82:83], off offset:272 ; 8-byte Folded Spill
	s_wait_xcnt 0x0
	s_and_saveexec_b32 s2, vcc_lo
	s_cbranch_execz .LBB36_98
; %bb.97:                               ;   in Loop: Header=BB36_89 Depth=1
	v_add_nc_u64_e32 v[6:7], v[70:71], v[102:103]
	v_add_nc_u64_e32 v[82:83], v[72:73], v[102:103]
	global_load_b64 v[6:7], v[6:7], off
	global_load_b64 v[82:83], v[82:83], off
	s_wait_loadcnt 0x0
	scratch_store_b64 off, v[82:83], off offset:272 ; 8-byte Folded Spill
.LBB36_98:                              ;   in Loop: Header=BB36_89 Depth=1
	s_wait_xcnt 0x0
	s_or_b32 exec_lo, exec_lo, s2
	v_add_nc_u64_e32 v[82:83], s[28:29], v[74:75]
	s_mov_b32 s2, exec_lo
	s_delay_alu instid0(VALU_DEP_1)
	v_cmpx_gt_i64_e64 s[4:5], v[82:83]
	s_cbranch_execz .LBB36_100
; %bb.99:                               ;   in Loop: Header=BB36_89 Depth=1
	v_add_nc_u64_e32 v[8:9], v[66:67], v[102:103]
	v_add_nc_u64_e32 v[82:83], v[68:69], v[102:103]
	global_load_b64 v[8:9], v[8:9], off
	global_load_b64 v[96:97], v[82:83], off
.LBB36_100:                             ;   in Loop: Header=BB36_89 Depth=1
	s_wait_xcnt 0x0
	s_or_b32 exec_lo, exec_lo, s2
	v_add_nc_u64_e32 v[82:83], s[30:31], v[74:75]
	v_mov_b64_e32 v[108:109], 0
	s_delay_alu instid0(VALU_DEP_2)
	v_cmp_gt_i64_e32 vcc_lo, s[4:5], v[82:83]
	v_mov_b64_e32 v[82:83], 0
	scratch_store_b64 off, v[82:83], off offset:288 ; 8-byte Folded Spill
	s_wait_xcnt 0x0
	s_and_saveexec_b32 s2, vcc_lo
	s_cbranch_execz .LBB36_102
; %bb.101:                              ;   in Loop: Header=BB36_89 Depth=1
	v_add_nc_u64_e32 v[10:11], v[60:61], v[102:103]
	v_add_nc_u64_e32 v[82:83], v[62:63], v[102:103]
	global_load_b64 v[10:11], v[10:11], off
	global_load_b64 v[82:83], v[82:83], off
	s_wait_loadcnt 0x0
	scratch_store_b64 off, v[82:83], off offset:288 ; 8-byte Folded Spill
.LBB36_102:                             ;   in Loop: Header=BB36_89 Depth=1
	s_wait_xcnt 0x0
	s_or_b32 exec_lo, exec_lo, s2
	v_add_nc_u64_e32 v[82:83], s[34:35], v[74:75]
	s_mov_b32 s2, exec_lo
	s_delay_alu instid0(VALU_DEP_1)
	v_cmpx_gt_i64_e64 s[4:5], v[82:83]
	s_cbranch_execz .LBB36_104
; %bb.103:                              ;   in Loop: Header=BB36_89 Depth=1
	v_add_nc_u64_e32 v[12:13], v[56:57], v[102:103]
	v_add_nc_u64_e32 v[82:83], v[58:59], v[102:103]
	global_load_b64 v[12:13], v[12:13], off
	global_load_b64 v[108:109], v[82:83], off
.LBB36_104:                             ;   in Loop: Header=BB36_89 Depth=1
	s_wait_xcnt 0x0
	s_or_b32 exec_lo, exec_lo, s2
	v_add_nc_u64_e32 v[82:83], s[36:37], v[74:75]
	v_mov_b64_e32 v[84:85], 0
	s_delay_alu instid0(VALU_DEP_2)
	v_cmp_gt_i64_e32 vcc_lo, s[4:5], v[82:83]
	v_mov_b64_e32 v[82:83], 0
	s_clause 0x1
	scratch_store_b64 off, v[84:85], off offset:280
	scratch_store_b64 off, v[82:83], off offset:304
	s_wait_xcnt 0x0
	s_and_saveexec_b32 s2, vcc_lo
	s_cbranch_execz .LBB36_106
; %bb.105:                              ;   in Loop: Header=BB36_89 Depth=1
	v_add_nc_u64_e32 v[14:15], v[52:53], v[102:103]
	v_add_nc_u64_e32 v[82:83], v[54:55], v[102:103]
	global_load_b64 v[14:15], v[14:15], off
	global_load_b64 v[82:83], v[82:83], off
	s_wait_loadcnt 0x0
	scratch_store_b64 off, v[82:83], off offset:304 ; 8-byte Folded Spill
.LBB36_106:                             ;   in Loop: Header=BB36_89 Depth=1
	s_wait_xcnt 0x0
	s_or_b32 exec_lo, exec_lo, s2
	v_add_nc_u64_e32 v[82:83], s[38:39], v[74:75]
	s_mov_b32 s2, exec_lo
	s_delay_alu instid0(VALU_DEP_1)
	v_cmpx_gt_i64_e64 s[4:5], v[82:83]
	s_cbranch_execz .LBB36_108
; %bb.107:                              ;   in Loop: Header=BB36_89 Depth=1
	v_add_nc_u64_e32 v[16:17], v[48:49], v[102:103]
	v_add_nc_u64_e32 v[82:83], v[50:51], v[102:103]
	global_load_b64 v[16:17], v[16:17], off
	global_load_b64 v[82:83], v[82:83], off
	s_wait_loadcnt 0x0
	scratch_store_b64 off, v[82:83], off offset:280 ; 8-byte Folded Spill
.LBB36_108:                             ;   in Loop: Header=BB36_89 Depth=1
	s_wait_xcnt 0x0
	s_or_b32 exec_lo, exec_lo, s2
	v_add_nc_u64_e32 v[82:83], s[40:41], v[74:75]
	v_mov_b64_e32 v[84:85], 0
	s_delay_alu instid0(VALU_DEP_2)
	v_cmp_gt_i64_e32 vcc_lo, s[4:5], v[82:83]
	v_mov_b64_e32 v[82:83], 0
	s_clause 0x1
	scratch_store_b64 off, v[84:85], off offset:296
	scratch_store_b64 off, v[82:83], off offset:312
	s_wait_xcnt 0x0
	s_and_saveexec_b32 s2, vcc_lo
	s_cbranch_execz .LBB36_110
; %bb.109:                              ;   in Loop: Header=BB36_89 Depth=1
	v_add_nc_u64_e32 v[18:19], v[44:45], v[102:103]
	v_add_nc_u64_e32 v[82:83], v[46:47], v[102:103]
	global_load_b64 v[18:19], v[18:19], off
	global_load_b64 v[82:83], v[82:83], off
	s_wait_loadcnt 0x0
	scratch_store_b64 off, v[82:83], off offset:312 ; 8-byte Folded Spill
.LBB36_110:                             ;   in Loop: Header=BB36_89 Depth=1
	s_wait_xcnt 0x0
	s_or_b32 exec_lo, exec_lo, s2
	v_add_nc_u64_e32 v[84:85], s[42:43], v[74:75]
	s_mov_b32 s2, exec_lo
	s_delay_alu instid0(VALU_DEP_1)
	v_cmpx_gt_i64_e64 s[4:5], v[84:85]
	s_cbranch_execz .LBB36_112
; %bb.111:                              ;   in Loop: Header=BB36_89 Depth=1
	v_add_nc_u64_e32 v[20:21], v[40:41], v[102:103]
	v_add_nc_u64_e32 v[84:85], v[42:43], v[102:103]
	global_load_b64 v[20:21], v[20:21], off
	global_load_b64 v[82:83], v[84:85], off
	s_wait_loadcnt 0x0
	scratch_store_b64 off, v[82:83], off offset:296 ; 8-byte Folded Spill
.LBB36_112:                             ;   in Loop: Header=BB36_89 Depth=1
	s_wait_xcnt 0x0
	s_or_b32 exec_lo, exec_lo, s2
	v_add_nc_u64_e32 v[84:85], s[44:45], v[74:75]
	v_mov_b64_e32 v[110:111], 0
	v_mov_b64_e32 v[88:89], 0
	s_mov_b32 s2, exec_lo
	s_delay_alu instid0(VALU_DEP_3)
	v_cmpx_gt_i64_e64 s[4:5], v[84:85]
	s_cbranch_execz .LBB36_114
; %bb.113:                              ;   in Loop: Header=BB36_89 Depth=1
	v_add_nc_u64_e32 v[22:23], v[36:37], v[102:103]
	v_add_nc_u64_e32 v[84:85], v[38:39], v[102:103]
	global_load_b64 v[22:23], v[22:23], off
	global_load_b64 v[88:89], v[84:85], off
.LBB36_114:                             ;   in Loop: Header=BB36_89 Depth=1
	s_wait_xcnt 0x0
	s_or_b32 exec_lo, exec_lo, s2
	v_add_nc_u64_e32 v[84:85], s[46:47], v[74:75]
	s_mov_b32 s2, exec_lo
	s_delay_alu instid0(VALU_DEP_1)
	v_cmpx_gt_i64_e64 s[4:5], v[84:85]
	s_cbranch_execz .LBB36_116
; %bb.115:                              ;   in Loop: Header=BB36_89 Depth=1
	v_add_nc_u64_e32 v[24:25], v[80:81], v[102:103]
	v_add_nc_u64_e32 v[84:85], v[0:1], v[102:103]
	global_load_b64 v[24:25], v[24:25], off
	global_load_b64 v[110:111], v[84:85], off
.LBB36_116:                             ;   in Loop: Header=BB36_89 Depth=1
	s_wait_xcnt 0x0
	s_or_b32 exec_lo, exec_lo, s2
	v_add_nc_u64_e32 v[86:87], s[48:49], v[74:75]
	v_mov_b64_e32 v[112:113], 0
	v_mov_b64_e32 v[90:91], 0
	s_mov_b32 s2, exec_lo
	s_delay_alu instid0(VALU_DEP_3)
	v_cmpx_gt_i64_e64 s[4:5], v[86:87]
	s_cbranch_execz .LBB36_118
; %bb.117:                              ;   in Loop: Header=BB36_89 Depth=1
	v_add_nc_u64_e32 v[26:27], v[124:125], v[102:103]
	v_add_nc_u64_e32 v[86:87], v[126:127], v[102:103]
	global_load_b64 v[26:27], v[26:27], off
	global_load_b64 v[90:91], v[86:87], off
.LBB36_118:                             ;   in Loop: Header=BB36_89 Depth=1
	s_wait_xcnt 0x0
	s_or_b32 exec_lo, exec_lo, s2
	v_add_nc_u64_e32 v[86:87], s[50:51], v[74:75]
	s_mov_b32 s2, exec_lo
	s_delay_alu instid0(VALU_DEP_1)
	v_cmpx_gt_i64_e64 s[4:5], v[86:87]
	s_cbranch_execz .LBB36_120
; %bb.119:                              ;   in Loop: Header=BB36_89 Depth=1
	v_add_nc_u64_e32 v[28:29], v[120:121], v[102:103]
	v_add_nc_u64_e32 v[84:85], v[122:123], v[102:103]
	global_load_b64 v[28:29], v[28:29], off
	global_load_b64 v[112:113], v[84:85], off
.LBB36_120:                             ;   in Loop: Header=BB36_89 Depth=1
	s_wait_xcnt 0x0
	s_or_b32 exec_lo, exec_lo, s2
	v_add_nc_u64_e32 v[92:93], s[52:53], v[74:75]
	v_mov_b64_e32 v[82:83], 0
	s_delay_alu instid0(VALU_DEP_2)
	v_cmp_gt_i64_e32 vcc_lo, s[4:5], v[92:93]
	v_mov_b64_e32 v[92:93], 0
	s_and_saveexec_b32 s2, vcc_lo
	s_cbranch_execz .LBB36_122
; %bb.121:                              ;   in Loop: Header=BB36_89 Depth=1
	v_add_nc_u64_e32 v[30:31], v[116:117], v[102:103]
	v_add_nc_u64_e32 v[92:93], v[118:119], v[102:103]
	global_load_b64 v[30:31], v[30:31], off
	global_load_b64 v[92:93], v[92:93], off
.LBB36_122:                             ;   in Loop: Header=BB36_89 Depth=1
	s_wait_xcnt 0x0
	s_or_b32 exec_lo, exec_lo, s2
	v_add_nc_u64_e32 v[94:95], s[54:55], v[74:75]
	s_mov_b32 s2, exec_lo
	s_delay_alu instid0(VALU_DEP_1)
	v_cmpx_gt_i64_e64 s[4:5], v[94:95]
	s_cbranch_execz .LBB36_124
; %bb.123:                              ;   in Loop: Header=BB36_89 Depth=1
	scratch_load_b64 v[32:33], off, off offset:264 ; 8-byte Folded Reload
	v_add_nc_u64_e32 v[86:87], v[114:115], v[102:103]
	s_wait_loadcnt 0x0
	v_add_nc_u64_e32 v[32:33], v[32:33], v[102:103]
	global_load_b64 v[32:33], v[32:33], off
	global_load_b64 v[82:83], v[86:87], off
.LBB36_124:                             ;   in Loop: Header=BB36_89 Depth=1
	s_wait_xcnt 0x0
	s_or_b32 exec_lo, exec_lo, s2
	v_add_nc_u64_e32 v[94:95], s[56:57], v[74:75]
	s_wait_loadcnt 0x0
	v_mov_b64_e32 v[86:87], v[96:97]
	scratch_store_b64 off, v[82:83], off offset:336 ; 8-byte Folded Spill
	v_cmp_gt_i64_e32 vcc_lo, s[4:5], v[94:95]
	v_mov_b64_e32 v[94:95], 0
	s_wait_xcnt 0x0
	s_and_saveexec_b32 s2, vcc_lo
	s_cbranch_execz .LBB36_126
; %bb.125:                              ;   in Loop: Header=BB36_89 Depth=1
	s_clause 0x1
	scratch_load_b64 v[34:35], off, off offset:248
	scratch_load_b64 v[82:83], off, off offset:256
	s_wait_loadcnt 0x1
	v_add_nc_u64_e32 v[34:35], v[34:35], v[102:103]
	s_wait_loadcnt 0x0
	v_add_nc_u64_e32 v[94:95], v[82:83], v[102:103]
	global_load_b64 v[34:35], v[34:35], off
	global_load_b64 v[94:95], v[94:95], off
.LBB36_126:                             ;   in Loop: Header=BB36_89 Depth=1
	s_wait_xcnt 0x0
	s_or_b32 exec_lo, exec_lo, s2
	scratch_load_b64 v[82:83], off, off offset:272 th:TH_LOAD_LU ; 8-byte Folded Reload
	ds_bpermute_b32 v100, v2, v78 offset:8
	ds_bpermute_b32 v101, v2, v79 offset:8
	ds_bpermute_b32 v96, v2, v78
	ds_bpermute_b32 v97, v2, v79
	s_mov_b32 s2, 0
	s_wait_dscnt 0x2
	v_add_f64_e64 v[100:101], v[86:87], -v[100:101]
	s_clause 0x1
	scratch_load_b64 v[86:87], off, off offset:288 th:TH_LOAD_LU
	scratch_load_b64 v[84:85], off, off
	s_wait_dscnt 0x0
	v_add_f64_e64 v[96:97], v[98:99], -v[96:97]
	ds_bpermute_b32 v98, v2, v78 offset:4
	ds_bpermute_b32 v99, v2, v79 offset:4
	v_mul_f64_e32 v[96:97], v[4:5], v[96:97]
	s_wait_loadcnt_dscnt 0x200
	v_add_f64_e64 v[98:99], v[82:83], -v[98:99]
	ds_bpermute_b32 v82, v2, v76
	ds_bpermute_b32 v83, v2, v77
	s_wait_loadcnt 0x0
	v_add_f64_e32 v[84:85], v[84:85], v[4:5]
	s_wait_dscnt 0x0
	v_fma_f64 v[4:5], v[96:97], v[82:83], v[64:65]
	ds_bpermute_b32 v82, v2, v78 offset:12
	ds_bpermute_b32 v83, v2, v79 offset:12
	;; [unrolled: 1-line block ×4, first 2 shown]
	v_mul_f64_e32 v[98:99], v[6:7], v[98:99]
	s_wait_dscnt 0x2
	v_add_f64_e64 v[82:83], v[86:87], -v[82:83]
	scratch_load_b64 v[86:87], off, off offset:304 th:TH_LOAD_LU ; 8-byte Folded Reload
	v_add_f64_e32 v[6:7], v[6:7], v[84:85]
	v_mul_f64_e32 v[84:85], v[8:9], v[100:101]
	s_wait_dscnt 0x0
	v_fmac_f64_e32 v[4:5], v[98:99], v[96:97]
	ds_bpermute_b32 v98, v2, v76 offset:8
	ds_bpermute_b32 v99, v2, v77 offset:8
	;; [unrolled: 1-line block ×4, first 2 shown]
	v_mul_f64_e32 v[82:83], v[10:11], v[82:83]
	s_wait_dscnt 0x0
	v_add_f64_e64 v[96:97], v[108:109], -v[96:97]
	v_add_f64_e32 v[6:7], v[8:9], v[6:7]
	ds_bpermute_b32 v8, v2, v78 offset:20
	ds_bpermute_b32 v9, v2, v79 offset:20
	v_fmac_f64_e32 v[4:5], v[84:85], v[98:99]
	ds_bpermute_b32 v84, v2, v76 offset:12
	ds_bpermute_b32 v85, v2, v77 offset:12
	v_mul_f64_e32 v[96:97], v[12:13], v[96:97]
	v_add_f64_e32 v[6:7], v[10:11], v[6:7]
	ds_bpermute_b32 v10, v2, v78 offset:24
	ds_bpermute_b32 v11, v2, v79 offset:24
	s_wait_dscnt 0x2
	v_fmac_f64_e32 v[4:5], v[82:83], v[84:85]
	scratch_load_b64 v[84:85], off, off offset:280 th:TH_LOAD_LU ; 8-byte Folded Reload
	ds_bpermute_b32 v82, v2, v76 offset:16
	ds_bpermute_b32 v83, v2, v77 offset:16
	v_add_f64_e32 v[6:7], v[12:13], v[6:7]
	ds_bpermute_b32 v12, v2, v78 offset:28
	ds_bpermute_b32 v13, v2, v79 offset:28
	s_wait_dscnt 0x2
	v_fmac_f64_e32 v[4:5], v[96:97], v[82:83]
	ds_bpermute_b32 v82, v2, v76 offset:20
	ds_bpermute_b32 v83, v2, v77 offset:20
	v_add_f64_e32 v[6:7], v[14:15], v[6:7]
	s_delay_alu instid0(VALU_DEP_1) | instskip(NEXT) | instid1(VALU_DEP_1)
	v_add_f64_e32 v[6:7], v[16:17], v[6:7]
	v_add_f64_e32 v[6:7], v[18:19], v[6:7]
	s_delay_alu instid0(VALU_DEP_1) | instskip(NEXT) | instid1(VALU_DEP_1)
	v_add_f64_e32 v[6:7], v[20:21], v[6:7]
	v_add_f64_e32 v[6:7], v[22:23], v[6:7]
	s_delay_alu instid0(VALU_DEP_1) | instskip(SKIP_2) | instid1(VALU_DEP_2)
	v_add_f64_e32 v[6:7], v[24:25], v[6:7]
	s_wait_loadcnt 0x1
	v_add_f64_e64 v[8:9], v[86:87], -v[8:9]
	v_add_f64_e32 v[6:7], v[26:27], v[6:7]
	s_delay_alu instid0(VALU_DEP_2)
	v_mul_f64_e32 v[8:9], v[14:15], v[8:9]
	ds_bpermute_b32 v14, v2, v76 offset:24
	ds_bpermute_b32 v15, v2, v77 offset:24
	v_add_f64_e32 v[6:7], v[28:29], v[6:7]
	s_wait_dscnt 0x2
	v_fmac_f64_e32 v[4:5], v[8:9], v[82:83]
	scratch_load_b64 v[82:83], off, off offset:296 th:TH_LOAD_LU ; 8-byte Folded Reload
	ds_bpermute_b32 v8, v2, v78 offset:32
	ds_bpermute_b32 v9, v2, v79 offset:32
	v_add_f64_e32 v[6:7], v[30:31], v[6:7]
	s_wait_loadcnt 0x1
	v_add_f64_e64 v[10:11], v[84:85], -v[10:11]
	scratch_load_b64 v[84:85], off, off offset:312 th:TH_LOAD_LU ; 8-byte Folded Reload
	v_add_f64_e32 v[6:7], v[32:33], v[6:7]
	v_mul_f64_e32 v[10:11], v[16:17], v[10:11]
	ds_bpermute_b32 v16, v2, v78 offset:60
	ds_bpermute_b32 v17, v2, v79 offset:60
	s_wait_dscnt 0x4
	v_fmac_f64_e32 v[4:5], v[10:11], v[14:15]
	ds_bpermute_b32 v10, v2, v78 offset:36
	ds_bpermute_b32 v11, v2, v79 offset:36
	;; [unrolled: 1-line block ×4, first 2 shown]
	s_wait_dscnt 0x2
	v_add_f64_e64 v[10:11], v[88:89], -v[10:11]
	s_delay_alu instid0(VALU_DEP_1) | instskip(SKIP_4) | instid1(VALU_DEP_2)
	v_mul_f64_e32 v[10:11], v[22:23], v[10:11]
	s_wait_loadcnt 0x1
	v_add_f64_e64 v[8:9], v[82:83], -v[8:9]
	s_wait_loadcnt 0x0
	v_add_f64_e64 v[12:13], v[84:85], -v[12:13]
	v_mul_f64_e32 v[8:9], v[20:21], v[8:9]
	s_delay_alu instid0(VALU_DEP_2)
	v_mul_f64_e32 v[12:13], v[18:19], v[12:13]
	scratch_load_b64 v[18:19], off, off offset:336 th:TH_LOAD_LU ; 8-byte Folded Reload
	s_wait_dscnt 0x0
	v_fmac_f64_e32 v[4:5], v[12:13], v[14:15]
	ds_bpermute_b32 v12, v2, v78 offset:40
	ds_bpermute_b32 v13, v2, v79 offset:40
	;; [unrolled: 1-line block ×4, first 2 shown]
	s_wait_dscnt 0x2
	v_add_f64_e64 v[12:13], v[110:111], -v[12:13]
	s_wait_dscnt 0x0
	v_fmac_f64_e32 v[4:5], v[8:9], v[14:15]
	ds_bpermute_b32 v8, v2, v78 offset:44
	ds_bpermute_b32 v9, v2, v79 offset:44
	ds_bpermute_b32 v14, v2, v76 offset:36
	ds_bpermute_b32 v15, v2, v77 offset:36
	s_wait_dscnt 0x2
	v_add_f64_e64 v[8:9], v[90:91], -v[8:9]
	v_mul_f64_e32 v[12:13], v[24:25], v[12:13]
	s_wait_dscnt 0x0
	v_fmac_f64_e32 v[4:5], v[10:11], v[14:15]
	ds_bpermute_b32 v10, v2, v78 offset:48
	ds_bpermute_b32 v11, v2, v79 offset:48
	ds_bpermute_b32 v14, v2, v76 offset:40
	ds_bpermute_b32 v15, v2, v77 offset:40
	s_wait_dscnt 0x2
	v_add_f64_e64 v[10:11], v[112:113], -v[10:11]
	v_mul_f64_e32 v[8:9], v[26:27], v[8:9]
	;; [unrolled: 9-line block ×3, first 2 shown]
	s_wait_dscnt 0x0
	v_fmac_f64_e32 v[4:5], v[8:9], v[14:15]
	ds_bpermute_b32 v8, v2, v78 offset:56
	ds_bpermute_b32 v9, v2, v79 offset:56
	;; [unrolled: 1-line block ×4, first 2 shown]
	v_mul_f64_e32 v[12:13], v[30:31], v[12:13]
	s_wait_dscnt 0x0
	v_fmac_f64_e32 v[4:5], v[10:11], v[14:15]
	v_add_f64_e64 v[10:11], v[94:95], -v[16:17]
	ds_bpermute_b32 v14, v2, v76 offset:52
	ds_bpermute_b32 v15, v2, v77 offset:52
	s_wait_dscnt 0x0
	v_fmac_f64_e32 v[4:5], v[12:13], v[14:15]
	v_mul_f64_e32 v[10:11], v[34:35], v[10:11]
	ds_bpermute_b32 v12, v2, v76 offset:56
	ds_bpermute_b32 v13, v2, v77 offset:56
	;; [unrolled: 1-line block ×4, first 2 shown]
	s_wait_loadcnt 0x0
	v_add_f64_e64 v[8:9], v[18:19], -v[8:9]
	s_delay_alu instid0(VALU_DEP_1) | instskip(SKIP_1) | instid1(VALU_DEP_1)
	v_mul_f64_e32 v[8:9], v[32:33], v[8:9]
	s_wait_dscnt 0x2
	v_fmac_f64_e32 v[4:5], v[8:9], v[12:13]
	s_wait_dscnt 0x0
	v_mul_f64_e32 v[8:9], v[10:11], v[14:15]
.LBB36_127:                             ;   in Loop: Header=BB36_89 Depth=1
	s_and_b32 vcc_lo, exec_lo, s2
	s_cbranch_vccz .LBB36_88
; %bb.128:                              ;   in Loop: Header=BB36_89 Depth=1
	s_load_b32 s2, s[22:23], 0x0
	v_mov_b64_e32 v[6:7], 0
	s_wait_kmcnt 0x0
	s_cmp_lt_u32 s16, s2
	s_cselect_b32 s2, 12, 18
	s_delay_alu instid0(SALU_CYCLE_1)
	s_add_nc_u64 s[58:59], s[22:23], s[2:3]
	s_load_u16 s2, s[58:59], 0x0
	s_clause 0x1
	scratch_load_b32 v3, off, off offset:320
	scratch_load_b32 v4, off, off offset:332
	s_wait_loadcnt 0x0
	s_wait_kmcnt 0x0
	v_mad_u32_u24 v3, v3, s2, v4
	v_mov_b64_e32 v[4:5], 0
	s_mov_b32 s2, exec_lo
	s_delay_alu instid0(VALU_DEP_2) | instskip(SKIP_1) | instid1(VALU_DEP_1)
	v_and_b32_e32 v8, 31, v3
	s_wait_xcnt 0x0
	v_cmpx_gt_u32_e32 16, v8
	s_cbranch_execz .LBB36_87
; %bb.129:                              ;   in Loop: Header=BB36_89 Depth=1
	v_mov_b32_e32 v9, v2
	v_mov_b64_e32 v[6:7], 0
	s_mov_b32 s17, exec_lo
	s_delay_alu instid0(VALU_DEP_2) | instskip(NEXT) | instid1(VALU_DEP_1)
	v_add_nc_u64_e32 v[4:5], v[74:75], v[8:9]
	v_add_nc_u64_e32 v[8:9], s[8:9], v[4:5]
	v_mov_b64_e32 v[4:5], 0
	s_delay_alu instid0(VALU_DEP_2)
	v_cmpx_gt_i64_e64 s[4:5], v[8:9]
	s_cbranch_execz .LBB36_86
; %bb.130:                              ;   in Loop: Header=BB36_89 Depth=1
	v_lshlrev_b64_e32 v[4:5], 3, v[8:9]
	s_delay_alu instid0(VALU_DEP_1)
	v_add_nc_u64_e32 v[6:7], s[12:13], v[4:5]
	v_add_nc_u64_e32 v[4:5], s[14:15], v[4:5]
	global_load_b64 v[6:7], v[6:7], off
	global_load_b64 v[4:5], v[4:5], off
	s_branch .LBB36_86
.LBB36_131:
	scratch_load_b32 v0, off, off offset:344 ; 4-byte Folded Reload
.LBB36_132:
	scratch_load_b64 v[4:5], off, off th:TH_LOAD_LU ; 8-byte Folded Reload
	s_wait_loadcnt 0x1
	v_and_b32_e32 v1, 0x3ff, v0
	v_bfe_u32 v0, v0, 10, 10
	s_mov_b32 s2, exec_lo
	s_wait_xcnt 0x1
	s_delay_alu instid0(VALU_DEP_1) | instskip(NEXT) | instid1(VALU_DEP_1)
	v_mad_u32_u24 v2, 0x41, v0, v1
	v_lshl_add_u32 v3, v2, 3, 0
	v_sub_nc_u32_e32 v8, v2, v0
	ds_store_b64 v3, v[64:65]
	s_wait_loadcnt 0x0
	ds_store_b64 v3, v[4:5] offset:8320
	s_wait_storecnt_dscnt 0x0
	s_barrier_signal -1
	s_barrier_wait -1
	s_wait_xcnt 0x0
	v_cmpx_gt_u32_e32 0x800, v8
	s_cbranch_execz .LBB36_148
; %bb.133:
	s_load_b128 s[8:11], s[0:1], 0x30
	v_dual_lshrrev_b32 v0, 5, v8 :: v_dual_bitop2_b32 v2, 31, v1 bitop3:0x40
                                        ; implicit-def: $vgpr4_vgpr5
	s_wait_xcnt 0x0
	s_delay_alu instid0(VALU_DEP_1)
	v_cmp_gt_u32_e64 s0, 16, v2
	v_mul_u32_u24_e32 v9, 0x41, v2
                                        ; implicit-def: $vgpr2_vgpr3
	s_and_saveexec_b32 s1, s0
	s_cbranch_execz .LBB36_135
; %bb.134:
	s_delay_alu instid0(VALU_DEP_1) | instskip(NEXT) | instid1(VALU_DEP_1)
	v_add_nc_u32_e32 v2, v0, v9
	v_lshl_add_u32 v2, v2, 3, 0
	ds_load_b64 v[4:5], v2
	ds_load_b64 v[2:3], v2 offset:8320
.LBB36_135:
	s_or_b32 exec_lo, exec_lo, s1
	v_mbcnt_lo_u32_b32 v16, -1, 0
	s_mov_b32 s17, 0
	v_cmp_eq_u32_e64 s1, 0, v1
	s_lshl_b64 s[2:3], s[16:17], 6
	s_wait_kmcnt 0x0
	s_cmp_lg_u64 s[8:9], 0
	v_xor_b32_e32 v6, 8, v16
	s_cselect_b32 s5, -1, 0
	s_cmp_lg_u64 s[10:11], 0
	v_mov_b32_e32 v1, 0
	s_cselect_b32 s4, -1, 0
	v_cmp_gt_i32_e32 vcc_lo, 32, v6
	v_cndmask_b32_e32 v6, v16, v6, vcc_lo
	s_delay_alu instid0(VALU_DEP_1)
	v_lshlrev_b32_e32 v10, 2, v6
	s_wait_dscnt 0x1
	ds_bpermute_b32 v6, v10, v4
	ds_bpermute_b32 v7, v10, v5
	s_wait_dscnt 0x0
	v_dual_add_f64 v[4:5], v[4:5], v[6:7] :: v_dual_bitop2_b32 v6, 4, v16 bitop3:0x14
	ds_bpermute_b32 v12, v10, v2
	ds_bpermute_b32 v13, v10, v3
	v_cmp_gt_i32_e32 vcc_lo, 32, v6
	s_wait_dscnt 0x0
	v_dual_add_f64 v[2:3], v[2:3], v[12:13] :: v_dual_cndmask_b32 v6, v16, v6, vcc_lo
	s_delay_alu instid0(VALU_DEP_1) | instskip(SKIP_4) | instid1(VALU_DEP_1)
	v_lshlrev_b32_e32 v11, 2, v6
	ds_bpermute_b32 v6, v11, v4
	ds_bpermute_b32 v7, v11, v5
	s_wait_dscnt 0x0
	v_dual_add_f64 v[4:5], v[4:5], v[6:7] :: v_dual_bitop2_b32 v6, 2, v16 bitop3:0x14
	v_cmp_gt_i32_e32 vcc_lo, 32, v6
	v_cndmask_b32_e32 v6, v16, v6, vcc_lo
	ds_bpermute_b32 v12, v11, v2
	ds_bpermute_b32 v13, v11, v3
	s_wait_dscnt 0x0
	v_dual_add_f64 v[2:3], v[2:3], v[12:13] :: v_dual_lshlrev_b32 v12, 2, v6
	ds_bpermute_b32 v6, v12, v4
	ds_bpermute_b32 v7, v12, v5
	s_wait_dscnt 0x0
	v_add_f64_e32 v[4:5], v[4:5], v[6:7]
	ds_bpermute_b32 v14, v12, v2
	ds_bpermute_b32 v15, v12, v3
	s_wait_dscnt 0x0
	v_dual_add_f64 v[6:7], v[2:3], v[14:15] :: v_dual_bitop2_b32 v2, 1, v16 bitop3:0x14
	s_delay_alu instid0(VALU_DEP_1) | instskip(SKIP_1) | instid1(VALU_DEP_1)
	v_cmp_gt_i32_e32 vcc_lo, 32, v2
	v_cndmask_b32_e32 v2, v16, v2, vcc_lo
	v_lshlrev_b32_e32 v13, 2, v2
	ds_bpermute_b32 v2, v13, v4
	ds_bpermute_b32 v3, v13, v5
	;; [unrolled: 1-line block ×4, first 2 shown]
	s_wait_dscnt 0x2
	v_add_f64_e32 v[2:3], v[4:5], v[2:3]
	s_wait_dscnt 0x0
	v_dual_add_f64 v[4:5], v[6:7], v[14:15] :: v_dual_bitop2_b32 v6, s2, v0 bitop3:0x54
	v_mov_b32_e32 v7, s3
	s_delay_alu instid0(VALU_DEP_1) | instskip(SKIP_1) | instid1(SALU_CYCLE_1)
	v_cmp_gt_i64_e32 vcc_lo, s[6:7], v[6:7]
	s_and_b32 s13, s1, vcc_lo
	s_and_saveexec_b32 s12, s13
	s_cbranch_execz .LBB36_140
; %bb.136:
	s_and_not1_b32 vcc_lo, exec_lo, s5
	s_cbranch_vccnz .LBB36_138
; %bb.137:
	v_lshl_add_u64 v[14:15], v[6:7], 3, s[8:9]
	global_store_b64 v[14:15], v[2:3], off
.LBB36_138:
	s_and_not1_b32 vcc_lo, exec_lo, s4
	s_cbranch_vccnz .LBB36_140
; %bb.139:
	v_lshl_add_u64 v[6:7], v[6:7], 3, s[10:11]
	global_store_b64 v[6:7], v[4:5], off
.LBB36_140:
	s_wait_xcnt 0x0
	s_or_b32 exec_lo, exec_lo, s12
	v_cmp_gt_u32_e32 vcc_lo, 0x400, v8
	s_and_b32 exec_lo, exec_lo, vcc_lo
	s_cbranch_execz .LBB36_148
; %bb.141:
	s_and_saveexec_b32 s12, s0
	s_cbranch_execz .LBB36_143
; %bb.142:
	v_add_nc_u32_e32 v2, v0, v9
	s_delay_alu instid0(VALU_DEP_1)
	v_lshl_add_u32 v4, v2, 3, 0
	ds_load_b64 v[2:3], v4 offset:256
	ds_load_b64 v[4:5], v4 offset:8576
.LBB36_143:
	s_or_b32 exec_lo, exec_lo, s12
	s_wait_dscnt 0x1
	ds_bpermute_b32 v6, v10, v2
	ds_bpermute_b32 v7, v10, v3
	s_wait_dscnt 0x2
	ds_bpermute_b32 v8, v10, v4
	ds_bpermute_b32 v9, v10, v5
	v_add_nc_u32_e32 v10, 32, v0
	s_delay_alu instid0(VALU_DEP_1)
	v_or_b32_e32 v10, s2, v10
	s_wait_dscnt 0x2
	v_add_f64_e32 v[2:3], v[2:3], v[6:7]
	s_wait_dscnt 0x0
	v_add_f64_e32 v[4:5], v[4:5], v[8:9]
	ds_bpermute_b32 v6, v11, v2
	ds_bpermute_b32 v7, v11, v3
	;; [unrolled: 1-line block ×4, first 2 shown]
	v_mov_b32_e32 v11, s3
	s_delay_alu instid0(VALU_DEP_1)
	v_cmp_gt_i64_e32 vcc_lo, s[6:7], v[10:11]
	s_and_b32 s0, s1, vcc_lo
	s_wait_dscnt 0x2
	v_add_f64_e32 v[2:3], v[2:3], v[6:7]
	s_wait_dscnt 0x0
	v_add_f64_e32 v[4:5], v[4:5], v[8:9]
	ds_bpermute_b32 v6, v12, v2
	ds_bpermute_b32 v7, v12, v3
	;; [unrolled: 1-line block ×4, first 2 shown]
	s_wait_dscnt 0x2
	v_add_f64_e32 v[6:7], v[2:3], v[6:7]
	s_wait_dscnt 0x0
	v_add_f64_e32 v[2:3], v[4:5], v[8:9]
	ds_bpermute_b32 v8, v13, v6
	ds_bpermute_b32 v9, v13, v7
	;; [unrolled: 1-line block ×4, first 2 shown]
	s_and_b32 exec_lo, exec_lo, s0
	s_cbranch_execz .LBB36_148
; %bb.144:
	v_add_nc_u64_e32 v[0:1], s[2:3], v[0:1]
	s_and_not1_b32 vcc_lo, exec_lo, s5
	s_cbranch_vccnz .LBB36_146
; %bb.145:
	s_wait_dscnt 0x2
	v_add_f64_e32 v[6:7], v[6:7], v[8:9]
	s_delay_alu instid0(VALU_DEP_2)
	v_lshl_add_u64 v[8:9], v[0:1], 3, s[8:9]
	global_store_b64 v[8:9], v[6:7], off offset:256
.LBB36_146:
	s_and_not1_b32 vcc_lo, exec_lo, s4
	s_cbranch_vccnz .LBB36_148
; %bb.147:
	s_wait_dscnt 0x0
	v_add_f64_e32 v[2:3], v[2:3], v[4:5]
	v_lshl_add_u64 v[0:1], v[0:1], 3, s[10:11]
	global_store_b64 v[0:1], v[2:3], off offset:256
.LBB36_148:
	s_sendmsg sendmsg(MSG_DEALLOC_VGPRS)
	s_endpgm
	.section	.rodata,"a",@progbits
	.p2align	6, 0x0
	.amdhsa_kernel _ZN2at6native12_GLOBAL__N_135GammaBetaBackwardCUDAKernelTemplateIddLj64ELj16ELj256ELb0ELb0ELb0EEEvllPKT_S5_PKT0_S8_PS3_S9_
		.amdhsa_group_segment_fixed_size 0
		.amdhsa_private_segment_fixed_size 352
		.amdhsa_kernarg_size 320
		.amdhsa_user_sgpr_count 2
		.amdhsa_user_sgpr_dispatch_ptr 0
		.amdhsa_user_sgpr_queue_ptr 0
		.amdhsa_user_sgpr_kernarg_segment_ptr 1
		.amdhsa_user_sgpr_dispatch_id 0
		.amdhsa_user_sgpr_kernarg_preload_length 0
		.amdhsa_user_sgpr_kernarg_preload_offset 0
		.amdhsa_user_sgpr_private_segment_size 0
		.amdhsa_wavefront_size32 1
		.amdhsa_uses_dynamic_stack 0
		.amdhsa_enable_private_segment 1
		.amdhsa_system_sgpr_workgroup_id_x 1
		.amdhsa_system_sgpr_workgroup_id_y 1
		.amdhsa_system_sgpr_workgroup_id_z 0
		.amdhsa_system_sgpr_workgroup_info 0
		.amdhsa_system_vgpr_workitem_id 1
		.amdhsa_next_free_vgpr 128
		.amdhsa_next_free_sgpr 68
		.amdhsa_named_barrier_count 0
		.amdhsa_reserve_vcc 1
		.amdhsa_float_round_mode_32 0
		.amdhsa_float_round_mode_16_64 0
		.amdhsa_float_denorm_mode_32 3
		.amdhsa_float_denorm_mode_16_64 3
		.amdhsa_fp16_overflow 0
		.amdhsa_memory_ordered 1
		.amdhsa_forward_progress 1
		.amdhsa_inst_pref_size 129
		.amdhsa_round_robin_scheduling 0
		.amdhsa_exception_fp_ieee_invalid_op 0
		.amdhsa_exception_fp_denorm_src 0
		.amdhsa_exception_fp_ieee_div_zero 0
		.amdhsa_exception_fp_ieee_overflow 0
		.amdhsa_exception_fp_ieee_underflow 0
		.amdhsa_exception_fp_ieee_inexact 0
		.amdhsa_exception_int_div_zero 0
	.end_amdhsa_kernel
	.section	.text._ZN2at6native12_GLOBAL__N_135GammaBetaBackwardCUDAKernelTemplateIddLj64ELj16ELj256ELb0ELb0ELb0EEEvllPKT_S5_PKT0_S8_PS3_S9_,"axG",@progbits,_ZN2at6native12_GLOBAL__N_135GammaBetaBackwardCUDAKernelTemplateIddLj64ELj16ELj256ELb0ELb0ELb0EEEvllPKT_S5_PKT0_S8_PS3_S9_,comdat
.Lfunc_end36:
	.size	_ZN2at6native12_GLOBAL__N_135GammaBetaBackwardCUDAKernelTemplateIddLj64ELj16ELj256ELb0ELb0ELb0EEEvllPKT_S5_PKT0_S8_PS3_S9_, .Lfunc_end36-_ZN2at6native12_GLOBAL__N_135GammaBetaBackwardCUDAKernelTemplateIddLj64ELj16ELj256ELb0ELb0ELb0EEEvllPKT_S5_PKT0_S8_PS3_S9_
                                        ; -- End function
	.set _ZN2at6native12_GLOBAL__N_135GammaBetaBackwardCUDAKernelTemplateIddLj64ELj16ELj256ELb0ELb0ELb0EEEvllPKT_S5_PKT0_S8_PS3_S9_.num_vgpr, 128
	.set _ZN2at6native12_GLOBAL__N_135GammaBetaBackwardCUDAKernelTemplateIddLj64ELj16ELj256ELb0ELb0ELb0EEEvllPKT_S5_PKT0_S8_PS3_S9_.num_agpr, 0
	.set _ZN2at6native12_GLOBAL__N_135GammaBetaBackwardCUDAKernelTemplateIddLj64ELj16ELj256ELb0ELb0ELb0EEEvllPKT_S5_PKT0_S8_PS3_S9_.numbered_sgpr, 68
	.set _ZN2at6native12_GLOBAL__N_135GammaBetaBackwardCUDAKernelTemplateIddLj64ELj16ELj256ELb0ELb0ELb0EEEvllPKT_S5_PKT0_S8_PS3_S9_.num_named_barrier, 0
	.set _ZN2at6native12_GLOBAL__N_135GammaBetaBackwardCUDAKernelTemplateIddLj64ELj16ELj256ELb0ELb0ELb0EEEvllPKT_S5_PKT0_S8_PS3_S9_.private_seg_size, 352
	.set _ZN2at6native12_GLOBAL__N_135GammaBetaBackwardCUDAKernelTemplateIddLj64ELj16ELj256ELb0ELb0ELb0EEEvllPKT_S5_PKT0_S8_PS3_S9_.uses_vcc, 1
	.set _ZN2at6native12_GLOBAL__N_135GammaBetaBackwardCUDAKernelTemplateIddLj64ELj16ELj256ELb0ELb0ELb0EEEvllPKT_S5_PKT0_S8_PS3_S9_.uses_flat_scratch, 1
	.set _ZN2at6native12_GLOBAL__N_135GammaBetaBackwardCUDAKernelTemplateIddLj64ELj16ELj256ELb0ELb0ELb0EEEvllPKT_S5_PKT0_S8_PS3_S9_.has_dyn_sized_stack, 0
	.set _ZN2at6native12_GLOBAL__N_135GammaBetaBackwardCUDAKernelTemplateIddLj64ELj16ELj256ELb0ELb0ELb0EEEvllPKT_S5_PKT0_S8_PS3_S9_.has_recursion, 0
	.set _ZN2at6native12_GLOBAL__N_135GammaBetaBackwardCUDAKernelTemplateIddLj64ELj16ELj256ELb0ELb0ELb0EEEvllPKT_S5_PKT0_S8_PS3_S9_.has_indirect_call, 0
	.section	.AMDGPU.csdata,"",@progbits
; Kernel info:
; codeLenInByte = 16412
; TotalNumSgprs: 70
; NumVgprs: 128
; ScratchSize: 352
; MemoryBound: 0
; FloatMode: 240
; IeeeMode: 1
; LDSByteSize: 0 bytes/workgroup (compile time only)
; SGPRBlocks: 0
; VGPRBlocks: 7
; NumSGPRsForWavesPerEU: 70
; NumVGPRsForWavesPerEU: 128
; NamedBarCnt: 0
; Occupancy: 8
; WaveLimiterHint : 0
; COMPUTE_PGM_RSRC2:SCRATCH_EN: 1
; COMPUTE_PGM_RSRC2:USER_SGPR: 2
; COMPUTE_PGM_RSRC2:TRAP_HANDLER: 0
; COMPUTE_PGM_RSRC2:TGID_X_EN: 1
; COMPUTE_PGM_RSRC2:TGID_Y_EN: 1
; COMPUTE_PGM_RSRC2:TGID_Z_EN: 0
; COMPUTE_PGM_RSRC2:TIDIG_COMP_CNT: 1
	.section	.text._ZN2at6native12_GLOBAL__N_135GammaBetaBackwardCUDAKernelTemplateIddLj32ELj1ELj32ELb1ELb1ELb0EEEvllPKT_S5_PKT0_S8_PS3_S9_,"axG",@progbits,_ZN2at6native12_GLOBAL__N_135GammaBetaBackwardCUDAKernelTemplateIddLj32ELj1ELj32ELb1ELb1ELb0EEEvllPKT_S5_PKT0_S8_PS3_S9_,comdat
	.globl	_ZN2at6native12_GLOBAL__N_135GammaBetaBackwardCUDAKernelTemplateIddLj32ELj1ELj32ELb1ELb1ELb0EEEvllPKT_S5_PKT0_S8_PS3_S9_ ; -- Begin function _ZN2at6native12_GLOBAL__N_135GammaBetaBackwardCUDAKernelTemplateIddLj32ELj1ELj32ELb1ELb1ELb0EEEvllPKT_S5_PKT0_S8_PS3_S9_
	.p2align	8
	.type	_ZN2at6native12_GLOBAL__N_135GammaBetaBackwardCUDAKernelTemplateIddLj32ELj1ELj32ELb1ELb1ELb0EEEvllPKT_S5_PKT0_S8_PS3_S9_,@function
_ZN2at6native12_GLOBAL__N_135GammaBetaBackwardCUDAKernelTemplateIddLj32ELj1ELj32ELb1ELb1ELb0EEEvllPKT_S5_PKT0_S8_PS3_S9_: ; @_ZN2at6native12_GLOBAL__N_135GammaBetaBackwardCUDAKernelTemplateIddLj32ELj1ELj32ELb1ELb1ELb0EEEvllPKT_S5_PKT0_S8_PS3_S9_
; %bb.0:
	s_load_b128 s[12:15], s[0:1], 0x0
	s_bfe_u32 s3, ttmp6, 0x4000c
	s_bfe_u32 s4, ttmp6, 0x40010
	s_add_co_i32 s3, s3, 1
	s_add_co_i32 s4, s4, 1
	s_and_b32 s2, ttmp6, 15
	s_bfe_u32 s5, ttmp6, 0x40004
	s_mul_i32 s3, ttmp9, s3
	s_mul_i32 s4, ttmp7, s4
	s_getreg_b32 s6, hwreg(HW_REG_IB_STS2, 6, 4)
	s_add_co_i32 s2, s2, s3
	s_add_co_i32 s5, s5, s4
	s_cmp_eq_u32 s6, 0
	s_mov_b32 s3, 0
	s_cselect_b32 s17, ttmp7, s5
	s_cselect_b32 s16, ttmp9, s2
	s_lshl_b32 s2, s17, 5
	v_bfe_u32 v1, v0, 10, 10
	s_add_nc_u64 s[18:19], s[0:1], 64
	s_wait_kmcnt 0x0
	v_cmp_gt_i64_e64 s4, s[12:13], s[2:3]
	s_and_b32 vcc_lo, exec_lo, s4
	s_cbranch_vccnz .LBB37_2
; %bb.1:
	v_bfe_u32 v2, v0, 10, 10
	s_add_nc_u64 s[4:5], s[0:1], 64
	s_mov_b32 s6, s3
	s_branch .LBB37_3
.LBB37_2:
	s_mov_b32 s6, -1
                                        ; implicit-def: $sgpr4_sgpr5
                                        ; implicit-def: $vgpr2
.LBB37_3:
	v_mov_b64_e32 v[16:17], 0
	v_mov_b64_e32 v[4:5], 0
	v_and_b32_e32 v0, 0x3ff, v0
	s_and_not1_b32 vcc_lo, exec_lo, s6
	s_cbranch_vccnz .LBB37_9
; %bb.4:
	v_dual_mov_b32 v3, 0 :: v_dual_lshlrev_b32 v2, 5, v1
	s_clause 0x2
	s_load_b32 s20, s[0:1], 0x4c
	s_load_b32 s22, s[0:1], 0x44
	s_load_b256 s[4:11], s[0:1], 0x10
	v_lshl_add_u32 v4, s16, 5, v0
	v_mov_b64_e32 v[16:17], 0
	s_mov_b32 s21, 0
	v_add_nc_u64_e32 v[6:7], s[2:3], v[2:3]
	v_dual_mov_b32 v9, v3 :: v_dual_mov_b32 v5, v3
	v_dual_mov_b32 v18, 4 :: v_dual_mov_b32 v19, 8
	v_dual_mov_b32 v20, 12 :: v_dual_mov_b32 v21, 16
	s_delay_alu instid0(VALU_DEP_4) | instskip(NEXT) | instid1(VALU_DEP_4)
	v_mul_u64_e32 v[10:11], s[14:15], v[6:7]
	v_lshlrev_b64_e32 v[12:13], 3, v[4:5]
	v_mov_b64_e32 v[4:5], 0
	v_dual_mov_b32 v22, 20 :: v_dual_mov_b32 v2, 24
	v_dual_mov_b32 v23, 28 :: v_dual_mov_b32 v24, 32
	s_wait_kmcnt 0x0
	s_and_b32 s20, s20, 0xffff
	v_dual_mov_b32 v25, 36 :: v_dual_mov_b32 v26, 40
	v_mad_u32_u24 v8, v1, s20, v0
	s_lshl_b32 s20, s22, 5
	v_dual_mov_b32 v31, 60 :: v_dual_mov_b32 v27, 44
	s_delay_alu instid0(VALU_DEP_2) | instskip(SKIP_2) | instid1(VALU_DEP_3)
	v_dual_mov_b32 v28, 48 :: v_dual_bitop2_b32 v8, 31, v8 bitop3:0x40
	v_dual_mov_b32 v29, 52 :: v_dual_mov_b32 v30, 56
	v_dual_mov_b32 v32, 64 :: v_dual_mov_b32 v33, 0x44
	v_add_nc_u64_e32 v[6:7], v[6:7], v[8:9]
	v_mov_b32_e32 v34, 0x48
	v_mov_b32_e32 v35, 0x4c
	;; [unrolled: 1-line block ×6, first 2 shown]
	v_lshlrev_b64_e32 v[8:9], 3, v[6:7]
	v_mov_b32_e32 v40, 0x60
	v_mov_b32_e32 v41, 0x64
	;; [unrolled: 1-line block ×8, first 2 shown]
	v_lshl_add_u64 v[10:11], v[10:11], 3, v[12:13]
	s_mul_u64 s[22:23], s[14:15], s[20:21]
	s_lshl_b64 s[24:25], s[20:21], 3
	s_lshl_b64 s[22:23], s[22:23], 3
	;; [unrolled: 1-line block ×3, first 2 shown]
	s_branch .LBB37_6
.LBB37_5:                               ;   in Loop: Header=BB37_6 Depth=1
	s_wait_xcnt 0x0
	s_or_b32 exec_lo, exec_lo, s28
	v_add_nc_u64_e32 v[48:49], s[6:7], v[10:11]
	v_add_nc_u64_e32 v[52:53], s[4:5], v[10:11]
	s_wait_loadcnt 0x1
	ds_bpermute_b32 v90, v3, v14
	ds_bpermute_b32 v91, v3, v15
	s_wait_loadcnt 0x0
	ds_bpermute_b32 v100, v3, v12
	ds_bpermute_b32 v101, v3, v13
	s_add_nc_u64 s[2:3], s[2:3], s[20:21]
	global_load_b64 v[50:51], v[48:49], off
	s_wait_xcnt 0x0
	v_add_nc_u64_e32 v[48:49], s[26:27], v[48:49]
	v_cmp_lt_i64_e64 s28, s[2:3], s[12:13]
	v_add_nc_u64_e32 v[10:11], s[22:23], v[10:11]
	v_add_nc_u64_e32 v[8:9], s[24:25], v[8:9]
	;; [unrolled: 1-line block ×3, first 2 shown]
	global_load_b64 v[54:55], v[48:49], off
	global_load_b64 v[56:57], v[52:53], off
	s_wait_xcnt 0x1
	v_add_nc_u64_e32 v[48:49], s[26:27], v[48:49]
	s_wait_xcnt 0x0
	v_add_nc_u64_e32 v[52:53], s[26:27], v[52:53]
	s_and_b32 vcc_lo, exec_lo, s28
	global_load_b64 v[58:59], v[48:49], off
	global_load_b64 v[60:61], v[52:53], off
	s_wait_xcnt 0x1
	v_add_nc_u64_e32 v[48:49], s[26:27], v[48:49]
	s_wait_xcnt 0x0
	v_add_nc_u64_e32 v[52:53], s[26:27], v[52:53]
	global_load_b64 v[62:63], v[48:49], off
	global_load_b64 v[64:65], v[52:53], off
	s_wait_xcnt 0x1
	v_add_nc_u64_e32 v[48:49], s[26:27], v[48:49]
	s_wait_xcnt 0x0
	v_add_nc_u64_e32 v[52:53], s[26:27], v[52:53]
	;; [unrolled: 6-line block ×8, first 2 shown]
	global_load_b64 v[92:93], v[48:49], off
	global_load_b64 v[94:95], v[52:53], off
	s_wait_xcnt 0x0
	v_add_nc_u64_e32 v[52:53], s[26:27], v[52:53]
	v_add_nc_u64_e32 v[48:49], s[26:27], v[48:49]
	global_load_b64 v[96:97], v[52:53], off
	global_load_b64 v[98:99], v[48:49], off
	s_wait_xcnt 0x1
	v_add_nc_u64_e32 v[52:53], s[26:27], v[52:53]
	s_wait_xcnt 0x0
	v_add_nc_u64_e32 v[48:49], s[26:27], v[48:49]
	global_load_b64 v[102:103], v[52:53], off
	global_load_b64 v[104:105], v[48:49], off
	s_wait_xcnt 0x1
	v_add_nc_u64_e32 v[52:53], s[26:27], v[52:53]
	s_wait_xcnt 0x0
	v_add_nc_u64_e32 v[48:49], s[26:27], v[48:49]
	s_wait_loadcnt_dscnt 0x1802
	v_add_f64_e64 v[50:51], v[50:51], -v[90:91]
	ds_bpermute_b32 v90, v18, v14
	ds_bpermute_b32 v91, v18, v15
	s_wait_loadcnt 0x16
	v_add_f64_e32 v[16:17], v[16:17], v[56:57]
	s_wait_dscnt 0x0
	v_add_f64_e64 v[54:55], v[54:55], -v[90:91]
	ds_bpermute_b32 v90, v19, v14
	ds_bpermute_b32 v91, v19, v15
	v_mul_f64_e32 v[50:51], v[56:57], v[50:51]
	ds_bpermute_b32 v56, v18, v12
	ds_bpermute_b32 v57, v18, v13
	s_wait_loadcnt 0x14
	v_add_f64_e32 v[16:17], v[16:17], v[60:61]
	s_wait_dscnt 0x2
	v_add_f64_e64 v[58:59], v[58:59], -v[90:91]
	v_mul_f64_e32 v[54:55], v[60:61], v[54:55]
	v_fmac_f64_e32 v[4:5], v[50:51], v[100:101]
	ds_bpermute_b32 v50, v20, v14
	ds_bpermute_b32 v51, v20, v15
	global_load_b64 v[90:91], v[52:53], off
	global_load_b64 v[100:101], v[48:49], off
	s_wait_xcnt 0x1
	v_add_nc_u64_e32 v[52:53], s[26:27], v[52:53]
	s_wait_xcnt 0x0
	v_add_nc_u64_e32 v[48:49], s[26:27], v[48:49]
	s_wait_loadcnt 0x14
	v_add_f64_e32 v[16:17], v[16:17], v[64:65]
	v_mul_f64_e32 v[58:59], v[64:65], v[58:59]
	s_wait_dscnt 0x0
	v_add_f64_e64 v[50:51], v[62:63], -v[50:51]
	global_load_b64 v[60:61], v[52:53], off
	global_load_b64 v[62:63], v[48:49], off
	s_wait_xcnt 0x1
	v_add_nc_u64_e32 v[52:53], s[26:27], v[52:53]
	s_wait_xcnt 0x0
	v_add_nc_u64_e32 v[48:49], s[26:27], v[48:49]
	v_fmac_f64_e32 v[4:5], v[54:55], v[56:57]
	ds_bpermute_b32 v54, v21, v14
	ds_bpermute_b32 v55, v21, v15
	ds_bpermute_b32 v56, v19, v12
	ds_bpermute_b32 v57, v19, v13
	s_wait_loadcnt 0x14
	v_add_f64_e32 v[16:17], v[16:17], v[68:69]
	s_wait_dscnt 0x2
	v_add_f64_e64 v[54:55], v[66:67], -v[54:55]
	v_mul_f64_e32 v[50:51], v[68:69], v[50:51]
	global_load_b64 v[64:65], v[52:53], off
	global_load_b64 v[66:67], v[48:49], off
	s_wait_xcnt 0x1
	v_add_nc_u64_e32 v[52:53], s[26:27], v[52:53]
	s_wait_xcnt 0x0
	v_add_nc_u64_e32 v[48:49], s[26:27], v[48:49]
	s_wait_dscnt 0x0
	v_fmac_f64_e32 v[4:5], v[58:59], v[56:57]
	ds_bpermute_b32 v56, v22, v14
	ds_bpermute_b32 v57, v22, v15
	ds_bpermute_b32 v58, v20, v12
	ds_bpermute_b32 v59, v20, v13
	s_wait_loadcnt 0x14
	v_add_f64_e32 v[16:17], v[16:17], v[72:73]
	s_wait_dscnt 0x2
	v_add_f64_e64 v[56:57], v[70:71], -v[56:57]
	v_mul_f64_e32 v[54:55], v[72:73], v[54:55]
	global_load_b64 v[68:69], v[52:53], off
	global_load_b64 v[70:71], v[48:49], off
	s_wait_xcnt 0x1
	v_add_nc_u64_e32 v[52:53], s[26:27], v[52:53]
	s_wait_xcnt 0x0
	v_add_nc_u64_e32 v[48:49], s[26:27], v[48:49]
	s_wait_dscnt 0x0
	;; [unrolled: 17-line block ×7, first 2 shown]
	v_fmac_f64_e32 v[4:5], v[56:57], v[58:59]
	ds_bpermute_b32 v56, v27, v14
	ds_bpermute_b32 v57, v27, v15
	ds_bpermute_b32 v58, v25, v12
	ds_bpermute_b32 v59, v25, v13
	s_wait_loadcnt 0x15
	v_add_f64_e32 v[16:17], v[16:17], v[96:97]
	s_wait_loadcnt_dscnt 0x1402
	v_add_f64_e64 v[56:57], v[98:99], -v[56:57]
	v_mul_f64_e32 v[54:55], v[96:97], v[54:55]
	global_load_b64 v[94:95], v[52:53], off
	global_load_b64 v[98:99], v[48:49], off
	s_wait_xcnt 0x1
	v_add_nc_u64_e32 v[52:53], s[26:27], v[52:53]
	s_wait_xcnt 0x0
	v_add_nc_u64_e32 v[48:49], s[26:27], v[48:49]
	s_wait_dscnt 0x0
	v_fmac_f64_e32 v[4:5], v[50:51], v[58:59]
	ds_bpermute_b32 v50, v28, v14
	ds_bpermute_b32 v51, v28, v15
	ds_bpermute_b32 v58, v26, v12
	ds_bpermute_b32 v59, v26, v13
	s_wait_loadcnt 0x15
	v_add_f64_e32 v[16:17], v[16:17], v[102:103]
	s_wait_loadcnt_dscnt 0x1402
	v_add_f64_e64 v[50:51], v[104:105], -v[50:51]
	v_mul_f64_e32 v[56:57], v[102:103], v[56:57]
	global_load_b64 v[96:97], v[52:53], off
	global_load_b64 v[104:105], v[48:49], off
	s_wait_xcnt 0x1
	v_add_nc_u64_e32 v[52:53], s[26:27], v[52:53]
	s_wait_xcnt 0x0
	v_add_nc_u64_e32 v[48:49], s[26:27], v[48:49]
	s_wait_dscnt 0x0
	;; [unrolled: 17-line block ×9, first 2 shown]
	v_fmac_f64_e32 v[4:5], v[56:57], v[58:59]
	ds_bpermute_b32 v56, v36, v14
	ds_bpermute_b32 v57, v36, v15
	;; [unrolled: 1-line block ×4, first 2 shown]
	s_wait_loadcnt 0x15
	v_add_f64_e32 v[16:17], v[16:17], v[84:85]
	s_wait_loadcnt_dscnt 0x1402
	v_add_f64_e64 v[56:57], v[86:87], -v[56:57]
	v_mul_f64_e32 v[54:55], v[84:85], v[54:55]
	global_load_b64 v[80:81], v[52:53], off
	global_load_b64 v[86:87], v[48:49], off
	s_wait_xcnt 0x1
	v_add_nc_u64_e32 v[52:53], s[26:27], v[52:53]
	global_load_b64 v[52:53], v[52:53], off
	s_wait_dscnt 0x0
	v_fmac_f64_e32 v[4:5], v[50:51], v[58:59]
	ds_bpermute_b32 v50, v37, v14
	ds_bpermute_b32 v51, v37, v15
	;; [unrolled: 1-line block ×4, first 2 shown]
	s_wait_loadcnt 0x16
	v_add_f64_e32 v[16:17], v[16:17], v[88:89]
	s_wait_loadcnt_dscnt 0x1502
	s_wait_xcnt 0x1
	v_add_f64_e64 v[48:49], v[92:93], -v[50:51]
	v_mul_f64_e32 v[50:51], v[88:89], v[56:57]
	ds_bpermute_b32 v56, v36, v12
	ds_bpermute_b32 v57, v36, v13
	s_wait_dscnt 0x2
	v_fmac_f64_e32 v[4:5], v[54:55], v[58:59]
	ds_bpermute_b32 v54, v38, v14
	ds_bpermute_b32 v55, v38, v15
	s_wait_loadcnt 0x14
	v_add_f64_e32 v[16:17], v[16:17], v[94:95]
	s_wait_loadcnt_dscnt 0x1300
	v_add_f64_e64 v[54:55], v[98:99], -v[54:55]
	v_mul_f64_e32 v[48:49], v[94:95], v[48:49]
	v_fmac_f64_e32 v[4:5], v[50:51], v[56:57]
	ds_bpermute_b32 v50, v39, v14
	ds_bpermute_b32 v51, v39, v15
	ds_bpermute_b32 v56, v37, v12
	ds_bpermute_b32 v57, v37, v13
	s_wait_loadcnt 0x12
	v_add_f64_e32 v[16:17], v[16:17], v[96:97]
	s_wait_loadcnt_dscnt 0x1102
	v_add_f64_e64 v[50:51], v[104:105], -v[50:51]
	v_mul_f64_e32 v[54:55], v[96:97], v[54:55]
	s_wait_dscnt 0x0
	v_fmac_f64_e32 v[4:5], v[48:49], v[56:57]
	ds_bpermute_b32 v48, v40, v14
	ds_bpermute_b32 v49, v40, v15
	ds_bpermute_b32 v56, v38, v12
	ds_bpermute_b32 v57, v38, v13
	s_wait_loadcnt 0x10
	v_add_f64_e32 v[16:17], v[16:17], v[100:101]
	s_wait_loadcnt_dscnt 0xf02
	v_add_f64_e64 v[48:49], v[102:103], -v[48:49]
	v_mul_f64_e32 v[50:51], v[100:101], v[50:51]
	s_wait_dscnt 0x0
	;; [unrolled: 11-line block ×7, first 2 shown]
	v_fmac_f64_e32 v[4:5], v[48:49], v[56:57]
	ds_bpermute_b32 v48, v46, v14
	ds_bpermute_b32 v49, v46, v15
	;; [unrolled: 1-line block ×6, first 2 shown]
	s_wait_loadcnt 0x4
	v_add_f64_e32 v[16:17], v[16:17], v[76:77]
	s_wait_loadcnt_dscnt 0x304
	v_add_f64_e64 v[48:49], v[82:83], -v[48:49]
	v_mul_f64_e32 v[50:51], v[76:77], v[50:51]
	s_wait_loadcnt_dscnt 0x100
	v_add_f64_e64 v[14:15], v[86:87], -v[14:15]
	v_fmac_f64_e32 v[4:5], v[54:55], v[56:57]
	ds_bpermute_b32 v54, v45, v12
	ds_bpermute_b32 v55, v45, v13
	v_add_f64_e32 v[16:17], v[16:17], v[80:81]
	v_mul_f64_e32 v[48:49], v[80:81], v[48:49]
	s_wait_loadcnt 0x0
	v_mul_f64_e32 v[14:15], v[52:53], v[14:15]
	s_wait_dscnt 0x0
	v_fmac_f64_e32 v[4:5], v[50:51], v[54:55]
	ds_bpermute_b32 v50, v46, v12
	ds_bpermute_b32 v51, v46, v13
	;; [unrolled: 1-line block ×4, first 2 shown]
	v_add_f64_e32 v[16:17], v[16:17], v[52:53]
	s_wait_dscnt 0x2
	v_fmac_f64_e32 v[4:5], v[48:49], v[50:51]
	s_wait_dscnt 0x0
	s_delay_alu instid0(VALU_DEP_1)
	v_fmac_f64_e32 v[4:5], v[14:15], v[12:13]
	s_cbranch_vccz .LBB37_8
.LBB37_6:                               ; =>This Inner Loop Header: Depth=1
	v_mov_b64_e32 v[12:13], 0
	v_mov_b64_e32 v[14:15], 0
	s_mov_b32 s28, exec_lo
	v_cmpx_gt_i64_e64 s[12:13], v[6:7]
	s_cbranch_execz .LBB37_5
; %bb.7:                                ;   in Loop: Header=BB37_6 Depth=1
	v_add_nc_u64_e32 v[48:49], s[8:9], v[8:9]
	v_add_nc_u64_e32 v[50:51], s[10:11], v[8:9]
	global_load_b64 v[14:15], v[48:49], off
	global_load_b64 v[12:13], v[50:51], off
	s_branch .LBB37_5
.LBB37_8:
	v_mov_b32_e32 v2, v1
	s_mov_b64 s[4:5], s[18:19]
.LBB37_9:
	s_load_b128 s[0:3], s[0:1], 0x30
	s_nop 0
	s_load_u16 s4, s[4:5], 0xe
	v_mov_b32_e32 v1, 0
	s_delay_alu instid0(VALU_DEP_1) | instskip(SKIP_1) | instid1(VALU_DEP_1)
	v_mov_b32_e32 v3, v1
	s_wait_kmcnt 0x0
	v_mad_nc_u64_u32 v[2:3], s4, s17, v[2:3]
	s_mov_b32 s17, 0
	s_delay_alu instid0(SALU_CYCLE_1) | instskip(SKIP_2) | instid1(VALU_DEP_2)
	s_lshl_b64 s[4:5], s[16:17], 5
	s_cmp_eq_u64 s[0:1], 0
	v_add_nc_u64_e32 v[0:1], s[4:5], v[0:1]
	v_mul_u64_e32 v[2:3], s[14:15], v[2:3]
	s_cbranch_scc1 .LBB37_11
; %bb.10:
	s_delay_alu instid0(VALU_DEP_1) | instskip(NEXT) | instid1(VALU_DEP_1)
	v_lshl_add_u64 v[6:7], v[2:3], 3, s[0:1]
	v_lshl_add_u64 v[6:7], v[0:1], 3, v[6:7]
	global_store_b64 v[6:7], v[4:5], off
.LBB37_11:
	s_cmp_eq_u64 s[2:3], 0
	s_cbranch_scc1 .LBB37_13
; %bb.12:
	s_delay_alu instid0(VALU_DEP_1) | instskip(NEXT) | instid1(VALU_DEP_1)
	v_lshl_add_u64 v[2:3], v[2:3], 3, s[2:3]
	v_lshl_add_u64 v[0:1], v[0:1], 3, v[2:3]
	global_store_b64 v[0:1], v[16:17], off
.LBB37_13:
	s_sendmsg sendmsg(MSG_DEALLOC_VGPRS)
	s_endpgm
	.section	.rodata,"a",@progbits
	.p2align	6, 0x0
	.amdhsa_kernel _ZN2at6native12_GLOBAL__N_135GammaBetaBackwardCUDAKernelTemplateIddLj32ELj1ELj32ELb1ELb1ELb0EEEvllPKT_S5_PKT0_S8_PS3_S9_
		.amdhsa_group_segment_fixed_size 0
		.amdhsa_private_segment_fixed_size 0
		.amdhsa_kernarg_size 320
		.amdhsa_user_sgpr_count 2
		.amdhsa_user_sgpr_dispatch_ptr 0
		.amdhsa_user_sgpr_queue_ptr 0
		.amdhsa_user_sgpr_kernarg_segment_ptr 1
		.amdhsa_user_sgpr_dispatch_id 0
		.amdhsa_user_sgpr_kernarg_preload_length 0
		.amdhsa_user_sgpr_kernarg_preload_offset 0
		.amdhsa_user_sgpr_private_segment_size 0
		.amdhsa_wavefront_size32 1
		.amdhsa_uses_dynamic_stack 0
		.amdhsa_enable_private_segment 0
		.amdhsa_system_sgpr_workgroup_id_x 1
		.amdhsa_system_sgpr_workgroup_id_y 1
		.amdhsa_system_sgpr_workgroup_id_z 0
		.amdhsa_system_sgpr_workgroup_info 0
		.amdhsa_system_vgpr_workitem_id 1
		.amdhsa_next_free_vgpr 106
		.amdhsa_next_free_sgpr 29
		.amdhsa_named_barrier_count 0
		.amdhsa_reserve_vcc 1
		.amdhsa_float_round_mode_32 0
		.amdhsa_float_round_mode_16_64 0
		.amdhsa_float_denorm_mode_32 3
		.amdhsa_float_denorm_mode_16_64 3
		.amdhsa_fp16_overflow 0
		.amdhsa_memory_ordered 1
		.amdhsa_forward_progress 1
		.amdhsa_inst_pref_size 32
		.amdhsa_round_robin_scheduling 0
		.amdhsa_exception_fp_ieee_invalid_op 0
		.amdhsa_exception_fp_denorm_src 0
		.amdhsa_exception_fp_ieee_div_zero 0
		.amdhsa_exception_fp_ieee_overflow 0
		.amdhsa_exception_fp_ieee_underflow 0
		.amdhsa_exception_fp_ieee_inexact 0
		.amdhsa_exception_int_div_zero 0
	.end_amdhsa_kernel
	.section	.text._ZN2at6native12_GLOBAL__N_135GammaBetaBackwardCUDAKernelTemplateIddLj32ELj1ELj32ELb1ELb1ELb0EEEvllPKT_S5_PKT0_S8_PS3_S9_,"axG",@progbits,_ZN2at6native12_GLOBAL__N_135GammaBetaBackwardCUDAKernelTemplateIddLj32ELj1ELj32ELb1ELb1ELb0EEEvllPKT_S5_PKT0_S8_PS3_S9_,comdat
.Lfunc_end37:
	.size	_ZN2at6native12_GLOBAL__N_135GammaBetaBackwardCUDAKernelTemplateIddLj32ELj1ELj32ELb1ELb1ELb0EEEvllPKT_S5_PKT0_S8_PS3_S9_, .Lfunc_end37-_ZN2at6native12_GLOBAL__N_135GammaBetaBackwardCUDAKernelTemplateIddLj32ELj1ELj32ELb1ELb1ELb0EEEvllPKT_S5_PKT0_S8_PS3_S9_
                                        ; -- End function
	.set _ZN2at6native12_GLOBAL__N_135GammaBetaBackwardCUDAKernelTemplateIddLj32ELj1ELj32ELb1ELb1ELb0EEEvllPKT_S5_PKT0_S8_PS3_S9_.num_vgpr, 106
	.set _ZN2at6native12_GLOBAL__N_135GammaBetaBackwardCUDAKernelTemplateIddLj32ELj1ELj32ELb1ELb1ELb0EEEvllPKT_S5_PKT0_S8_PS3_S9_.num_agpr, 0
	.set _ZN2at6native12_GLOBAL__N_135GammaBetaBackwardCUDAKernelTemplateIddLj32ELj1ELj32ELb1ELb1ELb0EEEvllPKT_S5_PKT0_S8_PS3_S9_.numbered_sgpr, 29
	.set _ZN2at6native12_GLOBAL__N_135GammaBetaBackwardCUDAKernelTemplateIddLj32ELj1ELj32ELb1ELb1ELb0EEEvllPKT_S5_PKT0_S8_PS3_S9_.num_named_barrier, 0
	.set _ZN2at6native12_GLOBAL__N_135GammaBetaBackwardCUDAKernelTemplateIddLj32ELj1ELj32ELb1ELb1ELb0EEEvllPKT_S5_PKT0_S8_PS3_S9_.private_seg_size, 0
	.set _ZN2at6native12_GLOBAL__N_135GammaBetaBackwardCUDAKernelTemplateIddLj32ELj1ELj32ELb1ELb1ELb0EEEvllPKT_S5_PKT0_S8_PS3_S9_.uses_vcc, 1
	.set _ZN2at6native12_GLOBAL__N_135GammaBetaBackwardCUDAKernelTemplateIddLj32ELj1ELj32ELb1ELb1ELb0EEEvllPKT_S5_PKT0_S8_PS3_S9_.uses_flat_scratch, 0
	.set _ZN2at6native12_GLOBAL__N_135GammaBetaBackwardCUDAKernelTemplateIddLj32ELj1ELj32ELb1ELb1ELb0EEEvllPKT_S5_PKT0_S8_PS3_S9_.has_dyn_sized_stack, 0
	.set _ZN2at6native12_GLOBAL__N_135GammaBetaBackwardCUDAKernelTemplateIddLj32ELj1ELj32ELb1ELb1ELb0EEEvllPKT_S5_PKT0_S8_PS3_S9_.has_recursion, 0
	.set _ZN2at6native12_GLOBAL__N_135GammaBetaBackwardCUDAKernelTemplateIddLj32ELj1ELj32ELb1ELb1ELb0EEEvllPKT_S5_PKT0_S8_PS3_S9_.has_indirect_call, 0
	.section	.AMDGPU.csdata,"",@progbits
; Kernel info:
; codeLenInByte = 4084
; TotalNumSgprs: 31
; NumVgprs: 106
; ScratchSize: 0
; MemoryBound: 0
; FloatMode: 240
; IeeeMode: 1
; LDSByteSize: 0 bytes/workgroup (compile time only)
; SGPRBlocks: 0
; VGPRBlocks: 6
; NumSGPRsForWavesPerEU: 31
; NumVGPRsForWavesPerEU: 106
; NamedBarCnt: 0
; Occupancy: 9
; WaveLimiterHint : 0
; COMPUTE_PGM_RSRC2:SCRATCH_EN: 0
; COMPUTE_PGM_RSRC2:USER_SGPR: 2
; COMPUTE_PGM_RSRC2:TRAP_HANDLER: 0
; COMPUTE_PGM_RSRC2:TGID_X_EN: 1
; COMPUTE_PGM_RSRC2:TGID_Y_EN: 1
; COMPUTE_PGM_RSRC2:TGID_Z_EN: 0
; COMPUTE_PGM_RSRC2:TIDIG_COMP_CNT: 1
	.section	.text._ZN2at6native12_GLOBAL__N_135GammaBetaBackwardCUDAKernelTemplateIddLj32ELj1ELj32ELb1ELb0ELb0EEEvllPKT_S5_PKT0_S8_PS3_S9_,"axG",@progbits,_ZN2at6native12_GLOBAL__N_135GammaBetaBackwardCUDAKernelTemplateIddLj32ELj1ELj32ELb1ELb0ELb0EEEvllPKT_S5_PKT0_S8_PS3_S9_,comdat
	.globl	_ZN2at6native12_GLOBAL__N_135GammaBetaBackwardCUDAKernelTemplateIddLj32ELj1ELj32ELb1ELb0ELb0EEEvllPKT_S5_PKT0_S8_PS3_S9_ ; -- Begin function _ZN2at6native12_GLOBAL__N_135GammaBetaBackwardCUDAKernelTemplateIddLj32ELj1ELj32ELb1ELb0ELb0EEEvllPKT_S5_PKT0_S8_PS3_S9_
	.p2align	8
	.type	_ZN2at6native12_GLOBAL__N_135GammaBetaBackwardCUDAKernelTemplateIddLj32ELj1ELj32ELb1ELb0ELb0EEEvllPKT_S5_PKT0_S8_PS3_S9_,@function
_ZN2at6native12_GLOBAL__N_135GammaBetaBackwardCUDAKernelTemplateIddLj32ELj1ELj32ELb1ELb0ELb0EEEvllPKT_S5_PKT0_S8_PS3_S9_: ; @_ZN2at6native12_GLOBAL__N_135GammaBetaBackwardCUDAKernelTemplateIddLj32ELj1ELj32ELb1ELb0ELb0EEEvllPKT_S5_PKT0_S8_PS3_S9_
; %bb.0:
	s_load_b256 s[4:11], s[0:1], 0x0
	s_bfe_u32 s3, ttmp6, 0x4000c
	s_bfe_u32 s12, ttmp6, 0x40010
	s_add_co_i32 s3, s3, 1
	s_add_co_i32 s12, s12, 1
	s_and_b32 s2, ttmp6, 15
	s_bfe_u32 s13, ttmp6, 0x40004
	s_mul_i32 s3, ttmp9, s3
	s_mul_i32 s12, ttmp7, s12
	s_getreg_b32 s14, hwreg(HW_REG_IB_STS2, 6, 4)
	s_add_co_i32 s2, s2, s3
	s_add_co_i32 s3, s13, s12
	s_cmp_eq_u32 s14, 0
	s_mov_b32 s19, 0
	s_cselect_b32 s16, ttmp9, s2
	s_cselect_b32 s33, ttmp7, s3
	s_lshl_b32 s3, s16, 5
	s_load_b128 s[12:15], s[0:1], 0x20
	s_or_b32 s18, s3, 31
	s_wait_kmcnt 0x0
	v_cmp_le_i64_e64 s2, s[6:7], s[18:19]
	s_lshl_b32 s18, s33, 5
	s_delay_alu instid0(SALU_CYCLE_1) | instskip(SKIP_2) | instid1(VALU_DEP_1)
	v_cmp_gt_i64_e64 s17, s[4:5], s[18:19]
	s_and_b32 vcc_lo, exec_lo, s2
	v_cndmask_b32_e64 v1, 0, 1, s17
	v_cmp_ne_u32_e64 s2, 1, v1
	s_cbranch_vccz .LBB38_141
; %bb.1:
	v_mov_b64_e32 v[2:3], 0
	s_set_vgpr_msb 64                       ;  msbs: dst=1 src0=0 src1=0 src2=0
	v_mov_b64_e32 v[8:9] /*v[264:265]*/, 0
	s_and_b32 vcc_lo, exec_lo, s2
	s_set_vgpr_msb 0                        ;  msbs: dst=0 src0=0 src1=0 src2=0
	s_cbranch_vccnz .LBB38_142
; %bb.2:
	v_bfe_u32 v1, v0, 10, 10
	v_mov_b32_e32 v5, 0
	s_set_vgpr_msb 64                       ;  msbs: dst=1 src0=0 src1=0 src2=0
	v_and_b32_e32 v20 /*v276*/, 0x3ff, v0
	s_load_b32 s20, s[0:1], 0x44
	s_mov_b32 s21, 0
	s_set_vgpr_msb 0                        ;  msbs: dst=0 src0=0 src1=0 src2=0
	v_dual_mov_b32 v7, v5 :: v_dual_lshlrev_b32 v6, 5, v1
	s_set_vgpr_msb 4                        ;  msbs: dst=0 src0=0 src1=1 src2=0
	v_add_nc_u32_e32 v4, s3, v20 /*v276*/
	v_mov_b64_e32 v[138:139], 0
	s_mov_b32 s23, s21
	s_add_nc_u64 s[24:25], s[0:1], 64
	s_set_vgpr_msb 0                        ;  msbs: dst=0 src0=0 src1=0 src2=0
	v_add_nc_u64_e32 v[2:3], s[18:19], v[6:7]
	v_cmp_gt_i64_e64 s2, s[6:7], v[4:5]
	s_mov_b64 s[28:29], 31
	s_mov_b64 s[30:31], s[18:19]
	v_add_nc_u64_e32 v[10:11], 30, v[2:3]
	v_add_nc_u64_e32 v[12:13], 29, v[2:3]
	;; [unrolled: 1-line block ×7, first 2 shown]
	v_mul_u64_e32 v[24:25], s[6:7], v[10:11]
	v_mul_u64_e32 v[26:27], s[6:7], v[12:13]
	v_add_nc_u64_e32 v[10:11], 24, v[2:3]
	v_add_nc_u64_e32 v[12:13], 23, v[2:3]
	v_mul_u64_e32 v[20:21], s[6:7], v[20:21]
	v_mul_u64_e32 v[44:45], s[6:7], v[28:29]
	;; [unrolled: 1-line block ×7, first 2 shown]
	v_add_nc_u64_e32 v[10:11], 18, v[2:3]
	v_add_nc_u64_e32 v[42:43], 17, v[2:3]
	;; [unrolled: 1-line block ×7, first 2 shown]
	v_mul_u64_e32 v[62:63], s[6:7], v[10:11]
	v_mul_u64_e32 v[68:69], s[6:7], v[42:43]
	;; [unrolled: 1-line block ×4, first 2 shown]
	v_add_nc_u64_e32 v[66:67], 13, v[2:3]
	v_mul_u64_e32 v[78:79], s[6:7], v[74:75]
	v_mul_u64_e32 v[92:93], s[6:7], v[84:85]
	v_add_nc_u64_e32 v[84:85], 7, v[2:3]
	v_mul_u64_e32 v[88:89], s[6:7], v[80:81]
	v_mul_u64_e32 v[116:117], s[6:7], v[2:3]
	v_add_nc_u64_e32 v[8:9], 31, v[2:3]
	v_mul_u64_e32 v[82:83], s[6:7], v[66:67]
	v_add_nc_u64_e32 v[14:15], 28, v[2:3]
	v_add_nc_u64_e32 v[16:17], 27, v[2:3]
	v_mul_u64_e32 v[100:101], s[6:7], v[84:85]
	v_add_nc_u64_e32 v[84:85], 5, v[2:3]
	v_add_nc_u64_e32 v[18:19], 26, v[2:3]
	;; [unrolled: 1-line block ×3, first 2 shown]
	v_lshlrev_b64_e32 v[46:47], 3, v[20:21]
	v_lshlrev_b64_e32 v[60:61], 3, v[44:45]
	;; [unrolled: 1-line block ×4, first 2 shown]
	v_add_nc_u64_e32 v[102:103], 3, v[2:3]
	v_lshlrev_b64_e32 v[50:51], 3, v[38:39]
	v_lshlrev_b64_e32 v[54:55], 3, v[40:41]
	v_add_nc_u64_e32 v[38:39], s[8:9], v[46:47]
	v_add_nc_u64_e32 v[40:41], s[10:11], v[46:47]
	;; [unrolled: 1-line block ×4, first 2 shown]
	v_mul_u64_e32 v[112:113], s[6:7], v[84:85]
	v_add_nc_u64_e32 v[42:43], s[8:9], v[50:51]
	v_add_nc_u64_e32 v[44:45], s[10:11], v[50:51]
	;; [unrolled: 1-line block ×6, first 2 shown]
	v_lshlrev_b64_e32 v[64:65], 3, v[58:59]
	v_add_nc_u64_e32 v[58:59], s[8:9], v[72:73]
	v_add_nc_u64_e32 v[60:61], s[10:11], v[72:73]
	v_add_nc_u64_e32 v[72:73], 12, v[2:3]
	v_lshlrev_b64_e32 v[74:75], 3, v[62:63]
	v_lshlrev_b64_e32 v[80:81], 3, v[68:69]
	;; [unrolled: 1-line block ×3, first 2 shown]
	v_mul_u64_e32 v[22:23], s[6:7], v[8:9]
	v_mul_u64_e32 v[14:15], s[6:7], v[14:15]
	;; [unrolled: 1-line block ×4, first 2 shown]
	v_add_nc_u64_e32 v[72:73], 9, v[2:3]
	v_add_nc_u64_e32 v[66:67], s[8:9], v[74:75]
	;; [unrolled: 1-line block ×5, first 2 shown]
	v_mul_u64_e32 v[18:19], s[6:7], v[18:19]
	v_mul_u64_e32 v[98:99], s[6:7], v[90:91]
	;; [unrolled: 1-line block ×3, first 2 shown]
	v_add_nc_u64_e32 v[72:73], s[10:11], v[80:81]
	v_add_nc_u64_e32 v[80:81], 4, v[2:3]
	v_mul_u64_e32 v[104:105], s[6:7], v[74:75]
	v_add_nc_u64_e32 v[2:3], 2, v[2:3]
	v_mul_u64_e32 v[120:121], s[6:7], v[102:103]
	v_lshlrev_b64_e32 v[90:91], 3, v[76:77]
	v_lshlrev_b64_e32 v[122:123], 3, v[100:101]
	;; [unrolled: 1-line block ×3, first 2 shown]
	v_mul_u64_e32 v[118:119], s[6:7], v[80:81]
	v_lshlrev_b64_e32 v[108:109], 3, v[92:93]
	v_mul_u64_e32 v[2:3], s[6:7], v[2:3]
	v_lshlrev_b64_e32 v[126:127], 3, v[112:113]
	v_add_nc_u64_e32 v[78:79], s[8:9], v[90:91]
	v_add_nc_u64_e32 v[80:81], s[10:11], v[90:91]
	;; [unrolled: 1-line block ×3, first 2 shown]
	v_lshlrev_b64_e32 v[12:13], 3, v[116:117]
	v_lshlrev_b64_e32 v[24:25], 3, v[24:25]
	;; [unrolled: 1-line block ×3, first 2 shown]
	v_add_nc_u64_e32 v[74:75], s[8:9], v[96:97]
	v_add_nc_u64_e32 v[76:77], s[10:11], v[96:97]
	v_lshlrev_b64_e32 v[22:23], 3, v[22:23]
	v_lshlrev_b64_e32 v[28:29], 3, v[14:15]
	;; [unrolled: 1-line block ×7, first 2 shown]
	v_add_nc_u64_e32 v[10:11], s[8:9], v[12:13]
	v_add_nc_u64_e32 v[12:13], s[10:11], v[12:13]
	v_lshlrev_b64_e32 v[36:37], 3, v[18:19]
	v_add_nc_u64_e32 v[90:91], s[8:9], v[102:103]
	v_lshlrev_b64_e32 v[110:111], 3, v[94:95]
	;; [unrolled: 2-line block ×3, first 2 shown]
	v_lshlrev_b64_e32 v[124:125], 3, v[104:105]
	v_add_nc_u64_e32 v[14:15], s[8:9], v[22:23]
	v_lshlrev_b64_e32 v[130:131], 3, v[120:121]
	v_add_nc_u64_e32 v[16:17], s[10:11], v[22:23]
	v_add_nc_u64_e32 v[102:103], s[8:9], v[110:111]
	;; [unrolled: 1-line block ×5, first 2 shown]
	v_lshlrev_b64_e32 v[128:129], 3, v[118:119]
	v_lshlrev_b64_e32 v[2:3], 3, v[2:3]
	v_add_nc_u64_e32 v[18:19], s[8:9], v[24:25]
	v_add_nc_u64_e32 v[20:21], s[10:11], v[24:25]
	;; [unrolled: 1-line block ×4, first 2 shown]
	v_lshlrev_b64_e32 v[136:137], 3, v[122:123]
	v_add_nc_u64_e32 v[26:27], s[8:9], v[28:29]
	v_add_nc_u64_e32 v[28:29], s[10:11], v[28:29]
	;; [unrolled: 1-line block ×30, first 2 shown]
	v_mov_b64_e32 v[2:3], 0
	s_wait_kmcnt 0x0
	s_lshl_b32 s22, s20, 5
	s_delay_alu instid0(SALU_CYCLE_1) | instskip(NEXT) | instid1(SALU_CYCLE_1)
	s_mul_u64 s[26:27], s[6:7], s[22:23]
	s_lshl_b64 s[26:27], s[26:27], 3
.LBB38_3:                               ; =>This Inner Loop Header: Depth=1
	s_add_nc_u64 s[34:35], s[18:19], s[28:29]
	v_add_nc_u64_e32 v[140:141], s[18:19], v[6:7]
	v_cmp_ge_i64_e64 s20, s[34:35], s[4:5]
                                        ; implicit-def: $vgpr144_vgpr145
                                        ; implicit-def: $vgpr146_vgpr147
                                        ; implicit-def: $vgpr148_vgpr149
                                        ; implicit-def: $vgpr142
                                        ; implicit-def: $vgpr150_vgpr151
                                        ; implicit-def: $vgpr264_vgpr265
	s_and_b32 vcc_lo, exec_lo, s20
	s_mov_b32 s20, -1
	s_cbranch_vccz .LBB38_71
; %bb.4:                                ;   in Loop: Header=BB38_3 Depth=1
	s_load_b32 s20, s[24:25], 0xc
	v_mov_b64_e32 v[150:151], 0
	v_mov_b64_e32 v[144:145], 0
	;; [unrolled: 1-line block ×3, first 2 shown]
	s_wait_kmcnt 0x0
	s_and_b32 s20, s20, 0xffff
	s_set_vgpr_msb 16                       ;  msbs: dst=0 src0=0 src1=0 src2=1
	v_mad_u32_u24 v4, v1, s20, v20 /*v276*/
	s_mov_b32 s20, exec_lo
	s_delay_alu instid0(VALU_DEP_1) | instskip(NEXT) | instid1(VALU_DEP_1)
	v_and_b32_e32 v4, 31, v4
	v_add_nc_u64_e32 v[146:147], v[140:141], v[4:5]
	s_delay_alu instid0(VALU_DEP_1)
	v_cmpx_gt_i64_e64 s[4:5], v[146:147]
	s_set_vgpr_msb 0                        ;  msbs: dst=0 src0=0 src1=0 src2=0
	s_cbranch_execz .LBB38_6
; %bb.5:                                ;   in Loop: Header=BB38_3 Depth=1
	v_lshlrev_b64_e32 v[142:143], 3, v[146:147]
	s_delay_alu instid0(VALU_DEP_1)
	v_add_nc_u64_e32 v[146:147], s[12:13], v[142:143]
	v_add_nc_u64_e32 v[148:149], s[14:15], v[142:143]
	global_load_b64 v[142:143], v[146:147], off
	global_load_b64 v[144:145], v[148:149], off
.LBB38_6:                               ;   in Loop: Header=BB38_3 Depth=1
	s_wait_xcnt 0x0
	s_or_b32 exec_lo, exec_lo, s20
	v_cmp_gt_i64_e32 vcc_lo, s[4:5], v[140:141]
	v_mov_b64_e32 v[162:163], 0
	s_and_b32 s34, s2, vcc_lo
	s_delay_alu instid0(SALU_CYCLE_1)
	s_and_saveexec_b32 s20, s34
	s_cbranch_execz .LBB38_8
; %bb.7:                                ;   in Loop: Header=BB38_3 Depth=1
	v_add_nc_u64_e32 v[146:147], v[10:11], v[8:9]
	v_add_nc_u64_e32 v[148:149], v[12:13], v[8:9]
	global_load_b64 v[150:151], v[146:147], off
	global_load_b64 v[162:163], v[148:149], off
.LBB38_8:                               ;   in Loop: Header=BB38_3 Depth=1
	s_wait_xcnt 0x0
	s_or_b32 exec_lo, exec_lo, s20
	v_add_nc_u64_e32 v[146:147], 1, v[140:141]
	v_mov_b64_e32 v[152:153], 0
	v_mov_b64_e32 v[156:157], 0
	;; [unrolled: 1-line block ×3, first 2 shown]
	s_delay_alu instid0(VALU_DEP_4) | instskip(SKIP_1) | instid1(SALU_CYCLE_1)
	v_cmp_gt_i64_e32 vcc_lo, s[4:5], v[146:147]
	s_and_b32 s34, s2, vcc_lo
	s_and_saveexec_b32 s20, s34
	s_cbranch_execz .LBB38_10
; %bb.9:                                ;   in Loop: Header=BB38_3 Depth=1
	v_add_nc_u64_e32 v[146:147], v[134:135], v[8:9]
	v_add_nc_u64_e32 v[148:149], v[136:137], v[8:9]
	global_load_b64 v[156:157], v[146:147], off
	global_load_b64 v[168:169], v[148:149], off
.LBB38_10:                              ;   in Loop: Header=BB38_3 Depth=1
	s_wait_xcnt 0x0
	s_or_b32 exec_lo, exec_lo, s20
	v_add_nc_u64_e32 v[146:147], 2, v[140:141]
	v_mov_b64_e32 v[174:175], 0
	s_delay_alu instid0(VALU_DEP_2) | instskip(SKIP_1) | instid1(SALU_CYCLE_1)
	v_cmp_gt_i64_e32 vcc_lo, s[4:5], v[146:147]
	s_and_b32 s34, s2, vcc_lo
	s_and_saveexec_b32 s20, s34
	s_cbranch_execz .LBB38_12
; %bb.11:                               ;   in Loop: Header=BB38_3 Depth=1
	v_add_nc_u64_e32 v[146:147], v[130:131], v[8:9]
	v_add_nc_u64_e32 v[148:149], v[132:133], v[8:9]
	global_load_b64 v[152:153], v[146:147], off
	global_load_b64 v[174:175], v[148:149], off
.LBB38_12:                              ;   in Loop: Header=BB38_3 Depth=1
	s_wait_xcnt 0x0
	s_or_b32 exec_lo, exec_lo, s20
	v_add_nc_u64_e32 v[146:147], 3, v[140:141]
	v_mov_b64_e32 v[154:155], 0
	v_mov_b64_e32 v[160:161], 0
	v_mov_b64_e32 v[176:177], 0
	s_delay_alu instid0(VALU_DEP_4) | instskip(SKIP_1) | instid1(SALU_CYCLE_1)
	v_cmp_gt_i64_e32 vcc_lo, s[4:5], v[146:147]
	s_and_b32 s34, s2, vcc_lo
	s_and_saveexec_b32 s20, s34
	s_cbranch_execz .LBB38_14
; %bb.13:                               ;   in Loop: Header=BB38_3 Depth=1
	v_add_nc_u64_e32 v[146:147], v[126:127], v[8:9]
	v_add_nc_u64_e32 v[148:149], v[128:129], v[8:9]
	global_load_b64 v[160:161], v[146:147], off
	global_load_b64 v[176:177], v[148:149], off
.LBB38_14:                              ;   in Loop: Header=BB38_3 Depth=1
	s_wait_xcnt 0x0
	s_or_b32 exec_lo, exec_lo, s20
	v_add_nc_u64_e32 v[146:147], 4, v[140:141]
	v_mov_b64_e32 v[182:183], 0
	s_delay_alu instid0(VALU_DEP_2) | instskip(SKIP_1) | instid1(SALU_CYCLE_1)
	v_cmp_gt_i64_e32 vcc_lo, s[4:5], v[146:147]
	s_and_b32 s34, s2, vcc_lo
	s_and_saveexec_b32 s20, s34
	s_cbranch_execz .LBB38_16
; %bb.15:                               ;   in Loop: Header=BB38_3 Depth=1
	v_add_nc_u64_e32 v[146:147], v[122:123], v[8:9]
	v_add_nc_u64_e32 v[148:149], v[124:125], v[8:9]
	global_load_b64 v[154:155], v[146:147], off
	global_load_b64 v[182:183], v[148:149], off
.LBB38_16:                              ;   in Loop: Header=BB38_3 Depth=1
	s_wait_xcnt 0x0
	s_or_b32 exec_lo, exec_lo, s20
	v_add_nc_u64_e32 v[146:147], 5, v[140:141]
	v_mov_b64_e32 v[158:159], 0
	v_mov_b64_e32 v[166:167], 0
	v_mov_b64_e32 v[184:185], 0
	s_delay_alu instid0(VALU_DEP_4) | instskip(SKIP_1) | instid1(SALU_CYCLE_1)
	v_cmp_gt_i64_e32 vcc_lo, s[4:5], v[146:147]
	s_and_b32 s34, s2, vcc_lo
	s_and_saveexec_b32 s20, s34
	s_cbranch_execz .LBB38_18
; %bb.17:                               ;   in Loop: Header=BB38_3 Depth=1
	v_add_nc_u64_e32 v[146:147], v[118:119], v[8:9]
	v_add_nc_u64_e32 v[148:149], v[120:121], v[8:9]
	global_load_b64 v[166:167], v[146:147], off
	global_load_b64 v[184:185], v[148:149], off
.LBB38_18:                              ;   in Loop: Header=BB38_3 Depth=1
	;; [unrolled: 32-line block ×11, first 2 shown]
	s_wait_xcnt 0x0
	s_or_b32 exec_lo, exec_lo, s20
	v_add_nc_u64_e32 v[146:147], 24, v[140:141]
	s_set_vgpr_msb 64                       ;  msbs: dst=1 src0=0 src1=0 src2=0
	v_mov_b64_e32 v[0:1] /*v[256:257]*/, 0
	s_delay_alu instid0(VALU_DEP_2) | instskip(SKIP_1) | instid1(SALU_CYCLE_1)
	v_cmp_gt_i64_e32 vcc_lo, s[4:5], v[146:147]
	s_and_b32 s34, s2, vcc_lo
	s_and_saveexec_b32 s20, s34
	s_set_vgpr_msb 0                        ;  msbs: dst=0 src0=0 src1=0 src2=0
	s_cbranch_execz .LBB38_56
; %bb.55:                               ;   in Loop: Header=BB38_3 Depth=1
	v_add_nc_u64_e32 v[146:147], v[42:43], v[8:9]
	v_add_nc_u64_e32 v[148:149], v[44:45], v[8:9]
	global_load_b64 v[226:227], v[146:147], off
	s_set_vgpr_msb 64                       ;  msbs: dst=1 src0=0 src1=0 src2=0
	global_load_b64 v[0:1] /*v[256:257]*/, v[148:149], off
.LBB38_56:                              ;   in Loop: Header=BB38_3 Depth=1
	s_wait_xcnt 0x0
	s_or_b32 exec_lo, exec_lo, s20
	s_set_vgpr_msb 0                        ;  msbs: dst=0 src0=0 src1=0 src2=0
	v_add_nc_u64_e32 v[146:147], 25, v[140:141]
	v_mov_b64_e32 v[234:235], 0
	v_mov_b64_e32 v[244:245], 0
	s_set_vgpr_msb 64                       ;  msbs: dst=1 src0=0 src1=0 src2=0
	v_mov_b64_e32 v[4:5] /*v[260:261]*/, 0
	s_delay_alu instid0(VALU_DEP_4) | instskip(SKIP_1) | instid1(SALU_CYCLE_1)
	v_cmp_gt_i64_e32 vcc_lo, s[4:5], v[146:147]
	s_and_b32 s34, s2, vcc_lo
	s_and_saveexec_b32 s20, s34
	s_set_vgpr_msb 0                        ;  msbs: dst=0 src0=0 src1=0 src2=0
	s_cbranch_execz .LBB38_58
; %bb.57:                               ;   in Loop: Header=BB38_3 Depth=1
	v_add_nc_u64_e32 v[146:147], v[38:39], v[8:9]
	v_add_nc_u64_e32 v[148:149], v[40:41], v[8:9]
	global_load_b64 v[244:245], v[146:147], off
	s_set_vgpr_msb 64                       ;  msbs: dst=1 src0=0 src1=0 src2=0
	global_load_b64 v[4:5] /*v[260:261]*/, v[148:149], off
.LBB38_58:                              ;   in Loop: Header=BB38_3 Depth=1
	s_wait_xcnt 0x0
	s_or_b32 exec_lo, exec_lo, s20
	s_set_vgpr_msb 0                        ;  msbs: dst=0 src0=0 src1=0 src2=0
	v_add_nc_u64_e32 v[146:147], 26, v[140:141]
	s_set_vgpr_msb 64                       ;  msbs: dst=1 src0=0 src1=0 src2=0
	v_mov_b64_e32 v[10:11] /*v[266:267]*/, 0
	s_delay_alu instid0(VALU_DEP_2) | instskip(SKIP_1) | instid1(SALU_CYCLE_1)
	v_cmp_gt_i64_e32 vcc_lo, s[4:5], v[146:147]
	s_and_b32 s34, s2, vcc_lo
	s_and_saveexec_b32 s20, s34
	s_set_vgpr_msb 0                        ;  msbs: dst=0 src0=0 src1=0 src2=0
	s_cbranch_execz .LBB38_60
; %bb.59:                               ;   in Loop: Header=BB38_3 Depth=1
	v_add_nc_u64_e32 v[146:147], v[34:35], v[8:9]
	v_add_nc_u64_e32 v[148:149], v[36:37], v[8:9]
	global_load_b64 v[234:235], v[146:147], off
	s_set_vgpr_msb 64                       ;  msbs: dst=1 src0=0 src1=0 src2=0
	global_load_b64 v[10:11] /*v[266:267]*/, v[148:149], off
.LBB38_60:                              ;   in Loop: Header=BB38_3 Depth=1
	s_wait_xcnt 0x0
	s_or_b32 exec_lo, exec_lo, s20
	s_set_vgpr_msb 0                        ;  msbs: dst=0 src0=0 src1=0 src2=0
	v_add_nc_u64_e32 v[146:147], 27, v[140:141]
	v_mov_b64_e32 v[242:243], 0
	v_mov_b64_e32 v[250:251], 0
	s_set_vgpr_msb 64                       ;  msbs: dst=1 src0=0 src1=0 src2=0
	v_mov_b64_e32 v[12:13] /*v[268:269]*/, 0
	s_delay_alu instid0(VALU_DEP_4) | instskip(SKIP_1) | instid1(SALU_CYCLE_1)
	v_cmp_gt_i64_e32 vcc_lo, s[4:5], v[146:147]
	s_and_b32 s34, s2, vcc_lo
	s_and_saveexec_b32 s20, s34
	s_set_vgpr_msb 0                        ;  msbs: dst=0 src0=0 src1=0 src2=0
	s_cbranch_execz .LBB38_62
; %bb.61:                               ;   in Loop: Header=BB38_3 Depth=1
	v_add_nc_u64_e32 v[146:147], v[30:31], v[8:9]
	v_add_nc_u64_e32 v[148:149], v[32:33], v[8:9]
	global_load_b64 v[250:251], v[146:147], off
	s_set_vgpr_msb 64                       ;  msbs: dst=1 src0=0 src1=0 src2=0
	global_load_b64 v[12:13] /*v[268:269]*/, v[148:149], off
.LBB38_62:                              ;   in Loop: Header=BB38_3 Depth=1
	s_wait_xcnt 0x0
	s_or_b32 exec_lo, exec_lo, s20
	s_set_vgpr_msb 0                        ;  msbs: dst=0 src0=0 src1=0 src2=0
	v_add_nc_u64_e32 v[146:147], 28, v[140:141]
	s_set_vgpr_msb 64                       ;  msbs: dst=1 src0=0 src1=0 src2=0
	v_mov_b64_e32 v[14:15] /*v[270:271]*/, 0
	s_delay_alu instid0(VALU_DEP_2) | instskip(SKIP_1) | instid1(SALU_CYCLE_1)
	v_cmp_gt_i64_e32 vcc_lo, s[4:5], v[146:147]
	s_and_b32 s34, s2, vcc_lo
	s_and_saveexec_b32 s20, s34
	s_set_vgpr_msb 0                        ;  msbs: dst=0 src0=0 src1=0 src2=0
	s_cbranch_execz .LBB38_64
; %bb.63:                               ;   in Loop: Header=BB38_3 Depth=1
	v_add_nc_u64_e32 v[146:147], v[26:27], v[8:9]
	v_add_nc_u64_e32 v[148:149], v[28:29], v[8:9]
	global_load_b64 v[242:243], v[146:147], off
	s_set_vgpr_msb 64                       ;  msbs: dst=1 src0=0 src1=0 src2=0
	global_load_b64 v[14:15] /*v[270:271]*/, v[148:149], off
.LBB38_64:                              ;   in Loop: Header=BB38_3 Depth=1
	s_wait_xcnt 0x0
	s_or_b32 exec_lo, exec_lo, s20
	s_set_vgpr_msb 0                        ;  msbs: dst=0 src0=0 src1=0 src2=0
	v_add_nc_u64_e32 v[146:147], 29, v[140:141]
	s_set_vgpr_msb 64                       ;  msbs: dst=1 src0=0 src1=0 src2=0
	v_mov_b64_e32 v[2:3] /*v[258:259]*/, 0
	v_mov_b64_e32 v[6:7] /*v[262:263]*/, 0
	;; [unrolled: 1-line block ×3, first 2 shown]
	s_delay_alu instid0(VALU_DEP_4) | instskip(SKIP_1) | instid1(SALU_CYCLE_1)
	v_cmp_gt_i64_e32 vcc_lo, s[4:5], v[146:147]
	s_and_b32 s34, s2, vcc_lo
	s_and_saveexec_b32 s20, s34
	s_set_vgpr_msb 0                        ;  msbs: dst=0 src0=0 src1=0 src2=0
	s_cbranch_execz .LBB38_66
; %bb.65:                               ;   in Loop: Header=BB38_3 Depth=1
	v_add_nc_u64_e32 v[146:147], v[22:23], v[8:9]
	v_add_nc_u64_e32 v[148:149], v[24:25], v[8:9]
	s_set_vgpr_msb 64                       ;  msbs: dst=1 src0=0 src1=0 src2=0
	global_load_b64 v[6:7] /*v[262:263]*/, v[146:147], off
	global_load_b64 v[16:17] /*v[272:273]*/, v[148:149], off
.LBB38_66:                              ;   in Loop: Header=BB38_3 Depth=1
	s_wait_xcnt 0x0
	s_or_b32 exec_lo, exec_lo, s20
	s_set_vgpr_msb 0                        ;  msbs: dst=0 src0=0 src1=0 src2=0
	v_add_nc_u64_e32 v[146:147], 30, v[140:141]
	s_set_vgpr_msb 64                       ;  msbs: dst=1 src0=0 src1=0 src2=0
	v_mov_b64_e32 v[18:19] /*v[274:275]*/, 0
	s_delay_alu instid0(VALU_DEP_2) | instskip(SKIP_1) | instid1(SALU_CYCLE_1)
	v_cmp_gt_i64_e32 vcc_lo, s[4:5], v[146:147]
	s_and_b32 s34, s2, vcc_lo
	s_and_saveexec_b32 s20, s34
	s_set_vgpr_msb 0                        ;  msbs: dst=0 src0=0 src1=0 src2=0
	s_cbranch_execz .LBB38_68
; %bb.67:                               ;   in Loop: Header=BB38_3 Depth=1
	v_add_nc_u64_e32 v[146:147], v[18:19], v[8:9]
	v_add_nc_u64_e32 v[148:149], v[20:21], v[8:9]
	s_set_vgpr_msb 64                       ;  msbs: dst=1 src0=0 src1=0 src2=0
	global_load_b64 v[2:3] /*v[258:259]*/, v[146:147], off
	global_load_b64 v[18:19] /*v[274:275]*/, v[148:149], off
.LBB38_68:                              ;   in Loop: Header=BB38_3 Depth=1
	s_wait_xcnt 0x0
	s_or_b32 exec_lo, exec_lo, s20
	s_set_vgpr_msb 0                        ;  msbs: dst=0 src0=0 src1=0 src2=0
	v_add_nc_u64_e32 v[146:147], 31, v[140:141]
	v_mov_b64_e32 v[148:149], 0
	s_delay_alu instid0(VALU_DEP_2) | instskip(SKIP_2) | instid1(SALU_CYCLE_1)
	v_cmp_gt_i64_e32 vcc_lo, s[4:5], v[146:147]
	v_mov_b64_e32 v[146:147], 0
	s_and_b32 s34, s2, vcc_lo
	s_and_saveexec_b32 s20, s34
	s_cbranch_execz .LBB38_70
; %bb.69:                               ;   in Loop: Header=BB38_3 Depth=1
	s_set_vgpr_msb 64                       ;  msbs: dst=1 src0=0 src1=0 src2=0
	v_add_nc_u64_e32 v[8:9] /*v[264:265]*/, v[14:15], v[8:9]
	v_add_nc_u64_e32 v[22:23] /*v[278:279]*/, v[16:17], v[8:9]
	s_set_vgpr_msb 1                        ;  msbs: dst=0 src0=1 src1=0 src2=0
	global_load_b64 v[146:147], v[8:9] /*v[264:265]*/, off
	global_load_b64 v[148:149], v[22:23] /*v[278:279]*/, off
.LBB38_70:                              ;   in Loop: Header=BB38_3 Depth=1
	s_wait_xcnt 0x0
	s_or_b32 exec_lo, exec_lo, s20
	s_wait_loadcnt 0x1
	s_set_vgpr_msb 64                       ;  msbs: dst=1 src0=0 src1=0 src2=0
	ds_bpermute_b32 v8 /*v264*/, v5, v142
	ds_bpermute_b32 v9 /*v265*/, v5, v143
	s_wait_loadcnt 0x0
	ds_bpermute_b32 v22 /*v278*/, v5, v144
	ds_bpermute_b32 v23 /*v279*/, v5, v145
	s_mov_b32 s20, 0
	s_wait_dscnt 0x2
	s_set_vgpr_msb 4                        ;  msbs: dst=0 src0=0 src1=1 src2=0
	v_add_f64_e64 v[162:163], v[162:163], -v[8:9] /*v[264:265]*/
	s_set_vgpr_msb 64                       ;  msbs: dst=1 src0=0 src1=0 src2=0
	ds_bpermute_b32 v8 /*v264*/, v5, v142 offset:4
	ds_bpermute_b32 v9 /*v265*/, v5, v143 offset:4
	s_wait_dscnt 0x0
	s_set_vgpr_msb 4                        ;  msbs: dst=0 src0=0 src1=1 src2=0
	v_add_f64_e64 v[168:169], v[168:169], -v[8:9] /*v[264:265]*/
	s_set_vgpr_msb 64                       ;  msbs: dst=1 src0=0 src1=0 src2=0
	ds_bpermute_b32 v8 /*v264*/, v5, v142 offset:8
	ds_bpermute_b32 v9 /*v265*/, v5, v143 offset:8
	s_set_vgpr_msb 0                        ;  msbs: dst=0 src0=0 src1=0 src2=0
	v_mul_f64_e32 v[162:163], v[150:151], v[162:163]
	v_add_f64_e32 v[150:151], v[2:3], v[150:151]
	s_wait_dscnt 0x0
	s_set_vgpr_msb 4                        ;  msbs: dst=0 src0=0 src1=1 src2=0
	v_add_f64_e64 v[174:175], v[174:175], -v[8:9] /*v[264:265]*/
	s_set_vgpr_msb 0                        ;  msbs: dst=0 src0=0 src1=0 src2=0
	v_mul_f64_e32 v[168:169], v[156:157], v[168:169]
	s_set_vgpr_msb 0x44                     ;  msbs: dst=1 src0=0 src1=1 src2=0
	s_delay_alu instid0(VALU_DEP_4)
	v_fma_f64 v[8:9] /*v[264:265]*/, v[162:163], v[22:23] /*v[278:279]*/, v[138:139]
	s_set_vgpr_msb 0                        ;  msbs: dst=0 src0=0 src1=0 src2=0
	ds_bpermute_b32 v162, v5, v142 offset:12
	ds_bpermute_b32 v163, v5, v143 offset:12
	s_set_vgpr_msb 64                       ;  msbs: dst=1 src0=0 src1=0 src2=0
	ds_bpermute_b32 v22 /*v278*/, v5, v144 offset:4
	ds_bpermute_b32 v23 /*v279*/, v5, v145 offset:4
	s_set_vgpr_msb 0                        ;  msbs: dst=0 src0=0 src1=0 src2=0
	v_add_f64_e32 v[150:151], v[150:151], v[156:157]
	ds_bpermute_b32 v156, v5, v142 offset:16
	ds_bpermute_b32 v157, v5, v143 offset:16
	v_mul_f64_e32 v[174:175], v[152:153], v[174:175]
	s_wait_dscnt 0x4
	v_add_f64_e64 v[162:163], v[176:177], -v[162:163]
	s_wait_dscnt 0x0
	v_add_f64_e64 v[156:157], v[182:183], -v[156:157]
	s_set_vgpr_msb 0x44                     ;  msbs: dst=1 src0=0 src1=1 src2=0
	v_fmac_f64_e32 v[8:9] /*v[264:265]*/, v[168:169], v[22:23] /*v[278:279]*/
	s_set_vgpr_msb 0                        ;  msbs: dst=0 src0=0 src1=0 src2=0
	ds_bpermute_b32 v168, v5, v144 offset:8
	ds_bpermute_b32 v169, v5, v145 offset:8
	v_add_f64_e32 v[150:151], v[150:151], v[152:153]
	ds_bpermute_b32 v152, v5, v142 offset:20
	ds_bpermute_b32 v153, v5, v143 offset:20
	v_mul_f64_e32 v[162:163], v[160:161], v[162:163]
	s_wait_dscnt 0x0
	v_add_f64_e64 v[152:153], v[184:185], -v[152:153]
	v_mul_f64_e32 v[156:157], v[154:155], v[156:157]
	s_set_vgpr_msb 64                       ;  msbs: dst=1 src0=0 src1=0 src2=0
	v_fmac_f64_e32 v[8:9] /*v[264:265]*/, v[174:175], v[168:169]
	s_set_vgpr_msb 0                        ;  msbs: dst=0 src0=0 src1=0 src2=0
	ds_bpermute_b32 v168, v5, v144 offset:12
	ds_bpermute_b32 v169, v5, v145 offset:12
	v_add_f64_e32 v[150:151], v[150:151], v[160:161]
	ds_bpermute_b32 v160, v5, v142 offset:24
	ds_bpermute_b32 v161, v5, v143 offset:24
	s_wait_dscnt 0x0
	v_add_f64_e64 v[160:161], v[190:191], -v[160:161]
	v_mul_f64_e32 v[152:153], v[166:167], v[152:153]
	s_set_vgpr_msb 64                       ;  msbs: dst=1 src0=0 src1=0 src2=0
	v_fmac_f64_e32 v[8:9] /*v[264:265]*/, v[162:163], v[168:169]
	s_set_vgpr_msb 0                        ;  msbs: dst=0 src0=0 src1=0 src2=0
	ds_bpermute_b32 v162, v5, v144 offset:16
	ds_bpermute_b32 v163, v5, v145 offset:16
	v_add_f64_e32 v[150:151], v[150:151], v[154:155]
	ds_bpermute_b32 v154, v5, v142 offset:28
	ds_bpermute_b32 v155, v5, v143 offset:28
	s_wait_dscnt 0x0
	v_add_f64_e64 v[154:155], v[192:193], -v[154:155]
	v_mul_f64_e32 v[160:161], v[158:159], v[160:161]
	s_set_vgpr_msb 64                       ;  msbs: dst=1 src0=0 src1=0 src2=0
	v_fmac_f64_e32 v[8:9] /*v[264:265]*/, v[156:157], v[162:163]
	s_set_vgpr_msb 0                        ;  msbs: dst=0 src0=0 src1=0 src2=0
	ds_bpermute_b32 v156, v5, v144 offset:20
	ds_bpermute_b32 v157, v5, v145 offset:20
	v_add_f64_e32 v[150:151], v[150:151], v[166:167]
	v_mul_f64_e32 v[154:155], v[172:173], v[154:155]
	s_wait_dscnt 0x0
	s_set_vgpr_msb 64                       ;  msbs: dst=1 src0=0 src1=0 src2=0
	v_fmac_f64_e32 v[8:9] /*v[264:265]*/, v[152:153], v[156:157]
	s_set_vgpr_msb 0                        ;  msbs: dst=0 src0=0 src1=0 src2=0
	ds_bpermute_b32 v152, v5, v142 offset:32
	ds_bpermute_b32 v153, v5, v143 offset:32
	;; [unrolled: 1-line block ×4, first 2 shown]
	v_add_f64_e32 v[150:151], v[150:151], v[158:159]
	ds_bpermute_b32 v158, v5, v144 offset:28
	ds_bpermute_b32 v159, v5, v145 offset:28
	s_wait_dscnt 0x4
	v_add_f64_e64 v[152:153], v[198:199], -v[152:153]
	s_wait_dscnt 0x2
	s_set_vgpr_msb 64                       ;  msbs: dst=1 src0=0 src1=0 src2=0
	v_fmac_f64_e32 v[8:9] /*v[264:265]*/, v[160:161], v[156:157]
	s_set_vgpr_msb 0                        ;  msbs: dst=0 src0=0 src1=0 src2=0
	ds_bpermute_b32 v156, v5, v142 offset:36
	ds_bpermute_b32 v157, v5, v143 offset:36
	v_add_f64_e32 v[150:151], v[150:151], v[172:173]
	s_wait_dscnt 0x0
	v_add_f64_e64 v[156:157], v[200:201], -v[156:157]
	v_mul_f64_e32 v[152:153], v[164:165], v[152:153]
	s_set_vgpr_msb 64                       ;  msbs: dst=1 src0=0 src1=0 src2=0
	v_fmac_f64_e32 v[8:9] /*v[264:265]*/, v[154:155], v[158:159]
	s_set_vgpr_msb 0                        ;  msbs: dst=0 src0=0 src1=0 src2=0
	ds_bpermute_b32 v154, v5, v142 offset:40
	ds_bpermute_b32 v155, v5, v143 offset:40
	ds_bpermute_b32 v158, v5, v144 offset:32
	ds_bpermute_b32 v159, v5, v145 offset:32
	v_add_f64_e32 v[150:151], v[150:151], v[164:165]
	s_wait_dscnt 0x2
	v_add_f64_e64 v[154:155], v[206:207], -v[154:155]
	v_mul_f64_e32 v[156:157], v[180:181], v[156:157]
	s_wait_dscnt 0x0
	s_set_vgpr_msb 64                       ;  msbs: dst=1 src0=0 src1=0 src2=0
	v_fmac_f64_e32 v[8:9] /*v[264:265]*/, v[152:153], v[158:159]
	s_set_vgpr_msb 0                        ;  msbs: dst=0 src0=0 src1=0 src2=0
	ds_bpermute_b32 v152, v5, v142 offset:44
	ds_bpermute_b32 v153, v5, v143 offset:44
	ds_bpermute_b32 v158, v5, v144 offset:36
	ds_bpermute_b32 v159, v5, v145 offset:36
	v_add_f64_e32 v[150:151], v[150:151], v[180:181]
	s_wait_dscnt 0x2
	v_add_f64_e64 v[152:153], v[208:209], -v[152:153]
	v_mul_f64_e32 v[154:155], v[170:171], v[154:155]
	s_wait_dscnt 0x0
	;; [unrolled: 12-line block ×14, first 2 shown]
	s_set_vgpr_msb 64                       ;  msbs: dst=1 src0=0 src1=0 src2=0
	v_fmac_f64_e32 v[8:9] /*v[264:265]*/, v[156:157], v[158:159]
	s_set_vgpr_msb 0                        ;  msbs: dst=0 src0=0 src1=0 src2=0
	ds_bpermute_b32 v156, v5, v142 offset:96
	ds_bpermute_b32 v157, v5, v143 offset:96
	ds_bpermute_b32 v158, v5, v144 offset:88
	ds_bpermute_b32 v159, v5, v145 offset:88
	v_add_f64_e32 v[150:151], v[150:151], v[218:219]
	s_wait_dscnt 0x2
	s_set_vgpr_msb 1                        ;  msbs: dst=0 src0=1 src1=0 src2=0
	v_add_f64_e64 v[156:157], v[0:1] /*v[256:257]*/, -v[156:157]
	s_set_vgpr_msb 0                        ;  msbs: dst=0 src0=0 src1=0 src2=0
	v_mul_f64_e32 v[152:153], v[236:237], v[152:153]
	s_wait_dscnt 0x0
	s_set_vgpr_msb 64                       ;  msbs: dst=1 src0=0 src1=0 src2=0
	v_fmac_f64_e32 v[8:9] /*v[264:265]*/, v[154:155], v[158:159]
	s_set_vgpr_msb 0                        ;  msbs: dst=0 src0=0 src1=0 src2=0
	ds_bpermute_b32 v154, v5, v142 offset:100
	ds_bpermute_b32 v155, v5, v143 offset:100
	ds_bpermute_b32 v158, v5, v144 offset:92
	ds_bpermute_b32 v159, v5, v145 offset:92
	v_add_f64_e32 v[150:151], v[150:151], v[236:237]
	s_wait_dscnt 0x2
	s_set_vgpr_msb 1                        ;  msbs: dst=0 src0=1 src1=0 src2=0
	v_add_f64_e64 v[154:155], v[4:5] /*v[260:261]*/, -v[154:155]
	s_set_vgpr_msb 0                        ;  msbs: dst=0 src0=0 src1=0 src2=0
	v_mul_f64_e32 v[156:157], v[226:227], v[156:157]
	s_wait_dscnt 0x0
	;; [unrolled: 14-line block ×6, first 2 shown]
	s_set_vgpr_msb 64                       ;  msbs: dst=1 src0=0 src1=0 src2=0
	v_fmac_f64_e32 v[8:9] /*v[264:265]*/, v[156:157], v[158:159]
	s_set_vgpr_msb 0                        ;  msbs: dst=0 src0=0 src1=0 src2=0
	ds_bpermute_b32 v156, v5, v142 offset:120
	ds_bpermute_b32 v157, v5, v143 offset:120
	;; [unrolled: 1-line block ×4, first 2 shown]
	v_add_f64_e32 v[150:151], v[150:151], v[242:243]
	ds_bpermute_b32 v142, v5, v142 offset:124
	ds_bpermute_b32 v143, v5, v143 offset:124
	s_wait_dscnt 0x4
	s_set_vgpr_msb 1                        ;  msbs: dst=0 src0=1 src1=0 src2=0
	v_add_f64_e64 v[156:157], v[18:19] /*v[274:275]*/, -v[156:157]
	v_mul_f64_e32 v[152:153], v[6:7] /*v[262:263]*/, v[152:153]
	s_wait_dscnt 0x2
	s_set_vgpr_msb 64                       ;  msbs: dst=1 src0=0 src1=0 src2=0
	v_fmac_f64_e32 v[8:9] /*v[264:265]*/, v[154:155], v[158:159]
	s_set_vgpr_msb 0                        ;  msbs: dst=0 src0=0 src1=0 src2=0
	ds_bpermute_b32 v154, v5, v144 offset:116
	ds_bpermute_b32 v155, v5, v145 offset:116
	s_set_vgpr_msb 4                        ;  msbs: dst=0 src0=0 src1=1 src2=0
	v_add_f64_e32 v[150:151], v[150:151], v[6:7] /*v[262:263]*/
	s_set_vgpr_msb 1                        ;  msbs: dst=0 src0=1 src1=0 src2=0
	v_mul_f64_e32 v[156:157], v[2:3] /*v[258:259]*/, v[156:157]
	s_wait_dscnt 0x0
	s_set_vgpr_msb 64                       ;  msbs: dst=1 src0=0 src1=0 src2=0
	v_fmac_f64_e32 v[8:9] /*v[264:265]*/, v[152:153], v[154:155]
	s_set_vgpr_msb 0                        ;  msbs: dst=0 src0=0 src1=0 src2=0
	ds_bpermute_b32 v152, v5, v144 offset:120
	ds_bpermute_b32 v153, v5, v145 offset:120
	;; [unrolled: 1-line block ×4, first 2 shown]
	s_set_vgpr_msb 4                        ;  msbs: dst=0 src0=0 src1=1 src2=0
	v_add_f64_e32 v[150:151], v[150:151], v[2:3] /*v[258:259]*/
	s_wait_dscnt 0x2
	s_set_vgpr_msb 64                       ;  msbs: dst=1 src0=0 src1=0 src2=0
	v_fmac_f64_e32 v[8:9] /*v[264:265]*/, v[156:157], v[152:153]
.LBB38_71:                              ;   in Loop: Header=BB38_3 Depth=1
	s_and_b32 vcc_lo, exec_lo, s20
	s_set_vgpr_msb 0                        ;  msbs: dst=0 src0=0 src1=0 src2=0
	s_cbranch_vccz .LBB38_139
; %bb.72:                               ;   in Loop: Header=BB38_3 Depth=1
	s_load_b32 s20, s[24:25], 0x0
	s_wait_dscnt 0x0
	v_mov_b64_e32 v[144:145], 0
	v_mov_b64_e32 v[142:143], 0
	s_wait_kmcnt 0x0
	s_cmp_lt_u32 s16, s20
	s_cselect_b32 s20, 12, 18
	s_delay_alu instid0(SALU_CYCLE_1)
	s_add_nc_u64 s[34:35], s[24:25], s[20:21]
	s_load_u16 s20, s[34:35], 0x0
	s_wait_kmcnt 0x0
	s_set_vgpr_msb 16                       ;  msbs: dst=0 src0=0 src1=0 src2=1
	v_mad_u32_u24 v4, v1, s20, v20 /*v276*/
	s_mov_b32 s20, exec_lo
	s_delay_alu instid0(VALU_DEP_1) | instskip(NEXT) | instid1(VALU_DEP_1)
	v_and_b32_e32 v4, 31, v4
	v_add_nc_u64_e32 v[146:147], v[140:141], v[4:5]
	v_mov_b64_e32 v[140:141], 0
	s_delay_alu instid0(VALU_DEP_2)
	v_cmpx_gt_i64_e64 s[4:5], v[146:147]
	s_set_vgpr_msb 0                        ;  msbs: dst=0 src0=0 src1=0 src2=0
	s_cbranch_execz .LBB38_74
; %bb.73:                               ;   in Loop: Header=BB38_3 Depth=1
	v_lshlrev_b64_e32 v[140:141], 3, v[146:147]
	s_delay_alu instid0(VALU_DEP_1)
	v_add_nc_u64_e32 v[146:147], s[12:13], v[140:141]
	v_add_nc_u64_e32 v[148:149], s[14:15], v[140:141]
	global_load_b64 v[140:141], v[146:147], off
	global_load_b64 v[142:143], v[148:149], off
.LBB38_74:                              ;   in Loop: Header=BB38_3 Depth=1
	s_wait_xcnt 0x0
	s_or_b32 exec_lo, exec_lo, s20
	v_mov_b64_e32 v[174:175], 0
	s_and_saveexec_b32 s20, s2
	s_cbranch_execz .LBB38_76
; %bb.75:                               ;   in Loop: Header=BB38_3 Depth=1
	v_add_nc_u64_e32 v[146:147], v[10:11], v[8:9]
	v_add_nc_u64_e32 v[148:149], v[12:13], v[8:9]
	global_load_b64 v[144:145], v[146:147], off
	global_load_b64 v[174:175], v[148:149], off
.LBB38_76:                              ;   in Loop: Header=BB38_3 Depth=1
	s_wait_xcnt 0x0
	s_or_b32 exec_lo, exec_lo, s20
	v_mov_b64_e32 v[150:151], 0
	v_mov_b64_e32 v[156:157], 0
	v_mov_b64_e32 v[182:183], 0
	s_and_saveexec_b32 s20, s2
	s_cbranch_execz .LBB38_78
; %bb.77:                               ;   in Loop: Header=BB38_3 Depth=1
	v_add_nc_u64_e32 v[146:147], v[134:135], v[8:9]
	v_add_nc_u64_e32 v[148:149], v[136:137], v[8:9]
	global_load_b64 v[156:157], v[146:147], off
	global_load_b64 v[182:183], v[148:149], off
.LBB38_78:                              ;   in Loop: Header=BB38_3 Depth=1
	s_wait_xcnt 0x0
	s_or_b32 exec_lo, exec_lo, s20
	v_mov_b64_e32 v[186:187], 0
	s_and_saveexec_b32 s20, s2
	s_cbranch_execz .LBB38_80
; %bb.79:                               ;   in Loop: Header=BB38_3 Depth=1
	v_add_nc_u64_e32 v[146:147], v[130:131], v[8:9]
	v_add_nc_u64_e32 v[148:149], v[132:133], v[8:9]
	global_load_b64 v[150:151], v[146:147], off
	global_load_b64 v[186:187], v[148:149], off
.LBB38_80:                              ;   in Loop: Header=BB38_3 Depth=1
	s_wait_xcnt 0x0
	s_or_b32 exec_lo, exec_lo, s20
	v_mov_b64_e32 v[152:153], 0
	v_mov_b64_e32 v[160:161], 0
	v_mov_b64_e32 v[190:191], 0
	s_and_saveexec_b32 s20, s2
	s_cbranch_execz .LBB38_82
; %bb.81:                               ;   in Loop: Header=BB38_3 Depth=1
	v_add_nc_u64_e32 v[146:147], v[126:127], v[8:9]
	v_add_nc_u64_e32 v[148:149], v[128:129], v[8:9]
	global_load_b64 v[160:161], v[146:147], off
	global_load_b64 v[190:191], v[148:149], off
.LBB38_82:                              ;   in Loop: Header=BB38_3 Depth=1
	;; [unrolled: 24-line block ×6, first 2 shown]
	s_wait_xcnt 0x0
	s_or_b32 exec_lo, exec_lo, s20
	v_mov_b64_e32 v[226:227], 0
	s_and_saveexec_b32 s20, s2
	s_cbranch_execz .LBB38_100
; %bb.99:                               ;   in Loop: Header=BB38_3 Depth=1
	v_add_nc_u64_e32 v[146:147], v[90:91], v[8:9]
	v_add_nc_u64_e32 v[148:149], v[92:93], v[8:9]
	global_load_b64 v[166:167], v[146:147], off
	global_load_b64 v[226:227], v[148:149], off
.LBB38_100:                             ;   in Loop: Header=BB38_3 Depth=1
	s_wait_xcnt 0x0
	s_or_b32 exec_lo, exec_lo, s20
	v_mov_b64_e32 v[170:171], 0
	v_mov_b64_e32 v[184:185], 0
	v_mov_b64_e32 v[228:229], 0
	s_and_saveexec_b32 s20, s2
	s_cbranch_execz .LBB38_102
; %bb.101:                              ;   in Loop: Header=BB38_3 Depth=1
	v_add_nc_u64_e32 v[146:147], v[86:87], v[8:9]
	v_add_nc_u64_e32 v[148:149], v[88:89], v[8:9]
	global_load_b64 v[184:185], v[146:147], off
	global_load_b64 v[228:229], v[148:149], off
.LBB38_102:                             ;   in Loop: Header=BB38_3 Depth=1
	s_wait_xcnt 0x0
	s_or_b32 exec_lo, exec_lo, s20
	v_mov_b64_e32 v[232:233], 0
	s_and_saveexec_b32 s20, s2
	s_cbranch_execz .LBB38_104
; %bb.103:                              ;   in Loop: Header=BB38_3 Depth=1
	v_add_nc_u64_e32 v[146:147], v[82:83], v[8:9]
	v_add_nc_u64_e32 v[148:149], v[84:85], v[8:9]
	global_load_b64 v[170:171], v[146:147], off
	global_load_b64 v[232:233], v[148:149], off
.LBB38_104:                             ;   in Loop: Header=BB38_3 Depth=1
	s_wait_xcnt 0x0
	s_or_b32 exec_lo, exec_lo, s20
	v_mov_b64_e32 v[176:177], 0
	v_mov_b64_e32 v[192:193], 0
	v_mov_b64_e32 v[234:235], 0
	s_and_saveexec_b32 s20, s2
	s_cbranch_execz .LBB38_106
; %bb.105:                              ;   in Loop: Header=BB38_3 Depth=1
	v_add_nc_u64_e32 v[146:147], v[78:79], v[8:9]
	v_add_nc_u64_e32 v[148:149], v[80:81], v[8:9]
	global_load_b64 v[192:193], v[146:147], off
	global_load_b64 v[234:235], v[148:149], off
.LBB38_106:                             ;   in Loop: Header=BB38_3 Depth=1
	s_wait_xcnt 0x0
	s_or_b32 exec_lo, exec_lo, s20
	v_mov_b64_e32 v[238:239], 0
	s_and_saveexec_b32 s20, s2
	s_cbranch_execz .LBB38_108
; %bb.107:                              ;   in Loop: Header=BB38_3 Depth=1
	v_add_nc_u64_e32 v[146:147], v[74:75], v[8:9]
	v_add_nc_u64_e32 v[148:149], v[76:77], v[8:9]
	global_load_b64 v[176:177], v[146:147], off
	global_load_b64 v[238:239], v[148:149], off
.LBB38_108:                             ;   in Loop: Header=BB38_3 Depth=1
	;; [unrolled: 24-line block ×5, first 2 shown]
	s_wait_xcnt 0x0
	s_or_b32 exec_lo, exec_lo, s20
	v_mov_b64_e32 v[204:205], 0
	v_mov_b64_e32 v[224:225], 0
	s_set_vgpr_msb 64                       ;  msbs: dst=1 src0=0 src1=0 src2=0
	v_mov_b64_e32 v[0:1] /*v[256:257]*/, 0
	s_and_saveexec_b32 s20, s2
	s_set_vgpr_msb 0                        ;  msbs: dst=0 src0=0 src1=0 src2=0
	s_cbranch_execz .LBB38_122
; %bb.121:                              ;   in Loop: Header=BB38_3 Depth=1
	v_add_nc_u64_e32 v[146:147], v[46:47], v[8:9]
	v_add_nc_u64_e32 v[148:149], v[48:49], v[8:9]
	global_load_b64 v[224:225], v[146:147], off
	s_set_vgpr_msb 64                       ;  msbs: dst=1 src0=0 src1=0 src2=0
	global_load_b64 v[0:1] /*v[256:257]*/, v[148:149], off
.LBB38_122:                             ;   in Loop: Header=BB38_3 Depth=1
	s_wait_xcnt 0x0
	s_or_b32 exec_lo, exec_lo, s20
	s_set_vgpr_msb 64                       ;  msbs: dst=1 src0=0 src1=0 src2=0
	v_mov_b64_e32 v[2:3] /*v[258:259]*/, 0
	s_and_saveexec_b32 s20, s2
	s_set_vgpr_msb 0                        ;  msbs: dst=0 src0=0 src1=0 src2=0
	s_cbranch_execz .LBB38_124
; %bb.123:                              ;   in Loop: Header=BB38_3 Depth=1
	v_add_nc_u64_e32 v[146:147], v[42:43], v[8:9]
	v_add_nc_u64_e32 v[148:149], v[44:45], v[8:9]
	global_load_b64 v[204:205], v[146:147], off
	s_set_vgpr_msb 64                       ;  msbs: dst=1 src0=0 src1=0 src2=0
	global_load_b64 v[2:3] /*v[258:259]*/, v[148:149], off
.LBB38_124:                             ;   in Loop: Header=BB38_3 Depth=1
	s_wait_xcnt 0x0
	s_or_b32 exec_lo, exec_lo, s20
	s_set_vgpr_msb 0                        ;  msbs: dst=0 src0=0 src1=0 src2=0
	v_mov_b64_e32 v[212:213], 0
	v_mov_b64_e32 v[230:231], 0
	s_set_vgpr_msb 64                       ;  msbs: dst=1 src0=0 src1=0 src2=0
	v_mov_b64_e32 v[4:5] /*v[260:261]*/, 0
	s_and_saveexec_b32 s20, s2
	s_set_vgpr_msb 0                        ;  msbs: dst=0 src0=0 src1=0 src2=0
	s_cbranch_execz .LBB38_126
; %bb.125:                              ;   in Loop: Header=BB38_3 Depth=1
	v_add_nc_u64_e32 v[146:147], v[38:39], v[8:9]
	v_add_nc_u64_e32 v[148:149], v[40:41], v[8:9]
	global_load_b64 v[230:231], v[146:147], off
	s_set_vgpr_msb 64                       ;  msbs: dst=1 src0=0 src1=0 src2=0
	global_load_b64 v[4:5] /*v[260:261]*/, v[148:149], off
.LBB38_126:                             ;   in Loop: Header=BB38_3 Depth=1
	s_wait_xcnt 0x0
	s_or_b32 exec_lo, exec_lo, s20
	s_set_vgpr_msb 64                       ;  msbs: dst=1 src0=0 src1=0 src2=0
	v_mov_b64_e32 v[6:7] /*v[262:263]*/, 0
	s_and_saveexec_b32 s20, s2
	s_set_vgpr_msb 0                        ;  msbs: dst=0 src0=0 src1=0 src2=0
	s_cbranch_execz .LBB38_128
; %bb.127:                              ;   in Loop: Header=BB38_3 Depth=1
	v_add_nc_u64_e32 v[146:147], v[34:35], v[8:9]
	v_add_nc_u64_e32 v[148:149], v[36:37], v[8:9]
	global_load_b64 v[212:213], v[146:147], off
	s_set_vgpr_msb 64                       ;  msbs: dst=1 src0=0 src1=0 src2=0
	global_load_b64 v[6:7] /*v[262:263]*/, v[148:149], off
.LBB38_128:                             ;   in Loop: Header=BB38_3 Depth=1
	s_wait_xcnt 0x0
	s_or_b32 exec_lo, exec_lo, s20
	s_set_vgpr_msb 0                        ;  msbs: dst=0 src0=0 src1=0 src2=0
	;; [unrolled: 31-line block ×4, first 2 shown]
	v_mov_b64_e32 v[146:147], 0
	v_mov_b64_e32 v[148:149], 0
	s_and_saveexec_b32 s20, s2
	s_cbranch_execz .LBB38_138
; %bb.137:                              ;   in Loop: Header=BB38_3 Depth=1
	s_set_vgpr_msb 64                       ;  msbs: dst=1 src0=0 src1=0 src2=0
	v_add_nc_u64_e32 v[16:17] /*v[272:273]*/, v[14:15], v[8:9]
	v_add_nc_u64_e32 v[18:19] /*v[274:275]*/, v[16:17], v[8:9]
	s_set_vgpr_msb 1                        ;  msbs: dst=0 src0=1 src1=0 src2=0
	global_load_b64 v[146:147], v[16:17] /*v[272:273]*/, off
	global_load_b64 v[148:149], v[18:19] /*v[274:275]*/, off
.LBB38_138:                             ;   in Loop: Header=BB38_3 Depth=1
	s_wait_xcnt 0x0
	s_or_b32 exec_lo, exec_lo, s20
	s_wait_loadcnt 0x1
	s_set_vgpr_msb 64                       ;  msbs: dst=1 src0=0 src1=0 src2=0
	ds_bpermute_b32 v16 /*v272*/, v5, v140
	ds_bpermute_b32 v17 /*v273*/, v5, v141
	s_wait_loadcnt 0x0
	ds_bpermute_b32 v18 /*v274*/, v5, v142
	ds_bpermute_b32 v19 /*v275*/, v5, v143
	s_set_vgpr_msb 0                        ;  msbs: dst=0 src0=0 src1=0 src2=0
	v_add_f64_e32 v[2:3], v[2:3], v[144:145]
	s_wait_dscnt 0x2
	s_set_vgpr_msb 4                        ;  msbs: dst=0 src0=0 src1=1 src2=0
	v_add_f64_e64 v[174:175], v[174:175], -v[16:17] /*v[272:273]*/
	s_set_vgpr_msb 64                       ;  msbs: dst=1 src0=0 src1=0 src2=0
	ds_bpermute_b32 v16 /*v272*/, v5, v140 offset:4
	ds_bpermute_b32 v17 /*v273*/, v5, v141 offset:4
	s_set_vgpr_msb 0                        ;  msbs: dst=0 src0=0 src1=0 src2=0
	v_add_f64_e32 v[2:3], v[2:3], v[156:157]
	s_wait_dscnt 0x0
	s_set_vgpr_msb 4                        ;  msbs: dst=0 src0=0 src1=1 src2=0
	v_add_f64_e64 v[182:183], v[182:183], -v[16:17] /*v[272:273]*/
	s_set_vgpr_msb 64                       ;  msbs: dst=1 src0=0 src1=0 src2=0
	ds_bpermute_b32 v16 /*v272*/, v5, v140 offset:8
	ds_bpermute_b32 v17 /*v273*/, v5, v141 offset:8
	s_set_vgpr_msb 0                        ;  msbs: dst=0 src0=0 src1=0 src2=0
	v_mul_f64_e32 v[174:175], v[144:145], v[174:175]
	ds_bpermute_b32 v144, v5, v140 offset:12
	ds_bpermute_b32 v145, v5, v141 offset:12
	s_wait_dscnt 0x2
	s_set_vgpr_msb 4                        ;  msbs: dst=0 src0=0 src1=1 src2=0
	v_add_f64_e64 v[186:187], v[186:187], -v[16:17] /*v[272:273]*/
	s_set_vgpr_msb 0                        ;  msbs: dst=0 src0=0 src1=0 src2=0
	v_add_f64_e32 v[2:3], v[2:3], v[150:151]
	v_mul_f64_e32 v[182:183], v[156:157], v[182:183]
	s_wait_dscnt 0x0
	v_add_f64_e64 v[144:145], v[190:191], -v[144:145]
	ds_bpermute_b32 v156, v5, v140 offset:16
	ds_bpermute_b32 v157, v5, v141 offset:16
	s_set_vgpr_msb 4                        ;  msbs: dst=0 src0=0 src1=1 src2=0
	v_fmac_f64_e32 v[138:139], v[174:175], v[18:19] /*v[274:275]*/
	s_set_vgpr_msb 0                        ;  msbs: dst=0 src0=0 src1=0 src2=0
	ds_bpermute_b32 v174, v5, v142 offset:4
	ds_bpermute_b32 v175, v5, v143 offset:4
	v_mul_f64_e32 v[186:187], v[150:151], v[186:187]
	s_wait_dscnt 0x2
	v_add_f64_e64 v[156:157], v[194:195], -v[156:157]
	ds_bpermute_b32 v150, v5, v140 offset:20
	ds_bpermute_b32 v151, v5, v141 offset:20
	v_add_f64_e32 v[2:3], v[2:3], v[160:161]
	v_mul_f64_e32 v[144:145], v[160:161], v[144:145]
	ds_bpermute_b32 v160, v5, v142 offset:16
	ds_bpermute_b32 v161, v5, v143 offset:16
	s_wait_dscnt 0x4
	v_fmac_f64_e32 v[138:139], v[182:183], v[174:175]
	ds_bpermute_b32 v174, v5, v142 offset:8
	ds_bpermute_b32 v175, v5, v143 offset:8
	s_wait_dscnt 0x4
	v_add_f64_e64 v[150:151], v[198:199], -v[150:151]
	v_mul_f64_e32 v[156:157], v[152:153], v[156:157]
	v_add_f64_e32 v[2:3], v[2:3], v[152:153]
	ds_bpermute_b32 v152, v5, v140 offset:28
	ds_bpermute_b32 v153, v5, v141 offset:28
	s_wait_dscnt 0x2
	v_fmac_f64_e32 v[138:139], v[186:187], v[174:175]
	ds_bpermute_b32 v174, v5, v142 offset:12
	ds_bpermute_b32 v175, v5, v143 offset:12
	v_mul_f64_e32 v[150:151], v[164:165], v[150:151]
	s_wait_dscnt 0x2
	v_add_f64_e64 v[152:153], v[206:207], -v[152:153]
	v_add_f64_e32 v[2:3], v[2:3], v[164:165]
	s_wait_dscnt 0x0
	v_fmac_f64_e32 v[138:139], v[144:145], v[174:175]
	ds_bpermute_b32 v144, v5, v140 offset:24
	ds_bpermute_b32 v145, v5, v141 offset:24
	v_mul_f64_e32 v[152:153], v[168:169], v[152:153]
	v_add_f64_e32 v[2:3], v[2:3], v[154:155]
	s_wait_dscnt 0x0
	v_add_f64_e64 v[144:145], v[202:203], -v[144:145]
	v_fmac_f64_e32 v[138:139], v[156:157], v[160:161]
	ds_bpermute_b32 v156, v5, v142 offset:20
	ds_bpermute_b32 v157, v5, v143 offset:20
	v_add_f64_e32 v[2:3], v[2:3], v[168:169]
	v_mul_f64_e32 v[144:145], v[154:155], v[144:145]
	ds_bpermute_b32 v154, v5, v142 offset:28
	ds_bpermute_b32 v155, v5, v143 offset:28
	s_wait_dscnt 0x2
	v_fmac_f64_e32 v[138:139], v[150:151], v[156:157]
	ds_bpermute_b32 v150, v5, v140 offset:32
	ds_bpermute_b32 v151, v5, v141 offset:32
	;; [unrolled: 1-line block ×4, first 2 shown]
	v_add_f64_e32 v[2:3], v[2:3], v[158:159]
	s_wait_dscnt 0x2
	v_add_f64_e64 v[150:151], v[210:211], -v[150:151]
	s_wait_dscnt 0x0
	v_fmac_f64_e32 v[138:139], v[144:145], v[156:157]
	ds_bpermute_b32 v144, v5, v140 offset:36
	ds_bpermute_b32 v145, v5, v141 offset:36
	v_add_f64_e32 v[2:3], v[2:3], v[172:173]
	s_wait_dscnt 0x0
	v_add_f64_e64 v[144:145], v[214:215], -v[144:145]
	v_mul_f64_e32 v[150:151], v[158:159], v[150:151]
	v_fmac_f64_e32 v[138:139], v[152:153], v[154:155]
	ds_bpermute_b32 v152, v5, v140 offset:40
	ds_bpermute_b32 v153, v5, v141 offset:40
	ds_bpermute_b32 v154, v5, v142 offset:32
	ds_bpermute_b32 v155, v5, v143 offset:32
	v_add_f64_e32 v[2:3], v[2:3], v[162:163]
	s_wait_dscnt 0x2
	v_add_f64_e64 v[152:153], v[218:219], -v[152:153]
	v_mul_f64_e32 v[144:145], v[172:173], v[144:145]
	s_wait_dscnt 0x0
	v_fmac_f64_e32 v[138:139], v[150:151], v[154:155]
	ds_bpermute_b32 v150, v5, v140 offset:44
	ds_bpermute_b32 v151, v5, v141 offset:44
	ds_bpermute_b32 v154, v5, v142 offset:36
	ds_bpermute_b32 v155, v5, v143 offset:36
	v_add_f64_e32 v[2:3], v[2:3], v[178:179]
	s_wait_dscnt 0x2
	v_add_f64_e64 v[150:151], v[222:223], -v[150:151]
	v_mul_f64_e32 v[152:153], v[162:163], v[152:153]
	s_wait_dscnt 0x0
	;; [unrolled: 10-line block ×13, first 2 shown]
	v_fmac_f64_e32 v[138:139], v[150:151], v[154:155]
	ds_bpermute_b32 v150, v5, v140 offset:92
	ds_bpermute_b32 v151, v5, v141 offset:92
	ds_bpermute_b32 v154, v5, v142 offset:84
	ds_bpermute_b32 v155, v5, v143 offset:84
	v_add_f64_e32 v[2:3], v[2:3], v[224:225]
	s_wait_dscnt 0x2
	s_set_vgpr_msb 1                        ;  msbs: dst=0 src0=1 src1=0 src2=0
	v_add_f64_e64 v[150:151], v[0:1] /*v[256:257]*/, -v[150:151]
	s_set_vgpr_msb 0                        ;  msbs: dst=0 src0=0 src1=0 src2=0
	v_mul_f64_e32 v[152:153], v[196:197], v[152:153]
	s_wait_dscnt 0x0
	v_fmac_f64_e32 v[138:139], v[144:145], v[154:155]
	ds_bpermute_b32 v144, v5, v140 offset:96
	ds_bpermute_b32 v145, v5, v141 offset:96
	ds_bpermute_b32 v154, v5, v142 offset:88
	ds_bpermute_b32 v155, v5, v143 offset:88
	v_add_f64_e32 v[2:3], v[2:3], v[204:205]
	s_wait_dscnt 0x2
	s_set_vgpr_msb 1                        ;  msbs: dst=0 src0=1 src1=0 src2=0
	v_add_f64_e64 v[144:145], v[2:3] /*v[258:259]*/, -v[144:145]
	s_set_vgpr_msb 0                        ;  msbs: dst=0 src0=0 src1=0 src2=0
	v_mul_f64_e32 v[150:151], v[224:225], v[150:151]
	s_wait_dscnt 0x0
	;; [unrolled: 12-line block ×7, first 2 shown]
	v_fmac_f64_e32 v[138:139], v[144:145], v[154:155]
	ds_bpermute_b32 v144, v5, v142 offset:112
	ds_bpermute_b32 v145, v5, v143 offset:112
	ds_bpermute_b32 v154, v5, v140 offset:120
	ds_bpermute_b32 v155, v5, v141 offset:120
	v_mul_f64_e32 v[150:151], v[252:253], v[150:151]
	s_wait_dscnt 0x2
	v_fmac_f64_e32 v[138:139], v[152:153], v[144:145]
	s_wait_dscnt 0x0
	s_set_vgpr_msb 1                        ;  msbs: dst=0 src0=1 src1=0 src2=0
	v_add_f64_e64 v[144:145], v[14:15] /*v[270:271]*/, -v[154:155]
	s_set_vgpr_msb 0                        ;  msbs: dst=0 src0=0 src1=0 src2=0
	ds_bpermute_b32 v152, v5, v142 offset:116
	ds_bpermute_b32 v153, v5, v143 offset:116
	s_wait_dscnt 0x0
	v_fmac_f64_e32 v[138:139], v[150:151], v[152:153]
	v_mul_f64_e32 v[144:145], v[246:247], v[144:145]
	ds_bpermute_b32 v150, v5, v142 offset:120
	ds_bpermute_b32 v151, v5, v143 offset:120
	s_wait_dscnt 0x0
	v_fmac_f64_e32 v[138:139], v[144:145], v[150:151]
	v_add_f64_e32 v[150:151], v[2:3], v[246:247]
	ds_bpermute_b32 v144, v5, v142 offset:124
	ds_bpermute_b32 v145, v5, v143 offset:124
	ds_bpermute_b32 v142, v5, v140 offset:124
	ds_bpermute_b32 v143, v5, v141 offset:124
	s_set_vgpr_msb 64                       ;  msbs: dst=1 src0=0 src1=0 src2=0
	v_mov_b64_e32 v[8:9] /*v[264:265]*/, v[138:139]
.LBB38_139:                             ;   in Loop: Header=BB38_3 Depth=1
	s_wait_dscnt 0x0
	s_set_vgpr_msb 0                        ;  msbs: dst=0 src0=0 src1=0 src2=0
	v_add_f64_e64 v[138:139], v[148:149], -v[142:143]
	s_delay_alu instid0(VALU_DEP_3)
	v_add_f64_e32 v[2:3], v[150:151], v[146:147]
	s_add_nc_u64 s[30:31], s[30:31], s[22:23]
	v_add_nc_u64_e32 v[10:11], s[26:27], v[10:11]
	v_cmp_lt_i64_e64 s20, s[30:31], s[4:5]
	v_add_nc_u64_e32 v[12:13], s[26:27], v[12:13]
	v_add_nc_u64_e32 v[14:15], s[26:27], v[14:15]
	;; [unrolled: 1-line block ×27, first 2 shown]
	v_mul_f64_e32 v[138:139], v[146:147], v[138:139]
	v_add_nc_u64_e32 v[66:67], s[26:27], v[66:67]
	v_add_nc_u64_e32 v[68:69], s[26:27], v[68:69]
	;; [unrolled: 1-line block ×31, first 2 shown]
	s_set_vgpr_msb 64                       ;  msbs: dst=1 src0=0 src1=0 src2=0
	v_fmac_f64_e32 v[8:9] /*v[264:265]*/, v[138:139], v[144:145]
	s_set_vgpr_msb 0                        ;  msbs: dst=0 src0=0 src1=0 src2=0
	v_add_nc_u64_e32 v[128:129], s[26:27], v[128:129]
	v_add_nc_u64_e32 v[130:131], s[26:27], v[130:131]
	;; [unrolled: 1-line block ×6, first 2 shown]
	s_and_b32 vcc_lo, exec_lo, s20
	s_add_nc_u64 s[28:29], s[28:29], s[22:23]
	s_cbranch_vccz .LBB38_142
; %bb.140:                              ;   in Loop: Header=BB38_3 Depth=1
	s_set_vgpr_msb 1                        ;  msbs: dst=0 src0=1 src1=0 src2=0
	v_mov_b64_e32 v[138:139], v[8:9] /*v[264:265]*/
	s_set_vgpr_msb 0                        ;  msbs: dst=0 src0=0 src1=0 src2=0
	s_branch .LBB38_3
.LBB38_141:
                                        ; implicit-def: $vgpr2_vgpr3
                                        ; implicit-def: $vgpr264_vgpr265
	s_branch .LBB38_143
.LBB38_142:
	s_cbranch_execnz .LBB38_219
.LBB38_143:
	v_mov_b64_e32 v[2:3], 0
	s_set_vgpr_msb 64                       ;  msbs: dst=1 src0=0 src1=0 src2=0
	v_mov_b64_e32 v[8:9] /*v[264:265]*/, 0
	s_and_not1_b32 vcc_lo, exec_lo, s17
	s_set_vgpr_msb 0                        ;  msbs: dst=0 src0=0 src1=0 src2=0
	s_cbranch_vccnz .LBB38_219
; %bb.144:
	v_and_b32_e32 v1, 0x3ff, v0
	v_mov_b32_e32 v5, 0
	s_set_vgpr_msb 64                       ;  msbs: dst=1 src0=0 src1=0 src2=0
	v_bfe_u32 v142 /*v398*/, v0, 10, 10
	s_load_b32 s2, s[0:1], 0x44
	v_mov_b64_e32 v[6:7] /*v[262:263]*/, 0
	s_set_vgpr_msb 0                        ;  msbs: dst=0 src0=0 src1=0 src2=0
	v_add_nc_u32_e32 v4, s3, v1
	s_mov_b32 s3, 0
	s_mov_b64 s[22:23], 31
	s_mov_b32 s21, s3
	s_mov_b64 s[24:25], s[18:19]
	v_lshlrev_b64_e32 v[6:7], 3, v[4:5]
	s_set_vgpr_msb 4                        ;  msbs: dst=0 src0=0 src1=1 src2=0
	v_lshlrev_b32_e32 v4, 8, v142 /*v398*/
	s_delay_alu instid0(VALU_DEP_1) | instskip(SKIP_1) | instid1(VALU_DEP_1)
	v_lshl_add_u64 v[2:3], s[18:19], 3, v[4:5]
	s_set_vgpr_msb 0                        ;  msbs: dst=0 src0=0 src1=0 src2=0
	v_add_nc_u64_e32 v[24:25], 8, v[2:3]
	v_add_nc_u64_e32 v[28:29], 24, v[2:3]
	;; [unrolled: 1-line block ×7, first 2 shown]
	v_mad_nc_u64_u32 v[8:9], s6, v24, s[8:9]
	v_mul_lo_u32 v4, s6, v25
	v_mul_lo_u32 v32, s7, v24
	v_mad_nc_u64_u32 v[12:13], s6, v28, s[8:9]
	v_mul_lo_u32 v46, s6, v29
	v_mul_lo_u32 v47, s7, v28
	v_mad_nc_u64_u32 v[24:25], s6, v24, s[10:11]
	v_mad_nc_u64_u32 v[28:29], s6, v28, s[10:11]
	v_add_nc_u64_e32 v[34:35], 40, v[2:3]
	v_add_nc_u64_e32 v[36:37], 48, v[2:3]
	;; [unrolled: 1-line block ×3, first 2 shown]
	v_mad_nc_u64_u32 v[20:21], s6, v38, s[8:9]
	v_mul_lo_u32 v58, s6, v39
	v_mul_lo_u32 v59, s7, v38
	v_add3_u32 v9, v32, v9, v4
	v_mad_nc_u64_u32 v[38:39], s6, v38, s[10:11]
	v_add3_u32 v13, v47, v13, v46
	v_add3_u32 v25, v32, v25, v4
	v_mad_nc_u64_u32 v[32:33], s6, v44, s[8:9]
	v_mul_lo_u32 v4, s6, v45
	v_add3_u32 v29, v47, v29, v46
	v_mul_lo_u32 v62, s7, v44
	v_mad_nc_u64_u32 v[44:45], s6, v44, s[10:11]
	v_mad_nc_u64_u32 v[46:47], s6, v50, s[8:9]
	v_mul_lo_u32 v63, s6, v51
	v_mul_lo_u32 v64, s7, v50
	v_mad_nc_u64_u32 v[50:51], s6, v50, s[10:11]
	v_mad_nc_u64_u32 v[10:11], s6, v26, s[8:9]
	v_mul_lo_u32 v42, s6, v27
	v_mul_lo_u32 v43, s7, v26
	v_mad_nc_u64_u32 v[14:15], s6, v30, s[8:9]
	v_mul_lo_u32 v52, s6, v31
	v_mul_lo_u32 v53, s7, v30
	v_mad_nc_u64_u32 v[26:27], s6, v26, s[10:11]
	v_mad_nc_u64_u32 v[30:31], s6, v30, s[10:11]
	v_add_nc_u64_e32 v[66:67], 0x78, v[2:3]
	v_mad_nc_u64_u32 v[16:17], s6, v34, s[8:9]
	v_mul_lo_u32 v54, s6, v35
	v_mul_lo_u32 v55, s7, v34
	v_mad_nc_u64_u32 v[18:19], s6, v36, s[8:9]
	v_mul_lo_u32 v56, s6, v37
	v_mul_lo_u32 v57, s7, v36
	;; [unrolled: 3-line block ×3, first 2 shown]
	v_mad_nc_u64_u32 v[34:35], s6, v34, s[10:11]
	v_mad_nc_u64_u32 v[36:37], s6, v36, s[10:11]
	v_add_nc_u64_e32 v[48:49], 0x50, v[2:3]
	v_mad_nc_u64_u32 v[40:41], s6, v40, s[10:11]
	v_add3_u32 v21, v59, v21, v58
	v_add3_u32 v39, v59, v39, v58
	v_add3_u32 v33, v62, v33, v4
	v_add3_u32 v45, v62, v45, v4
	v_add3_u32 v47, v64, v47, v63
	v_add_nc_u64_e32 v[58:59], 0x68, v[2:3]
	v_add3_u32 v51, v64, v51, v63
	v_add_nc_u64_e32 v[62:63], 0x70, v[2:3]
	v_mul_lo_u32 v78, s6, v67
	v_mul_lo_u32 v79, s7, v66
	v_mad_nc_u64_u32 v[64:65], s6, v66, s[8:9]
	v_mad_nc_u64_u32 v[66:67], s6, v66, s[10:11]
	v_add3_u32 v11, v43, v11, v42
	v_add3_u32 v15, v53, v15, v52
	;; [unrolled: 1-line block ×4, first 2 shown]
	v_mad_nc_u64_u32 v[42:43], s6, v48, s[8:9]
	v_mul_lo_u32 v52, s6, v49
	v_mul_lo_u32 v53, s7, v48
	v_mad_nc_u64_u32 v[48:49], s6, v48, s[10:11]
	v_add3_u32 v17, v55, v17, v54
	v_add3_u32 v19, v57, v19, v56
	;; [unrolled: 1-line block ×6, first 2 shown]
	v_add_nc_u64_e32 v[54:55], 0x60, v[2:3]
	v_mul_lo_u32 v73, s6, v59
	v_mul_lo_u32 v74, s7, v58
	v_mad_nc_u64_u32 v[56:57], s6, v58, s[8:9]
	v_mad_nc_u64_u32 v[58:59], s6, v58, s[10:11]
	v_mul_lo_u32 v76, s6, v63
	v_mul_lo_u32 v77, s7, v62
	v_add_nc_u64_e32 v[70:71], 0x80, v[2:3]
	v_mad_nc_u64_u32 v[60:61], s6, v62, s[8:9]
	v_mad_nc_u64_u32 v[62:63], s6, v62, s[10:11]
	v_add3_u32 v65, v79, v65, v78
	v_add3_u32 v67, v79, v67, v78
	v_add_nc_u64_e32 v[78:79], 0x90, v[2:3]
	v_add_nc_u64_e32 v[86:87], 0xa0, v[2:3]
	v_add3_u32 v43, v53, v43, v52
	v_add3_u32 v49, v53, v49, v52
	v_mad_nc_u64_u32 v[52:53], s6, v54, s[8:9]
	v_mul_lo_u32 v4, s6, v55
	v_mul_lo_u32 v72, s7, v54
	v_mad_nc_u64_u32 v[54:55], s6, v54, s[10:11]
	v_mul_lo_u32 v80, s6, v71
	v_mul_lo_u32 v81, s7, v70
	v_mad_nc_u64_u32 v[68:69], s6, v70, s[8:9]
	v_mad_nc_u64_u32 v[70:71], s6, v70, s[10:11]
	v_add3_u32 v57, v74, v57, v73
	v_add3_u32 v59, v74, v59, v73
	;; [unrolled: 1-line block ×3, first 2 shown]
	v_add_nc_u64_e32 v[74:75], 0x88, v[2:3]
	v_add3_u32 v63, v77, v63, v76
	v_add_nc_u64_e32 v[82:83], 0x98, v[2:3]
	v_mul_lo_u32 v93, s6, v79
	v_mul_lo_u32 v94, s7, v78
	v_mad_nc_u64_u32 v[76:77], s6, v78, s[8:9]
	v_mad_nc_u64_u32 v[78:79], s6, v78, s[10:11]
	v_mul_lo_u32 v98, s6, v87
	v_mul_lo_u32 v99, s7, v86
	v_mad_nc_u64_u32 v[84:85], s6, v86, s[8:9]
	v_mad_nc_u64_u32 v[86:87], s6, v86, s[10:11]
	v_add3_u32 v53, v72, v53, v4
	v_add3_u32 v55, v72, v55, v4
	;; [unrolled: 1-line block ×4, first 2 shown]
	v_mul_lo_u32 v4, s6, v75
	v_mul_lo_u32 v92, s7, v74
	v_mad_nc_u64_u32 v[72:73], s6, v74, s[8:9]
	v_mad_nc_u64_u32 v[74:75], s6, v74, s[10:11]
	v_mul_lo_u32 v96, s6, v83
	v_mul_lo_u32 v97, s7, v82
	v_mad_nc_u64_u32 v[80:81], s6, v82, s[8:9]
	v_mad_nc_u64_u32 v[82:83], s6, v82, s[10:11]
	v_add3_u32 v77, v94, v77, v93
	v_add3_u32 v79, v94, v79, v93
	v_add_nc_u64_e32 v[94:95], 0xb0, v[2:3]
	v_add3_u32 v85, v99, v85, v98
	v_add3_u32 v87, v99, v87, v98
	v_add_nc_u64_e32 v[98:99], 0xb8, v[2:3]
	;; [unrolled: 3-line block ×3, first 2 shown]
	v_add3_u32 v81, v97, v81, v96
	v_add3_u32 v83, v97, v83, v96
	v_mul_lo_u32 v4, s6, v95
	v_mul_lo_u32 v112, s7, v94
	v_mad_nc_u64_u32 v[92:93], s6, v94, s[8:9]
	v_mad_nc_u64_u32 v[94:95], s6, v94, s[10:11]
	v_mul_lo_u32 v113, s6, v99
	v_mul_lo_u32 v114, s7, v98
	v_mad_nc_u64_u32 v[96:97], s6, v98, s[8:9]
	v_mad_nc_u64_u32 v[98:99], s6, v98, s[10:11]
	;; [unrolled: 4-line block ×3, first 2 shown]
	v_add_nc_u64_e32 v[102:103], 0xc0, v[2:3]
	v_add3_u32 v93, v112, v93, v4
	v_add3_u32 v95, v112, v95, v4
	s_set_vgpr_msb 4                        ;  msbs: dst=0 src0=0 src1=1 src2=0
	v_lshlrev_b32_e32 v112, 5, v142 /*v398*/
	s_set_vgpr_msb 0                        ;  msbs: dst=0 src0=0 src1=0 src2=0
	v_add_nc_u64_e32 v[110:111], 0xd0, v[2:3]
	v_add3_u32 v97, v114, v97, v113
	v_add3_u32 v99, v114, v99, v113
	v_mov_b32_e32 v113, v5
	v_add_nc_u64_e32 v[106:107], 0xc8, v[2:3]
	v_add3_u32 v89, v101, v89, v100
	v_add3_u32 v91, v101, v91, v100
	v_mul_lo_u32 v115, s6, v103
	v_add_nc_u64_e32 v[198:199], s[18:19], v[112:113]
	v_mul_lo_u32 v116, s7, v102
	v_mad_nc_u64_u32 v[100:101], s6, v102, s[8:9]
	v_mad_nc_u64_u32 v[102:103], s6, v102, s[10:11]
	v_mul_lo_u32 v120, s6, v111
	v_mul_lo_u32 v121, s7, v110
	v_mad_nc_u64_u32 v[108:109], s6, v110, s[8:9]
	v_mad_nc_u64_u32 v[110:111], s6, v110, s[10:11]
	v_add_nc_u64_e32 v[126:127], 31, v[198:199]
	v_add_nc_u64_e32 v[130:131], 30, v[198:199]
	v_mul_u64_e32 v[238:239], s[6:7], v[198:199]
	v_mul_lo_u32 v118, s6, v107
	v_mul_lo_u32 v119, s7, v106
	v_mad_nc_u64_u32 v[104:105], s6, v106, s[8:9]
	v_mad_nc_u64_u32 v[106:107], s6, v106, s[10:11]
	v_add3_u32 v101, v116, v101, v115
	v_add3_u32 v103, v116, v103, v115
	v_add_nc_u64_e32 v[116:117], 0xd8, v[2:3]
	v_add3_u32 v109, v121, v109, v120
	v_add3_u32 v111, v121, v111, v120
	v_add_nc_u64_e32 v[120:121], 0xe0, v[2:3]
	v_mul_u64_e32 v[134:135], s[6:7], v[126:127]
	v_mul_u64_e32 v[136:137], s[6:7], v[130:131]
	v_add_nc_u64_e32 v[124:125], 0xe8, v[2:3]
	v_add3_u32 v105, v119, v105, v118
	v_add3_u32 v107, v119, v107, v118
	v_mul_lo_u32 v4, s6, v117
	v_mul_lo_u32 v142, s7, v116
	v_mad_nc_u64_u32 v[114:115], s6, v116, s[8:9]
	v_mad_nc_u64_u32 v[116:117], s6, v116, s[10:11]
	v_mul_lo_u32 v143, s6, v121
	v_mul_lo_u32 v144, s7, v120
	v_mad_nc_u64_u32 v[118:119], s6, v120, s[8:9]
	v_mad_nc_u64_u32 v[120:121], s6, v120, s[10:11]
	v_add_nc_u64_e32 v[128:129], 0xf0, v[2:3]
	v_add_nc_u64_e32 v[2:3], 0xf8, v[2:3]
	;; [unrolled: 1-line block ×4, first 2 shown]
	v_mul_lo_u32 v145, s6, v125
	v_mul_lo_u32 v146, s7, v124
	v_mad_nc_u64_u32 v[122:123], s6, v124, s[8:9]
	v_mad_nc_u64_u32 v[124:125], s6, v124, s[10:11]
	v_mul_lo_u32 v147, s6, v129
	v_mul_lo_u32 v148, s7, v128
	v_mad_nc_u64_u32 v[126:127], s6, v128, s[8:9]
	v_mad_nc_u64_u32 v[128:129], s6, v128, s[10:11]
	v_mul_lo_u32 v149, s6, v3
	v_mul_lo_u32 v150, s7, v2
	v_mad_nc_u64_u32 v[130:131], s6, v2, s[8:9]
	v_mul_u64_e32 v[140:141], s[6:7], v[132:133]
	v_mad_nc_u64_u32 v[132:133], s6, v2, s[10:11]
	v_mul_u64_e32 v[2:3], s[6:7], v[138:139]
	v_add3_u32 v115, v142, v115, v4
	v_add3_u32 v117, v142, v117, v4
	;; [unrolled: 1-line block ×4, first 2 shown]
	v_add_nc_u64_e32 v[138:139], 27, v[198:199]
	v_add_nc_u64_e32 v[142:143], 26, v[198:199]
	v_add3_u32 v123, v146, v123, v145
	v_add3_u32 v125, v146, v125, v145
	;; [unrolled: 1-line block ×6, first 2 shown]
	v_add_nc_u64_e32 v[144:145], 25, v[198:199]
	v_lshlrev_b64_e32 v[148:149], 3, v[238:239]
	v_mul_u64_e32 v[150:151], s[6:7], v[138:139]
	v_add_nc_u64_e32 v[138:139], 24, v[198:199]
	v_mul_u64_e32 v[154:155], s[6:7], v[142:143]
	v_add_nc_u64_e32 v[142:143], 23, v[198:199]
	v_lshlrev_b64_e32 v[146:147], 3, v[134:135]
	v_lshlrev_b64_e32 v[152:153], 3, v[136:137]
	v_mul_u64_e32 v[156:157], s[6:7], v[144:145]
	v_add_nc_u64_e32 v[134:135], s[8:9], v[148:149]
	v_add_nc_u64_e32 v[136:137], s[10:11], v[148:149]
	v_mul_u64_e32 v[158:159], s[6:7], v[138:139]
	v_add_nc_u64_e32 v[148:149], 21, v[198:199]
	v_mul_u64_e32 v[162:163], s[6:7], v[142:143]
	v_add_nc_u64_e32 v[142:143], 20, v[198:199]
	v_add_nc_u64_e32 v[164:165], 18, v[198:199]
	;; [unrolled: 1-line block ×4, first 2 shown]
	v_lshlrev_b64_e32 v[160:161], 3, v[140:141]
	v_mul_u64_e32 v[170:171], s[6:7], v[148:149]
	v_add_nc_u64_e32 v[148:149], 19, v[198:199]
	v_mul_u64_e32 v[174:175], s[6:7], v[142:143]
	v_mul_u64_e32 v[180:181], s[6:7], v[164:165]
	;; [unrolled: 1-line block ×3, first 2 shown]
	v_lshlrev_b64_e32 v[2:3], 3, v[2:3]
	v_add_nc_u64_e32 v[164:165], 15, v[198:199]
	v_mul_u64_e32 v[166:167], s[6:7], v[144:145]
	v_mul_u64_e32 v[178:179], s[6:7], v[148:149]
	v_add_nc_u64_e32 v[138:139], s[8:9], v[146:147]
	v_add_nc_u64_e32 v[140:141], s[10:11], v[146:147]
	;; [unrolled: 1-line block ×7, first 2 shown]
	v_lshlrev_b64_e32 v[168:169], 3, v[150:151]
	v_add_nc_u64_e32 v[150:151], s[8:9], v[2:3]
	v_add_nc_u64_e32 v[152:153], s[10:11], v[2:3]
	v_lshlrev_b64_e32 v[2:3], 3, v[154:155]
	v_mul_u64_e32 v[202:203], s[6:7], v[164:165]
	v_lshlrev_b64_e32 v[172:173], 3, v[156:157]
	v_mul_u64_e32 v[200:201], s[6:7], v[160:161]
	v_add_nc_u64_e32 v[154:155], s[8:9], v[168:169]
	v_add_nc_u64_e32 v[156:157], s[10:11], v[168:169]
	v_lshlrev_b64_e32 v[168:169], 3, v[158:159]
	v_add_nc_u64_e32 v[158:159], s[8:9], v[2:3]
	v_add_nc_u64_e32 v[160:161], s[10:11], v[2:3]
	v_lshlrev_b64_e32 v[2:3], 3, v[162:163]
	v_add_nc_u64_e32 v[162:163], s[8:9], v[172:173]
	v_add_nc_u64_e32 v[164:165], s[10:11], v[172:173]
	;; [unrolled: 1-line block ×3, first 2 shown]
	v_lshlrev_b64_e32 v[184:185], 3, v[170:171]
	v_add_nc_u64_e32 v[214:215], 7, v[198:199]
	v_add_nc_u64_e32 v[194:195], 12, v[198:199]
	;; [unrolled: 1-line block ×4, first 2 shown]
	v_lshlrev_b64_e32 v[2:3], 3, v[174:175]
	v_lshlrev_b64_e32 v[192:193], 3, v[180:181]
	v_add_nc_u64_e32 v[180:181], s[10:11], v[184:185]
	v_lshlrev_b64_e32 v[188:189], 3, v[178:179]
	v_add_nc_u64_e32 v[178:179], s[8:9], v[184:185]
	v_lshlrev_b64_e32 v[196:197], 3, v[182:183]
	v_mul_u64_e32 v[212:213], s[6:7], v[206:207]
	v_add_nc_u64_e32 v[182:183], s[8:9], v[2:3]
	v_add_nc_u64_e32 v[184:185], s[10:11], v[2:3]
	;; [unrolled: 1-line block ×4, first 2 shown]
	v_mul_u64_e32 v[224:225], s[6:7], v[214:215]
	v_add_nc_u64_e32 v[214:215], 5, v[198:199]
	v_add_nc_u64_e32 v[186:187], 14, v[198:199]
	;; [unrolled: 1-line block ×3, first 2 shown]
	v_mul_u64_e32 v[210:211], s[6:7], v[194:195]
	v_mul_u64_e32 v[2:3], s[6:7], v[2:3]
	;; [unrolled: 1-line block ×3, first 2 shown]
	v_add_nc_u64_e32 v[206:207], 6, v[198:199]
	v_add_nc_u64_e32 v[194:195], 9, v[198:199]
	;; [unrolled: 1-line block ×3, first 2 shown]
	v_mul_u64_e32 v[240:241], s[6:7], v[214:215]
	v_add_nc_u64_e32 v[214:215], 2, v[198:199]
	v_mul_u64_e32 v[204:205], s[6:7], v[186:187]
	v_mul_u64_e32 v[208:209], s[6:7], v[190:191]
	;; [unrolled: 1-line block ×3, first 2 shown]
	v_lshlrev_b64_e32 v[206:207], 3, v[202:203]
	v_add_nc_u64_e32 v[202:203], 3, v[198:199]
	v_mul_u64_e32 v[218:219], s[6:7], v[194:195]
	v_mul_u64_e32 v[242:243], s[6:7], v[216:217]
	;; [unrolled: 1-line block ×3, first 2 shown]
	v_add_nc_u64_e32 v[252:253], s[6:7], v[238:239]
	v_lshlrev_b64_e32 v[176:177], 3, v[166:167]
	v_lshlrev_b64_e32 v[200:201], 3, v[200:201]
	v_mul_u64_e32 v[244:245], s[6:7], v[202:203]
	v_add_nc_u64_e32 v[166:167], s[8:9], v[168:169]
	v_add_nc_u64_e32 v[168:169], s[10:11], v[168:169]
	;; [unrolled: 1-line block ×3, first 2 shown]
	v_lshlrev_b64_e32 v[228:229], 3, v[212:213]
	s_set_vgpr_msb 64                       ;  msbs: dst=1 src0=0 src1=0 src2=0
	v_lshlrev_b64_e32 v[4:5] /*v[260:261]*/, 3, v[252:253]
	s_set_vgpr_msb 0                        ;  msbs: dst=0 src0=0 src1=0 src2=0
	v_add_nc_u64_e32 v[174:175], s[8:9], v[176:177]
	v_add_nc_u64_e32 v[176:177], s[10:11], v[176:177]
	;; [unrolled: 1-line block ×3, first 2 shown]
	v_lshlrev_b64_e32 v[236:237], 3, v[224:225]
	v_add_nc_u64_e32 v[190:191], s[8:9], v[192:193]
	v_add_nc_u64_e32 v[192:193], s[10:11], v[192:193]
	;; [unrolled: 1-line block ×3, first 2 shown]
	v_lshlrev_b64_e32 v[226:227], 3, v[210:211]
	v_lshlrev_b64_e32 v[2:3], 3, v[2:3]
	;; [unrolled: 1-line block ×3, first 2 shown]
	v_add_nc_u64_e32 v[196:197], s[10:11], v[196:197]
	v_add_nc_u64_e32 v[198:199], s[8:9], v[200:201]
	;; [unrolled: 1-line block ×3, first 2 shown]
	v_lshlrev_b64_e32 v[248:249], 3, v[240:241]
	v_add_nc_u64_e32 v[202:203], s[8:9], v[206:207]
	v_add_nc_u64_e32 v[222:223], s[8:9], v[2:3]
	;; [unrolled: 1-line block ×3, first 2 shown]
	v_lshlrev_b64_e32 v[2:3], 3, v[230:231]
	v_lshlrev_b64_e32 v[216:217], 3, v[204:205]
	;; [unrolled: 1-line block ×5, first 2 shown]
	s_set_vgpr_msb 64                       ;  msbs: dst=1 src0=0 src1=0 src2=0
	v_lshlrev_b64_e32 v[0:1] /*v[256:257]*/, 3, v[246:247]
	s_set_vgpr_msb 0                        ;  msbs: dst=0 src0=0 src1=0 src2=0
	v_add_nc_u64_e32 v[204:205], s[10:11], v[206:207]
	v_add_nc_u64_e32 v[238:239], s[8:9], v[2:3]
	;; [unrolled: 1-line block ×3, first 2 shown]
	v_lshlrev_b64_e32 v[2:3], 3, v[244:245]
	v_add_nc_u64_e32 v[206:207], s[8:9], v[216:217]
	v_add_nc_u64_e32 v[208:209], s[10:11], v[216:217]
	;; [unrolled: 1-line block ×20, first 2 shown]
	s_set_vgpr_msb 4                        ;  msbs: dst=0 src0=0 src1=1 src2=0
	v_add_nc_u64_e32 v[254:255], s[8:9], v[0:1] /*v[256:257]*/
	s_set_vgpr_msb 0x44                     ;  msbs: dst=1 src0=0 src1=1 src2=0
	v_add_nc_u64_e32 v[0:1] /*v[256:257]*/, s[10:11], v[0:1] /*v[256:257]*/
	v_add_nc_u64_e32 v[2:3] /*v[258:259]*/, s[8:9], v[4:5] /*v[260:261]*/
	;; [unrolled: 1-line block ×3, first 2 shown]
	s_set_vgpr_msb 0                        ;  msbs: dst=0 src0=0 src1=0 src2=0
	v_mov_b64_e32 v[2:3], 0
	s_wait_kmcnt 0x0
	s_lshl_b32 s20, s2, 5
	s_add_nc_u64 s[8:9], s[0:1], 64
	s_mul_u64 s[10:11], s[6:7], s[20:21]
	s_delay_alu instid0(SALU_CYCLE_1)
	s_lshl_b64 s[10:11], s[10:11], 3
.LBB38_145:                             ; =>This Inner Loop Header: Depth=1
	s_add_nc_u64 s[26:27], s[18:19], s[22:23]
	s_set_vgpr_msb 64                       ;  msbs: dst=1 src0=0 src1=0 src2=0
	v_add_nc_u64_e32 v[10:11] /*v[266:267]*/, s[18:19], v[112:113]
	v_cmp_ge_i64_e64 s2, s[26:27], s[4:5]
                                        ; implicit-def: $vgpr270_vgpr271
                                        ; implicit-def: $vgpr274_vgpr275
                                        ; implicit-def: $vgpr286_vgpr287
                                        ; implicit-def: $vgpr268
                                        ; implicit-def: $vgpr272_vgpr273
                                        ; implicit-def: $vgpr264_vgpr265
	s_and_b32 vcc_lo, exec_lo, s2
	s_mov_b32 s2, -1
	s_set_vgpr_msb 0                        ;  msbs: dst=0 src0=0 src1=0 src2=0
	s_cbranch_vccz .LBB38_213
; %bb.146:                              ;   in Loop: Header=BB38_145 Depth=1
	s_load_b32 s2, s[8:9], 0xc
	s_set_vgpr_msb 64                       ;  msbs: dst=1 src0=0 src1=0 src2=0
	v_mov_b64_e32 v[16:17] /*v[272:273]*/, 0
	v_mov_b64_e32 v[14:15] /*v[270:271]*/, 0
	;; [unrolled: 1-line block ×3, first 2 shown]
	s_wait_kmcnt 0x0
	s_and_b32 s2, s2, 0xffff
	s_set_vgpr_msb 1                        ;  msbs: dst=0 src0=1 src1=0 src2=0
	v_mad_u32_u24 v4, v142 /*v398*/, s2, v1
	s_mov_b32 s2, exec_lo
	s_delay_alu instid0(VALU_DEP_1) | instskip(SKIP_1) | instid1(VALU_DEP_1)
	v_and_b32_e32 v4, 31, v4
	s_set_vgpr_msb 0x41                     ;  msbs: dst=1 src0=1 src1=0 src2=0
	v_add_nc_u64_e32 v[8:9] /*v[264:265]*/, v[10:11] /*v[266:267]*/, v[4:5]
	s_set_vgpr_msb 4                        ;  msbs: dst=0 src0=0 src1=1 src2=0
	s_delay_alu instid0(VALU_DEP_1)
	v_cmpx_gt_i64_e64 s[4:5], v[8:9] /*v[264:265]*/
	s_set_vgpr_msb 0                        ;  msbs: dst=0 src0=0 src1=0 src2=0
	s_cbranch_execz .LBB38_148
; %bb.147:                              ;   in Loop: Header=BB38_145 Depth=1
	s_set_vgpr_msb 0x44                     ;  msbs: dst=1 src0=0 src1=1 src2=0
	v_lshlrev_b64_e32 v[8:9] /*v[264:265]*/, 3, v[8:9] /*v[264:265]*/
	s_delay_alu instid0(VALU_DEP_1)
	v_add_nc_u64_e32 v[18:19] /*v[274:275]*/, s[12:13], v[8:9] /*v[264:265]*/
	v_add_nc_u64_e32 v[8:9] /*v[264:265]*/, s[14:15], v[8:9] /*v[264:265]*/
	s_set_vgpr_msb 0x41                     ;  msbs: dst=1 src0=1 src1=0 src2=0
	global_load_b64 v[12:13] /*v[268:269]*/, v[18:19] /*v[274:275]*/, off
	global_load_b64 v[14:15] /*v[270:271]*/, v[8:9] /*v[264:265]*/, off
.LBB38_148:                             ;   in Loop: Header=BB38_145 Depth=1
	s_wait_xcnt 0x0
	s_or_b32 exec_lo, exec_lo, s2
	s_set_vgpr_msb 64                       ;  msbs: dst=1 src0=0 src1=0 src2=0
	v_mov_b64_e32 v[8:9] /*v[264:265]*/, 0
	s_mov_b32 s2, exec_lo
	s_set_vgpr_msb 4                        ;  msbs: dst=0 src0=0 src1=1 src2=0
	v_cmpx_gt_i64_e64 s[4:5], v[10:11] /*v[266:267]*/
	s_set_vgpr_msb 0                        ;  msbs: dst=0 src0=0 src1=0 src2=0
	s_cbranch_execz .LBB38_150
; %bb.149:                              ;   in Loop: Header=BB38_145 Depth=1
	s_set_vgpr_msb 64                       ;  msbs: dst=1 src0=0 src1=0 src2=0
	v_add_nc_u64_e32 v[18:19] /*v[274:275]*/, v[134:135], v[6:7]
	v_add_nc_u64_e32 v[20:21] /*v[276:277]*/, v[136:137], v[6:7]
	s_set_vgpr_msb 0x41                     ;  msbs: dst=1 src0=1 src1=0 src2=0
	global_load_b64 v[16:17] /*v[272:273]*/, v[18:19] /*v[274:275]*/, off
	global_load_b64 v[8:9] /*v[264:265]*/, v[20:21] /*v[276:277]*/, off
.LBB38_150:                             ;   in Loop: Header=BB38_145 Depth=1
	s_wait_xcnt 0x0
	s_or_b32 exec_lo, exec_lo, s2
	s_set_vgpr_msb 0x44                     ;  msbs: dst=1 src0=0 src1=1 src2=0
	v_add_nc_u64_e32 v[18:19] /*v[274:275]*/, 1, v[10:11] /*v[266:267]*/
	v_mov_b64_e32 v[20:21] /*v[276:277]*/, 0
	v_mov_b64_e32 v[24:25] /*v[280:281]*/, 0
	v_mov_b64_e32 v[40:41] /*v[296:297]*/, 0
	s_mov_b32 s2, exec_lo
	s_delay_alu instid0(VALU_DEP_4)
	v_cmpx_gt_i64_e64 s[4:5], v[18:19] /*v[274:275]*/
	s_set_vgpr_msb 0                        ;  msbs: dst=0 src0=0 src1=0 src2=0
	s_cbranch_execz .LBB38_152
; %bb.151:                              ;   in Loop: Header=BB38_145 Depth=1
	s_set_vgpr_msb 0x41                     ;  msbs: dst=1 src0=1 src1=0 src2=0
	v_add_nc_u64_e32 v[18:19] /*v[274:275]*/, v[2:3] /*v[258:259]*/, v[6:7]
	v_add_nc_u64_e32 v[22:23] /*v[278:279]*/, v[4:5] /*v[260:261]*/, v[6:7]
	global_load_b64 v[24:25] /*v[280:281]*/, v[18:19] /*v[274:275]*/, off
	global_load_b64 v[40:41] /*v[296:297]*/, v[22:23] /*v[278:279]*/, off
.LBB38_152:                             ;   in Loop: Header=BB38_145 Depth=1
	s_wait_xcnt 0x0
	s_or_b32 exec_lo, exec_lo, s2
	s_set_vgpr_msb 0x44                     ;  msbs: dst=1 src0=0 src1=1 src2=0
	v_add_nc_u64_e32 v[18:19] /*v[274:275]*/, 2, v[10:11] /*v[266:267]*/
	v_mov_b64_e32 v[44:45] /*v[300:301]*/, 0
	s_mov_b32 s2, exec_lo
	s_delay_alu instid0(VALU_DEP_2)
	v_cmpx_gt_i64_e64 s[4:5], v[18:19] /*v[274:275]*/
	s_set_vgpr_msb 0                        ;  msbs: dst=0 src0=0 src1=0 src2=0
	s_cbranch_execz .LBB38_154
; %bb.153:                              ;   in Loop: Header=BB38_145 Depth=1
	s_set_vgpr_msb 64                       ;  msbs: dst=1 src0=0 src1=0 src2=0
	v_add_nc_u64_e32 v[18:19] /*v[274:275]*/, v[254:255], v[6:7]
	s_set_vgpr_msb 0x41                     ;  msbs: dst=1 src0=1 src1=0 src2=0
	v_add_nc_u64_e32 v[22:23] /*v[278:279]*/, v[0:1] /*v[256:257]*/, v[6:7]
	global_load_b64 v[20:21] /*v[276:277]*/, v[18:19] /*v[274:275]*/, off
	global_load_b64 v[44:45] /*v[300:301]*/, v[22:23] /*v[278:279]*/, off
.LBB38_154:                             ;   in Loop: Header=BB38_145 Depth=1
	s_wait_xcnt 0x0
	s_or_b32 exec_lo, exec_lo, s2
	s_set_vgpr_msb 0x44                     ;  msbs: dst=1 src0=0 src1=1 src2=0
	v_add_nc_u64_e32 v[18:19] /*v[274:275]*/, 3, v[10:11] /*v[266:267]*/
	v_mov_b64_e32 v[22:23] /*v[278:279]*/, 0
	v_mov_b64_e32 v[28:29] /*v[284:285]*/, 0
	v_mov_b64_e32 v[50:51] /*v[306:307]*/, 0
	s_mov_b32 s2, exec_lo
	s_delay_alu instid0(VALU_DEP_4)
	v_cmpx_gt_i64_e64 s[4:5], v[18:19] /*v[274:275]*/
	s_set_vgpr_msb 0                        ;  msbs: dst=0 src0=0 src1=0 src2=0
	s_cbranch_execz .LBB38_156
; %bb.155:                              ;   in Loop: Header=BB38_145 Depth=1
	s_set_vgpr_msb 64                       ;  msbs: dst=1 src0=0 src1=0 src2=0
	v_add_nc_u64_e32 v[18:19] /*v[274:275]*/, v[250:251], v[6:7]
	v_add_nc_u64_e32 v[26:27] /*v[282:283]*/, v[252:253], v[6:7]
	s_set_vgpr_msb 0x41                     ;  msbs: dst=1 src0=1 src1=0 src2=0
	global_load_b64 v[28:29] /*v[284:285]*/, v[18:19] /*v[274:275]*/, off
	global_load_b64 v[50:51] /*v[306:307]*/, v[26:27] /*v[282:283]*/, off
.LBB38_156:                             ;   in Loop: Header=BB38_145 Depth=1
	s_wait_xcnt 0x0
	s_or_b32 exec_lo, exec_lo, s2
	s_set_vgpr_msb 0x44                     ;  msbs: dst=1 src0=0 src1=1 src2=0
	v_add_nc_u64_e32 v[18:19] /*v[274:275]*/, 4, v[10:11] /*v[266:267]*/
	v_mov_b64_e32 v[52:53] /*v[308:309]*/, 0
	s_mov_b32 s2, exec_lo
	s_delay_alu instid0(VALU_DEP_2)
	v_cmpx_gt_i64_e64 s[4:5], v[18:19] /*v[274:275]*/
	s_set_vgpr_msb 0                        ;  msbs: dst=0 src0=0 src1=0 src2=0
	s_cbranch_execz .LBB38_158
; %bb.157:                              ;   in Loop: Header=BB38_145 Depth=1
	s_set_vgpr_msb 64                       ;  msbs: dst=1 src0=0 src1=0 src2=0
	v_add_nc_u64_e32 v[18:19] /*v[274:275]*/, v[246:247], v[6:7]
	v_add_nc_u64_e32 v[26:27] /*v[282:283]*/, v[248:249], v[6:7]
	s_set_vgpr_msb 0x41                     ;  msbs: dst=1 src0=1 src1=0 src2=0
	global_load_b64 v[22:23] /*v[278:279]*/, v[18:19] /*v[274:275]*/, off
	global_load_b64 v[52:53] /*v[308:309]*/, v[26:27] /*v[282:283]*/, off
.LBB38_158:                             ;   in Loop: Header=BB38_145 Depth=1
	s_wait_xcnt 0x0
	s_or_b32 exec_lo, exec_lo, s2
	s_set_vgpr_msb 0x44                     ;  msbs: dst=1 src0=0 src1=1 src2=0
	v_add_nc_u64_e32 v[18:19] /*v[274:275]*/, 5, v[10:11] /*v[266:267]*/
	v_mov_b64_e32 v[26:27] /*v[282:283]*/, 0
	v_mov_b64_e32 v[34:35] /*v[290:291]*/, 0
	v_mov_b64_e32 v[58:59] /*v[314:315]*/, 0
	s_mov_b32 s2, exec_lo
	s_delay_alu instid0(VALU_DEP_4)
	v_cmpx_gt_i64_e64 s[4:5], v[18:19] /*v[274:275]*/
	s_set_vgpr_msb 0                        ;  msbs: dst=0 src0=0 src1=0 src2=0
	s_cbranch_execz .LBB38_160
; %bb.159:                              ;   in Loop: Header=BB38_145 Depth=1
	s_set_vgpr_msb 64                       ;  msbs: dst=1 src0=0 src1=0 src2=0
	v_add_nc_u64_e32 v[18:19] /*v[274:275]*/, v[242:243], v[6:7]
	v_add_nc_u64_e32 v[30:31] /*v[286:287]*/, v[244:245], v[6:7]
	s_set_vgpr_msb 0x41                     ;  msbs: dst=1 src0=1 src1=0 src2=0
	global_load_b64 v[34:35] /*v[290:291]*/, v[18:19] /*v[274:275]*/, off
	global_load_b64 v[58:59] /*v[314:315]*/, v[30:31] /*v[286:287]*/, off
.LBB38_160:                             ;   in Loop: Header=BB38_145 Depth=1
	s_wait_xcnt 0x0
	s_or_b32 exec_lo, exec_lo, s2
	s_set_vgpr_msb 0x44                     ;  msbs: dst=1 src0=0 src1=1 src2=0
	v_add_nc_u64_e32 v[18:19] /*v[274:275]*/, 6, v[10:11] /*v[266:267]*/
	v_mov_b64_e32 v[60:61] /*v[316:317]*/, 0
	s_mov_b32 s2, exec_lo
	s_delay_alu instid0(VALU_DEP_2)
	v_cmpx_gt_i64_e64 s[4:5], v[18:19] /*v[274:275]*/
	s_set_vgpr_msb 0                        ;  msbs: dst=0 src0=0 src1=0 src2=0
	s_cbranch_execz .LBB38_162
; %bb.161:                              ;   in Loop: Header=BB38_145 Depth=1
	s_set_vgpr_msb 64                       ;  msbs: dst=1 src0=0 src1=0 src2=0
	v_add_nc_u64_e32 v[18:19] /*v[274:275]*/, v[238:239], v[6:7]
	v_add_nc_u64_e32 v[30:31] /*v[286:287]*/, v[240:241], v[6:7]
	s_set_vgpr_msb 0x41                     ;  msbs: dst=1 src0=1 src1=0 src2=0
	global_load_b64 v[26:27] /*v[282:283]*/, v[18:19] /*v[274:275]*/, off
	global_load_b64 v[60:61] /*v[316:317]*/, v[30:31] /*v[286:287]*/, off
.LBB38_162:                             ;   in Loop: Header=BB38_145 Depth=1
	;; [unrolled: 38-line block ×14, first 2 shown]
	s_wait_xcnt 0x0
	s_or_b32 exec_lo, exec_lo, s2
	s_set_vgpr_msb 0x44                     ;  msbs: dst=1 src0=0 src1=1 src2=0
	v_add_nc_u64_e32 v[30:31] /*v[286:287]*/, 31, v[10:11] /*v[266:267]*/
	v_mov_b64_e32 v[18:19] /*v[274:275]*/, 0
	s_delay_alu instid0(VALU_DEP_2)
	v_cmp_gt_i64_e32 vcc_lo, s[4:5], v[30:31] /*v[286:287]*/
	v_mov_b64_e32 v[30:31] /*v[286:287]*/, 0
	s_and_saveexec_b32 s2, vcc_lo
	s_set_vgpr_msb 0                        ;  msbs: dst=0 src0=0 src1=0 src2=0
	s_cbranch_execz .LBB38_212
; %bb.211:                              ;   in Loop: Header=BB38_145 Depth=1
	s_set_vgpr_msb 64                       ;  msbs: dst=1 src0=0 src1=0 src2=0
	v_add_nc_u64_e32 v[144:145] /*v[400:401]*/, v[138:139], v[6:7]
	v_add_nc_u64_e32 v[146:147] /*v[402:403]*/, v[140:141], v[6:7]
	s_set_vgpr_msb 0x41                     ;  msbs: dst=1 src0=1 src1=0 src2=0
	global_load_b64 v[18:19] /*v[274:275]*/, v[144:145] /*v[400:401]*/, off
	global_load_b64 v[30:31] /*v[286:287]*/, v[146:147] /*v[402:403]*/, off
.LBB38_212:                             ;   in Loop: Header=BB38_145 Depth=1
	s_wait_xcnt 0x0
	s_or_b32 exec_lo, exec_lo, s2
	s_wait_loadcnt 0x1
	s_set_vgpr_msb 0x44                     ;  msbs: dst=1 src0=0 src1=1 src2=0
	ds_bpermute_b32 v144 /*v400*/, v5, v12 /*v268*/
	ds_bpermute_b32 v145 /*v401*/, v5, v13 /*v269*/
	s_wait_loadcnt 0x0
	ds_bpermute_b32 v146 /*v402*/, v5, v14 /*v270*/
	ds_bpermute_b32 v147 /*v403*/, v5, v15 /*v271*/
	s_mov_b32 s2, 0
	s_wait_dscnt 0x2
	s_set_vgpr_msb 0x45                     ;  msbs: dst=1 src0=1 src1=1 src2=0
	v_add_f64_e64 v[8:9] /*v[264:265]*/, v[8:9] /*v[264:265]*/, -v[144:145] /*v[400:401]*/
	s_set_vgpr_msb 0x44                     ;  msbs: dst=1 src0=0 src1=1 src2=0
	ds_bpermute_b32 v144 /*v400*/, v5, v12 /*v268*/ offset:4
	ds_bpermute_b32 v145 /*v401*/, v5, v13 /*v269*/ offset:4
	s_wait_dscnt 0x0
	s_set_vgpr_msb 0x45                     ;  msbs: dst=1 src0=1 src1=1 src2=0
	v_add_f64_e64 v[40:41] /*v[296:297]*/, v[40:41] /*v[296:297]*/, -v[144:145] /*v[400:401]*/
	s_set_vgpr_msb 0x44                     ;  msbs: dst=1 src0=0 src1=1 src2=0
	ds_bpermute_b32 v144 /*v400*/, v5, v12 /*v268*/ offset:8
	ds_bpermute_b32 v145 /*v401*/, v5, v13 /*v269*/ offset:8
	s_set_vgpr_msb 0x45                     ;  msbs: dst=1 src0=1 src1=1 src2=0
	v_mul_f64_e32 v[8:9] /*v[264:265]*/, v[16:17] /*v[272:273]*/, v[8:9] /*v[264:265]*/
	s_set_vgpr_msb 0x44                     ;  msbs: dst=1 src0=0 src1=1 src2=0
	v_add_f64_e32 v[16:17] /*v[272:273]*/, v[2:3], v[16:17] /*v[272:273]*/
	s_wait_dscnt 0x0
	s_set_vgpr_msb 0x45                     ;  msbs: dst=1 src0=1 src1=1 src2=0
	v_add_f64_e64 v[44:45] /*v[300:301]*/, v[44:45] /*v[300:301]*/, -v[144:145] /*v[400:401]*/
	s_set_vgpr_msb 0x44                     ;  msbs: dst=1 src0=0 src1=1 src2=0
	ds_bpermute_b32 v144 /*v400*/, v5, v12 /*v268*/ offset:12
	ds_bpermute_b32 v145 /*v401*/, v5, v13 /*v269*/ offset:12
	s_set_vgpr_msb 0x55                     ;  msbs: dst=1 src0=1 src1=1 src2=1
	v_mul_f64_e32 v[40:41] /*v[296:297]*/, v[24:25] /*v[280:281]*/, v[40:41] /*v[296:297]*/
	v_fma_f64 v[8:9] /*v[264:265]*/, v[8:9] /*v[264:265]*/, v[146:147] /*v[402:403]*/, v[6:7] /*v[262:263]*/
	s_set_vgpr_msb 0x44                     ;  msbs: dst=1 src0=0 src1=1 src2=0
	ds_bpermute_b32 v146 /*v402*/, v5, v14 /*v270*/ offset:4
	ds_bpermute_b32 v147 /*v403*/, v5, v15 /*v271*/ offset:4
	s_wait_dscnt 0x2
	s_set_vgpr_msb 0x45                     ;  msbs: dst=1 src0=1 src1=1 src2=0
	v_add_f64_e64 v[50:51] /*v[306:307]*/, v[50:51] /*v[306:307]*/, -v[144:145] /*v[400:401]*/
	v_add_f64_e32 v[16:17] /*v[272:273]*/, v[16:17] /*v[272:273]*/, v[24:25] /*v[280:281]*/
	s_set_vgpr_msb 0x44                     ;  msbs: dst=1 src0=0 src1=1 src2=0
	ds_bpermute_b32 v24 /*v280*/, v5, v12 /*v268*/ offset:16
	ds_bpermute_b32 v25 /*v281*/, v5, v13 /*v269*/ offset:16
	s_set_vgpr_msb 0x45                     ;  msbs: dst=1 src0=1 src1=1 src2=0
	v_mul_f64_e32 v[44:45] /*v[300:301]*/, v[20:21] /*v[276:277]*/, v[44:45] /*v[300:301]*/
	s_wait_dscnt 0x0
	v_add_f64_e64 v[24:25] /*v[280:281]*/, v[52:53] /*v[308:309]*/, -v[24:25] /*v[280:281]*/
	v_fmac_f64_e32 v[8:9] /*v[264:265]*/, v[40:41] /*v[296:297]*/, v[146:147] /*v[402:403]*/
	s_set_vgpr_msb 0x44                     ;  msbs: dst=1 src0=0 src1=1 src2=0
	ds_bpermute_b32 v40 /*v296*/, v5, v14 /*v270*/ offset:8
	ds_bpermute_b32 v41 /*v297*/, v5, v15 /*v271*/ offset:8
	s_set_vgpr_msb 0x45                     ;  msbs: dst=1 src0=1 src1=1 src2=0
	v_mul_f64_e32 v[50:51] /*v[306:307]*/, v[28:29] /*v[284:285]*/, v[50:51] /*v[306:307]*/
	v_add_f64_e32 v[16:17] /*v[272:273]*/, v[16:17] /*v[272:273]*/, v[20:21] /*v[276:277]*/
	s_set_vgpr_msb 0x44                     ;  msbs: dst=1 src0=0 src1=1 src2=0
	ds_bpermute_b32 v20 /*v276*/, v5, v12 /*v268*/ offset:20
	ds_bpermute_b32 v21 /*v277*/, v5, v13 /*v269*/ offset:20
	s_wait_dscnt 0x0
	s_set_vgpr_msb 0x45                     ;  msbs: dst=1 src0=1 src1=1 src2=0
	v_add_f64_e64 v[20:21] /*v[276:277]*/, v[58:59] /*v[314:315]*/, -v[20:21] /*v[276:277]*/
	v_mul_f64_e32 v[24:25] /*v[280:281]*/, v[22:23] /*v[278:279]*/, v[24:25] /*v[280:281]*/
	v_fmac_f64_e32 v[8:9] /*v[264:265]*/, v[44:45] /*v[300:301]*/, v[40:41] /*v[296:297]*/
	s_set_vgpr_msb 0x44                     ;  msbs: dst=1 src0=0 src1=1 src2=0
	ds_bpermute_b32 v40 /*v296*/, v5, v14 /*v270*/ offset:12
	ds_bpermute_b32 v41 /*v297*/, v5, v15 /*v271*/ offset:12
	s_set_vgpr_msb 0x45                     ;  msbs: dst=1 src0=1 src1=1 src2=0
	v_add_f64_e32 v[16:17] /*v[272:273]*/, v[16:17] /*v[272:273]*/, v[28:29] /*v[284:285]*/
	s_set_vgpr_msb 0x44                     ;  msbs: dst=1 src0=0 src1=1 src2=0
	ds_bpermute_b32 v28 /*v284*/, v5, v12 /*v268*/ offset:24
	ds_bpermute_b32 v29 /*v285*/, v5, v13 /*v269*/ offset:24
	s_wait_dscnt 0x0
	s_set_vgpr_msb 0x45                     ;  msbs: dst=1 src0=1 src1=1 src2=0
	v_add_f64_e64 v[28:29] /*v[284:285]*/, v[60:61] /*v[316:317]*/, -v[28:29] /*v[284:285]*/
	v_mul_f64_e32 v[20:21] /*v[276:277]*/, v[34:35] /*v[290:291]*/, v[20:21] /*v[276:277]*/
	v_fmac_f64_e32 v[8:9] /*v[264:265]*/, v[50:51] /*v[306:307]*/, v[40:41] /*v[296:297]*/
	s_set_vgpr_msb 0x44                     ;  msbs: dst=1 src0=0 src1=1 src2=0
	ds_bpermute_b32 v40 /*v296*/, v5, v14 /*v270*/ offset:16
	ds_bpermute_b32 v41 /*v297*/, v5, v15 /*v271*/ offset:16
	s_set_vgpr_msb 0x45                     ;  msbs: dst=1 src0=1 src1=1 src2=0
	;; [unrolled: 13-line block ×3, first 2 shown]
	v_add_f64_e32 v[16:17] /*v[272:273]*/, v[16:17] /*v[272:273]*/, v[34:35] /*v[290:291]*/
	v_mul_f64_e32 v[22:23] /*v[278:279]*/, v[38:39] /*v[294:295]*/, v[22:23] /*v[278:279]*/
	s_wait_dscnt 0x0
	v_fmac_f64_e32 v[8:9] /*v[264:265]*/, v[20:21] /*v[276:277]*/, v[24:25] /*v[280:281]*/
	s_set_vgpr_msb 0x44                     ;  msbs: dst=1 src0=0 src1=1 src2=0
	ds_bpermute_b32 v20 /*v276*/, v5, v12 /*v268*/ offset:32
	ds_bpermute_b32 v21 /*v277*/, v5, v13 /*v269*/ offset:32
	;; [unrolled: 1-line block ×4, first 2 shown]
	s_set_vgpr_msb 0x45                     ;  msbs: dst=1 src0=1 src1=1 src2=0
	v_add_f64_e32 v[16:17] /*v[272:273]*/, v[16:17] /*v[272:273]*/, v[26:27] /*v[282:283]*/
	s_set_vgpr_msb 0x44                     ;  msbs: dst=1 src0=0 src1=1 src2=0
	ds_bpermute_b32 v26 /*v282*/, v5, v14 /*v270*/ offset:28
	ds_bpermute_b32 v27 /*v283*/, v5, v15 /*v271*/ offset:28
	s_wait_dscnt 0x4
	s_set_vgpr_msb 0x45                     ;  msbs: dst=1 src0=1 src1=1 src2=0
	v_add_f64_e64 v[20:21] /*v[276:277]*/, v[68:69] /*v[324:325]*/, -v[20:21] /*v[276:277]*/
	s_wait_dscnt 0x2
	v_fmac_f64_e32 v[8:9] /*v[264:265]*/, v[28:29] /*v[284:285]*/, v[24:25] /*v[280:281]*/
	s_set_vgpr_msb 0x44                     ;  msbs: dst=1 src0=0 src1=1 src2=0
	ds_bpermute_b32 v24 /*v280*/, v5, v12 /*v268*/ offset:36
	ds_bpermute_b32 v25 /*v281*/, v5, v13 /*v269*/ offset:36
	s_set_vgpr_msb 0x45                     ;  msbs: dst=1 src0=1 src1=1 src2=0
	v_add_f64_e32 v[16:17] /*v[272:273]*/, v[16:17] /*v[272:273]*/, v[38:39] /*v[294:295]*/
	s_wait_dscnt 0x0
	v_add_f64_e64 v[24:25] /*v[280:281]*/, v[74:75] /*v[330:331]*/, -v[24:25] /*v[280:281]*/
	v_mul_f64_e32 v[20:21] /*v[276:277]*/, v[32:33] /*v[288:289]*/, v[20:21] /*v[276:277]*/
	v_fmac_f64_e32 v[8:9] /*v[264:265]*/, v[22:23] /*v[278:279]*/, v[26:27] /*v[282:283]*/
	s_set_vgpr_msb 0x44                     ;  msbs: dst=1 src0=0 src1=1 src2=0
	ds_bpermute_b32 v22 /*v278*/, v5, v12 /*v268*/ offset:40
	ds_bpermute_b32 v23 /*v279*/, v5, v13 /*v269*/ offset:40
	ds_bpermute_b32 v26 /*v282*/, v5, v14 /*v270*/ offset:32
	ds_bpermute_b32 v27 /*v283*/, v5, v15 /*v271*/ offset:32
	s_set_vgpr_msb 0x45                     ;  msbs: dst=1 src0=1 src1=1 src2=0
	v_add_f64_e32 v[16:17] /*v[272:273]*/, v[16:17] /*v[272:273]*/, v[32:33] /*v[288:289]*/
	s_wait_dscnt 0x2
	v_add_f64_e64 v[22:23] /*v[278:279]*/, v[76:77] /*v[332:333]*/, -v[22:23] /*v[278:279]*/
	v_mul_f64_e32 v[24:25] /*v[280:281]*/, v[46:47] /*v[302:303]*/, v[24:25] /*v[280:281]*/
	s_wait_dscnt 0x0
	v_fmac_f64_e32 v[8:9] /*v[264:265]*/, v[20:21] /*v[276:277]*/, v[26:27] /*v[282:283]*/
	s_set_vgpr_msb 0x44                     ;  msbs: dst=1 src0=0 src1=1 src2=0
	ds_bpermute_b32 v20 /*v276*/, v5, v12 /*v268*/ offset:44
	ds_bpermute_b32 v21 /*v277*/, v5, v13 /*v269*/ offset:44
	ds_bpermute_b32 v26 /*v282*/, v5, v14 /*v270*/ offset:36
	ds_bpermute_b32 v27 /*v283*/, v5, v15 /*v271*/ offset:36
	s_set_vgpr_msb 0x45                     ;  msbs: dst=1 src0=1 src1=1 src2=0
	v_add_f64_e32 v[16:17] /*v[272:273]*/, v[16:17] /*v[272:273]*/, v[46:47] /*v[302:303]*/
	s_wait_dscnt 0x2
	v_add_f64_e64 v[20:21] /*v[276:277]*/, v[82:83] /*v[338:339]*/, -v[20:21] /*v[276:277]*/
	v_mul_f64_e32 v[22:23] /*v[278:279]*/, v[36:37] /*v[292:293]*/, v[22:23] /*v[278:279]*/
	s_wait_dscnt 0x0
	;; [unrolled: 12-line block ×20, first 2 shown]
	v_fmac_f64_e32 v[8:9] /*v[264:265]*/, v[24:25] /*v[280:281]*/, v[26:27] /*v[282:283]*/
	s_set_vgpr_msb 0x44                     ;  msbs: dst=1 src0=0 src1=1 src2=0
	ds_bpermute_b32 v24 /*v280*/, v5, v12 /*v268*/ offset:120
	ds_bpermute_b32 v25 /*v281*/, v5, v13 /*v269*/ offset:120
	;; [unrolled: 1-line block ×4, first 2 shown]
	s_set_vgpr_msb 0x45                     ;  msbs: dst=1 src0=1 src1=1 src2=0
	v_add_f64_e32 v[16:17] /*v[272:273]*/, v[16:17] /*v[272:273]*/, v[104:105] /*v[360:361]*/
	s_set_vgpr_msb 0x44                     ;  msbs: dst=1 src0=0 src1=1 src2=0
	ds_bpermute_b32 v12 /*v268*/, v5, v12 /*v268*/ offset:124
	ds_bpermute_b32 v13 /*v269*/, v5, v13 /*v269*/ offset:124
	s_wait_dscnt 0x4
	s_set_vgpr_msb 0x45                     ;  msbs: dst=1 src0=1 src1=1 src2=0
	v_add_f64_e64 v[24:25] /*v[280:281]*/, v[140:141] /*v[396:397]*/, -v[24:25] /*v[280:281]*/
	v_mul_f64_e32 v[20:21] /*v[276:277]*/, v[128:129] /*v[384:385]*/, v[20:21] /*v[276:277]*/
	s_wait_dscnt 0x2
	v_fmac_f64_e32 v[8:9] /*v[264:265]*/, v[22:23] /*v[278:279]*/, v[26:27] /*v[282:283]*/
	s_set_vgpr_msb 0x44                     ;  msbs: dst=1 src0=0 src1=1 src2=0
	ds_bpermute_b32 v22 /*v278*/, v5, v14 /*v270*/ offset:116
	ds_bpermute_b32 v23 /*v279*/, v5, v15 /*v271*/ offset:116
	s_set_vgpr_msb 0x45                     ;  msbs: dst=1 src0=1 src1=1 src2=0
	v_add_f64_e32 v[16:17] /*v[272:273]*/, v[16:17] /*v[272:273]*/, v[128:129] /*v[384:385]*/
	v_mul_f64_e32 v[24:25] /*v[280:281]*/, v[124:125] /*v[380:381]*/, v[24:25] /*v[280:281]*/
	s_wait_dscnt 0x0
	v_fmac_f64_e32 v[8:9] /*v[264:265]*/, v[20:21] /*v[276:277]*/, v[22:23] /*v[278:279]*/
	s_set_vgpr_msb 0x44                     ;  msbs: dst=1 src0=0 src1=1 src2=0
	ds_bpermute_b32 v20 /*v276*/, v5, v14 /*v270*/ offset:120
	ds_bpermute_b32 v21 /*v277*/, v5, v15 /*v271*/ offset:120
	;; [unrolled: 1-line block ×4, first 2 shown]
	s_set_vgpr_msb 0x45                     ;  msbs: dst=1 src0=1 src1=1 src2=0
	v_add_f64_e32 v[16:17] /*v[272:273]*/, v[16:17] /*v[272:273]*/, v[124:125] /*v[380:381]*/
	s_wait_dscnt 0x2
	v_fmac_f64_e32 v[8:9] /*v[264:265]*/, v[24:25] /*v[280:281]*/, v[20:21] /*v[276:277]*/
.LBB38_213:                             ;   in Loop: Header=BB38_145 Depth=1
	s_and_b32 vcc_lo, exec_lo, s2
	s_set_vgpr_msb 0                        ;  msbs: dst=0 src0=0 src1=0 src2=0
	s_cbranch_vccz .LBB38_217
; %bb.214:                              ;   in Loop: Header=BB38_145 Depth=1
	s_load_b32 s2, s[8:9], 0x0
	s_set_vgpr_msb 64                       ;  msbs: dst=1 src0=0 src1=0 src2=0
	v_mov_b64_e32 v[8:9] /*v[264:265]*/, 0
	s_wait_kmcnt 0x0
	s_cmp_lt_u32 s16, s2
	s_cselect_b32 s2, 12, 18
	s_delay_alu instid0(SALU_CYCLE_1)
	s_add_nc_u64 s[26:27], s[8:9], s[2:3]
	s_load_u16 s2, s[26:27], 0x0
	s_wait_kmcnt 0x0
	s_set_vgpr_msb 1                        ;  msbs: dst=0 src0=1 src1=0 src2=0
	v_mad_u32_u24 v4, v142 /*v398*/, s2, v1
	s_mov_b32 s2, exec_lo
	s_delay_alu instid0(VALU_DEP_1) | instskip(SKIP_1) | instid1(VALU_DEP_1)
	v_and_b32_e32 v4, 31, v4
	s_set_vgpr_msb 0x41                     ;  msbs: dst=1 src0=1 src1=0 src2=0
	v_add_nc_u64_e32 v[12:13] /*v[268:269]*/, v[10:11] /*v[266:267]*/, v[4:5]
	v_mov_b64_e32 v[10:11] /*v[266:267]*/, 0
	s_set_vgpr_msb 4                        ;  msbs: dst=0 src0=0 src1=1 src2=0
	s_delay_alu instid0(VALU_DEP_2)
	v_cmpx_gt_i64_e64 s[4:5], v[12:13] /*v[268:269]*/
	s_set_vgpr_msb 0                        ;  msbs: dst=0 src0=0 src1=0 src2=0
	s_cbranch_execz .LBB38_216
; %bb.215:                              ;   in Loop: Header=BB38_145 Depth=1
	s_set_vgpr_msb 0x44                     ;  msbs: dst=1 src0=0 src1=1 src2=0
	v_lshlrev_b64_e32 v[8:9] /*v[264:265]*/, 3, v[12:13] /*v[268:269]*/
	s_delay_alu instid0(VALU_DEP_1)
	v_add_nc_u64_e32 v[12:13] /*v[268:269]*/, s[12:13], v[8:9] /*v[264:265]*/
	s_wait_dscnt 0x0
	v_add_nc_u64_e32 v[14:15] /*v[270:271]*/, s[14:15], v[8:9] /*v[264:265]*/
	s_set_vgpr_msb 0x41                     ;  msbs: dst=1 src0=1 src1=0 src2=0
	global_load_b64 v[8:9] /*v[264:265]*/, v[12:13] /*v[268:269]*/, off
	global_load_b64 v[10:11] /*v[266:267]*/, v[14:15] /*v[270:271]*/, off
.LBB38_216:                             ;   in Loop: Header=BB38_145 Depth=1
	s_wait_xcnt 0x0
	s_or_b32 exec_lo, exec_lo, s2
	s_set_vgpr_msb 64                       ;  msbs: dst=1 src0=0 src1=0 src2=0
	v_add_nc_u64_e32 v[12:13] /*v[268:269]*/, v[136:137], v[6:7]
	s_wait_dscnt 0x0
	v_add_nc_u64_e32 v[14:15] /*v[270:271]*/, v[24:25], v[6:7]
	v_add_nc_u64_e32 v[16:17] /*v[272:273]*/, v[134:135], v[6:7]
	v_add_nc_u64_e32 v[54:55] /*v[310:311]*/, v[32:33], v[6:7]
	v_add_nc_u64_e32 v[64:65] /*v[320:321]*/, v[54:55], v[6:7]
	s_set_vgpr_msb 0x41                     ;  msbs: dst=1 src0=1 src1=0 src2=0
	global_load_b64 v[12:13] /*v[268:269]*/, v[12:13] /*v[268:269]*/, off
	global_load_b64 v[18:19] /*v[274:275]*/, v[14:15] /*v[270:271]*/, off
	;; [unrolled: 1-line block ×3, first 2 shown]
	s_wait_xcnt 0x1
	s_set_vgpr_msb 64                       ;  msbs: dst=1 src0=0 src1=0 src2=0
	v_add_nc_u64_e32 v[14:15] /*v[270:271]*/, v[26:27], v[6:7]
	s_wait_xcnt 0x0
	v_add_nc_u64_e32 v[16:17] /*v[272:273]*/, v[8:9], v[6:7]
	s_set_vgpr_msb 0x41                     ;  msbs: dst=1 src0=1 src1=0 src2=0
	global_load_b64 v[22:23] /*v[278:279]*/, v[14:15] /*v[270:271]*/, off
	global_load_b64 v[24:25] /*v[280:281]*/, v[16:17] /*v[272:273]*/, off
	s_wait_xcnt 0x1
	s_set_vgpr_msb 64                       ;  msbs: dst=1 src0=0 src1=0 src2=0
	v_add_nc_u64_e32 v[14:15] /*v[270:271]*/, v[28:29], v[6:7]
	s_wait_xcnt 0x0
	v_add_nc_u64_e32 v[16:17] /*v[272:273]*/, v[10:11], v[6:7]
	s_set_vgpr_msb 0x41                     ;  msbs: dst=1 src0=1 src1=0 src2=0
	global_load_b64 v[26:27] /*v[282:283]*/, v[14:15] /*v[270:271]*/, off
	global_load_b64 v[28:29] /*v[284:285]*/, v[16:17] /*v[272:273]*/, off
	;; [unrolled: 8-line block ×8, first 2 shown]
	s_wait_loadcnt 0x14
	s_wait_xcnt 0x1
	s_set_vgpr_msb 0x44                     ;  msbs: dst=1 src0=0 src1=1 src2=0
	ds_bpermute_b32 v14 /*v270*/, v5, v8 /*v264*/
	ds_bpermute_b32 v15 /*v271*/, v5, v9 /*v265*/
	s_wait_xcnt 0x0
	s_set_vgpr_msb 64                       ;  msbs: dst=1 src0=0 src1=0 src2=0
	v_add_nc_u64_e32 v[16:17] /*v[272:273]*/, v[48:49], v[6:7]
	s_set_vgpr_msb 0x41                     ;  msbs: dst=1 src0=1 src1=0 src2=0
	global_load_b64 v[56:57] /*v[312:313]*/, v[16:17] /*v[272:273]*/, off
	global_load_b64 v[58:59] /*v[314:315]*/, v[54:55] /*v[310:311]*/, off
	s_wait_xcnt 0x1
	s_set_vgpr_msb 64                       ;  msbs: dst=1 src0=0 src1=0 src2=0
	v_add_nc_u64_e32 v[16:17] /*v[272:273]*/, v[42:43], v[6:7]
	s_wait_xcnt 0x0
	v_add_nc_u64_e32 v[54:55] /*v[310:311]*/, v[50:51], v[6:7]
	s_set_vgpr_msb 0x41                     ;  msbs: dst=1 src0=1 src1=0 src2=0
	global_load_b64 v[60:61] /*v[316:317]*/, v[16:17] /*v[272:273]*/, off
	global_load_b64 v[62:63] /*v[318:319]*/, v[54:55] /*v[310:311]*/, off
	s_wait_xcnt 0x1
	s_set_vgpr_msb 0x44                     ;  msbs: dst=1 src0=0 src1=1 src2=0
	ds_bpermute_b32 v16 /*v272*/, v5, v8 /*v264*/ offset:8
	ds_bpermute_b32 v17 /*v273*/, v5, v9 /*v265*/ offset:8
	s_wait_xcnt 0x0
	s_set_vgpr_msb 64                       ;  msbs: dst=1 src0=0 src1=0 src2=0
	v_add_nc_u64_e32 v[54:55] /*v[310:311]*/, v[46:47], v[6:7]
	s_set_vgpr_msb 0x45                     ;  msbs: dst=1 src0=1 src1=1 src2=0
	global_load_b64 v[66:67] /*v[322:323]*/, v[54:55] /*v[310:311]*/, off
	global_load_b64 v[68:69] /*v[324:325]*/, v[64:65] /*v[320:321]*/, off
	s_wait_loadcnt_dscnt 0x1802
	v_add_f64_e64 v[12:13] /*v[268:269]*/, v[12:13] /*v[268:269]*/, -v[14:15] /*v[270:271]*/
	s_set_vgpr_msb 0x44                     ;  msbs: dst=1 src0=0 src1=1 src2=0
	ds_bpermute_b32 v14 /*v270*/, v5, v8 /*v264*/ offset:4
	ds_bpermute_b32 v15 /*v271*/, v5, v9 /*v265*/ offset:4
	s_wait_loadcnt 0x16
	s_set_vgpr_msb 4                        ;  msbs: dst=0 src0=0 src1=1 src2=0
	v_add_f64_e32 v[2:3], v[2:3], v[20:21] /*v[276:277]*/
	s_wait_loadcnt_dscnt 0x1502
	s_set_vgpr_msb 0x45                     ;  msbs: dst=1 src0=1 src1=1 src2=0
	v_add_f64_e64 v[16:17] /*v[272:273]*/, v[22:23] /*v[278:279]*/, -v[16:17] /*v[272:273]*/
	s_set_vgpr_msb 64                       ;  msbs: dst=1 src0=0 src1=0 src2=0
	v_add_nc_u64_e32 v[22:23] /*v[278:279]*/, v[58:59], v[6:7]
	s_wait_dscnt 0x0
	s_set_vgpr_msb 0x45                     ;  msbs: dst=1 src0=1 src1=1 src2=0
	v_add_f64_e64 v[14:15] /*v[270:271]*/, v[18:19] /*v[274:275]*/, -v[14:15] /*v[270:271]*/
	s_set_vgpr_msb 0x44                     ;  msbs: dst=1 src0=0 src1=1 src2=0
	ds_bpermute_b32 v18 /*v274*/, v5, v10 /*v266*/
	ds_bpermute_b32 v19 /*v275*/, v5, v11 /*v267*/
	s_set_vgpr_msb 0x45                     ;  msbs: dst=1 src0=1 src1=1 src2=0
	v_mul_f64_e32 v[12:13] /*v[268:269]*/, v[20:21] /*v[276:277]*/, v[12:13] /*v[268:269]*/
	s_set_vgpr_msb 64                       ;  msbs: dst=1 src0=0 src1=0 src2=0
	v_add_nc_u64_e32 v[20:21] /*v[276:277]*/, v[52:53], v[6:7]
	s_set_vgpr_msb 0x45                     ;  msbs: dst=1 src0=1 src1=1 src2=0
	global_load_b64 v[54:55] /*v[310:311]*/, v[20:21] /*v[276:277]*/, off
	global_load_b64 v[64:65] /*v[320:321]*/, v[22:23] /*v[278:279]*/, off
	s_wait_loadcnt 0x14
	v_mul_f64_e32 v[16:17] /*v[272:273]*/, v[28:29] /*v[284:285]*/, v[16:17] /*v[272:273]*/
	s_set_vgpr_msb 4                        ;  msbs: dst=0 src0=0 src1=1 src2=0
	v_add_f64_e32 v[2:3], v[2:3], v[24:25] /*v[280:281]*/
	s_wait_xcnt 0x1
	s_set_vgpr_msb 64                       ;  msbs: dst=1 src0=0 src1=0 src2=0
	v_add_nc_u64_e32 v[20:21] /*v[276:277]*/, v[56:57], v[6:7]
	s_wait_xcnt 0x0
	v_add_nc_u64_e32 v[22:23] /*v[278:279]*/, v[62:63], v[6:7]
	s_set_vgpr_msb 0x45                     ;  msbs: dst=1 src0=1 src1=1 src2=0
	v_mul_f64_e32 v[14:15] /*v[270:271]*/, v[24:25] /*v[280:281]*/, v[14:15] /*v[270:271]*/
	s_wait_dscnt 0x0
	v_fmac_f64_e32 v[6:7] /*v[262:263]*/, v[12:13] /*v[268:269]*/, v[18:19] /*v[274:275]*/
	s_set_vgpr_msb 0x44                     ;  msbs: dst=1 src0=0 src1=1 src2=0
	ds_bpermute_b32 v12 /*v268*/, v5, v8 /*v264*/ offset:12
	ds_bpermute_b32 v13 /*v269*/, v5, v9 /*v265*/ offset:12
	;; [unrolled: 1-line block ×4, first 2 shown]
	s_set_vgpr_msb 4                        ;  msbs: dst=0 src0=0 src1=1 src2=0
	v_add_f64_e32 v[2:3], v[2:3], v[28:29] /*v[284:285]*/
	s_wait_dscnt 0x2
	s_set_vgpr_msb 0x45                     ;  msbs: dst=1 src0=1 src1=1 src2=0
	v_add_f64_e64 v[12:13] /*v[268:269]*/, v[26:27] /*v[282:283]*/, -v[12:13] /*v[268:269]*/
	global_load_b64 v[24:25] /*v[280:281]*/, v[20:21] /*v[276:277]*/, off
	global_load_b64 v[26:27] /*v[282:283]*/, v[22:23] /*v[278:279]*/, off
	s_wait_xcnt 0x1
	s_set_vgpr_msb 64                       ;  msbs: dst=1 src0=0 src1=0 src2=0
	v_add_nc_u64_e32 v[20:21] /*v[276:277]*/, v[60:61], v[6:7]
	s_wait_xcnt 0x0
	v_add_nc_u64_e32 v[22:23] /*v[278:279]*/, v[66:67], v[6:7]
	s_wait_dscnt 0x0
	s_set_vgpr_msb 0x45                     ;  msbs: dst=1 src0=1 src1=1 src2=0
	v_fmac_f64_e32 v[6:7] /*v[262:263]*/, v[14:15] /*v[270:271]*/, v[18:19] /*v[274:275]*/
	s_set_vgpr_msb 0x44                     ;  msbs: dst=1 src0=0 src1=1 src2=0
	ds_bpermute_b32 v14 /*v270*/, v5, v8 /*v264*/ offset:16
	ds_bpermute_b32 v15 /*v271*/, v5, v9 /*v265*/ offset:16
	ds_bpermute_b32 v18 /*v274*/, v5, v10 /*v266*/ offset:8
	ds_bpermute_b32 v19 /*v275*/, v5, v11 /*v267*/ offset:8
	s_wait_loadcnt 0x14
	s_set_vgpr_msb 4                        ;  msbs: dst=0 src0=0 src1=1 src2=0
	v_add_f64_e32 v[2:3], v[2:3], v[32:33] /*v[288:289]*/
	s_wait_dscnt 0x2
	s_set_vgpr_msb 0x45                     ;  msbs: dst=1 src0=1 src1=1 src2=0
	v_add_f64_e64 v[14:15] /*v[270:271]*/, v[30:31] /*v[286:287]*/, -v[14:15] /*v[270:271]*/
	v_mul_f64_e32 v[12:13] /*v[268:269]*/, v[32:33] /*v[288:289]*/, v[12:13] /*v[268:269]*/
	global_load_b64 v[28:29] /*v[284:285]*/, v[20:21] /*v[276:277]*/, off
	global_load_b64 v[30:31] /*v[286:287]*/, v[22:23] /*v[278:279]*/, off
	s_wait_xcnt 0x1
	s_set_vgpr_msb 64                       ;  msbs: dst=1 src0=0 src1=0 src2=0
	v_add_nc_u64_e32 v[20:21] /*v[276:277]*/, v[64:65], v[6:7]
	s_wait_xcnt 0x0
	v_add_nc_u64_e32 v[22:23] /*v[278:279]*/, v[70:71], v[6:7]
	s_wait_dscnt 0x0
	s_set_vgpr_msb 0x45                     ;  msbs: dst=1 src0=1 src1=1 src2=0
	v_fmac_f64_e32 v[6:7] /*v[262:263]*/, v[16:17] /*v[272:273]*/, v[18:19] /*v[274:275]*/
	s_set_vgpr_msb 0x44                     ;  msbs: dst=1 src0=0 src1=1 src2=0
	ds_bpermute_b32 v16 /*v272*/, v5, v8 /*v264*/ offset:20
	ds_bpermute_b32 v17 /*v273*/, v5, v9 /*v265*/ offset:20
	ds_bpermute_b32 v18 /*v274*/, v5, v10 /*v266*/ offset:12
	ds_bpermute_b32 v19 /*v275*/, v5, v11 /*v267*/ offset:12
	s_wait_loadcnt 0x14
	s_set_vgpr_msb 4                        ;  msbs: dst=0 src0=0 src1=1 src2=0
	v_add_f64_e32 v[2:3], v[2:3], v[36:37] /*v[292:293]*/
	s_wait_dscnt 0x2
	s_set_vgpr_msb 0x45                     ;  msbs: dst=1 src0=1 src1=1 src2=0
	v_add_f64_e64 v[16:17] /*v[272:273]*/, v[34:35] /*v[290:291]*/, -v[16:17] /*v[272:273]*/
	v_mul_f64_e32 v[14:15] /*v[270:271]*/, v[36:37] /*v[292:293]*/, v[14:15] /*v[270:271]*/
	;; [unrolled: 22-line block ×7, first 2 shown]
	global_load_b64 v[52:53] /*v[308:309]*/, v[20:21] /*v[276:277]*/, off
	global_load_b64 v[56:57] /*v[312:313]*/, v[22:23] /*v[278:279]*/, off
	s_wait_xcnt 0x1
	s_set_vgpr_msb 64                       ;  msbs: dst=1 src0=0 src1=0 src2=0
	v_add_nc_u64_e32 v[20:21] /*v[276:277]*/, v[88:89], v[6:7]
	s_wait_xcnt 0x0
	v_add_nc_u64_e32 v[22:23] /*v[278:279]*/, v[94:95], v[6:7]
	s_wait_dscnt 0x0
	s_set_vgpr_msb 0x45                     ;  msbs: dst=1 src0=1 src1=1 src2=0
	v_fmac_f64_e32 v[6:7] /*v[262:263]*/, v[16:17] /*v[272:273]*/, v[18:19] /*v[274:275]*/
	s_set_vgpr_msb 0x44                     ;  msbs: dst=1 src0=0 src1=1 src2=0
	ds_bpermute_b32 v16 /*v272*/, v5, v8 /*v264*/ offset:44
	ds_bpermute_b32 v17 /*v273*/, v5, v9 /*v265*/ offset:44
	ds_bpermute_b32 v18 /*v274*/, v5, v10 /*v266*/ offset:36
	ds_bpermute_b32 v19 /*v275*/, v5, v11 /*v267*/ offset:36
	s_wait_loadcnt 0x15
	s_set_vgpr_msb 4                        ;  msbs: dst=0 src0=0 src1=1 src2=0
	v_add_f64_e32 v[2:3], v[2:3], v[60:61] /*v[316:317]*/
	s_wait_loadcnt_dscnt 0x1402
	s_set_vgpr_msb 0x45                     ;  msbs: dst=1 src0=1 src1=1 src2=0
	v_add_f64_e64 v[16:17] /*v[272:273]*/, v[62:63] /*v[318:319]*/, -v[16:17] /*v[272:273]*/
	v_mul_f64_e32 v[14:15] /*v[270:271]*/, v[60:61] /*v[316:317]*/, v[14:15] /*v[270:271]*/
	global_load_b64 v[58:59] /*v[314:315]*/, v[20:21] /*v[276:277]*/, off
	global_load_b64 v[62:63] /*v[318:319]*/, v[22:23] /*v[278:279]*/, off
	s_wait_xcnt 0x1
	s_set_vgpr_msb 64                       ;  msbs: dst=1 src0=0 src1=0 src2=0
	v_add_nc_u64_e32 v[20:21] /*v[276:277]*/, v[92:93], v[6:7]
	s_wait_xcnt 0x0
	v_add_nc_u64_e32 v[22:23] /*v[278:279]*/, v[98:99], v[6:7]
	s_wait_dscnt 0x0
	s_set_vgpr_msb 0x45                     ;  msbs: dst=1 src0=1 src1=1 src2=0
	v_fmac_f64_e32 v[6:7] /*v[262:263]*/, v[12:13] /*v[268:269]*/, v[18:19] /*v[274:275]*/
	s_set_vgpr_msb 0x44                     ;  msbs: dst=1 src0=0 src1=1 src2=0
	ds_bpermute_b32 v12 /*v268*/, v5, v8 /*v264*/ offset:48
	ds_bpermute_b32 v13 /*v269*/, v5, v9 /*v265*/ offset:48
	ds_bpermute_b32 v18 /*v274*/, v5, v10 /*v266*/ offset:40
	ds_bpermute_b32 v19 /*v275*/, v5, v11 /*v267*/ offset:40
	s_wait_loadcnt 0x15
	s_set_vgpr_msb 4                        ;  msbs: dst=0 src0=0 src1=1 src2=0
	v_add_f64_e32 v[2:3], v[2:3], v[66:67] /*v[322:323]*/
	s_wait_loadcnt_dscnt 0x1402
	s_set_vgpr_msb 0x45                     ;  msbs: dst=1 src0=1 src1=1 src2=0
	v_add_f64_e64 v[12:13] /*v[268:269]*/, v[68:69] /*v[324:325]*/, -v[12:13] /*v[268:269]*/
	v_mul_f64_e32 v[16:17] /*v[272:273]*/, v[66:67] /*v[322:323]*/, v[16:17] /*v[272:273]*/
	;; [unrolled: 22-line block ×4, first 2 shown]
	global_load_b64 v[26:27] /*v[282:283]*/, v[20:21] /*v[276:277]*/, off
	global_load_b64 v[54:55] /*v[310:311]*/, v[22:23] /*v[278:279]*/, off
	s_wait_xcnt 0x1
	s_set_vgpr_msb 64                       ;  msbs: dst=1 src0=0 src1=0 src2=0
	v_add_nc_u64_e32 v[20:21] /*v[276:277]*/, v[104:105], v[6:7]
	s_wait_xcnt 0x0
	v_add_nc_u64_e32 v[22:23] /*v[278:279]*/, v[110:111], v[6:7]
	s_set_vgpr_msb 0x45                     ;  msbs: dst=1 src0=1 src1=1 src2=0
	global_load_b64 v[24:25] /*v[280:281]*/, v[20:21] /*v[276:277]*/, off
	global_load_b64 v[70:71] /*v[326:327]*/, v[22:23] /*v[278:279]*/, off
	s_wait_dscnt 0x0
	v_fmac_f64_e32 v[6:7] /*v[262:263]*/, v[12:13] /*v[268:269]*/, v[18:19] /*v[274:275]*/
	s_set_vgpr_msb 0x44                     ;  msbs: dst=1 src0=0 src1=1 src2=0
	ds_bpermute_b32 v12 /*v268*/, v5, v8 /*v264*/ offset:60
	ds_bpermute_b32 v13 /*v269*/, v5, v9 /*v265*/ offset:60
	;; [unrolled: 1-line block ×4, first 2 shown]
	s_wait_xcnt 0x1
	s_set_vgpr_msb 64                       ;  msbs: dst=1 src0=0 src1=0 src2=0
	v_add_nc_u64_e32 v[20:21] /*v[276:277]*/, v[108:109], v[6:7]
	s_wait_xcnt 0x0
	v_add_nc_u64_e32 v[22:23] /*v[278:279]*/, v[116:117], v[6:7]
	s_wait_loadcnt 0x17
	s_set_vgpr_msb 4                        ;  msbs: dst=0 src0=0 src1=1 src2=0
	v_add_f64_e32 v[2:3], v[2:3], v[28:29] /*v[284:285]*/
	s_set_vgpr_msb 0x45                     ;  msbs: dst=1 src0=1 src1=1 src2=0
	v_mul_f64_e32 v[16:17] /*v[272:273]*/, v[28:29] /*v[284:285]*/, v[16:17] /*v[272:273]*/
	s_wait_loadcnt_dscnt 0x1602
	v_add_f64_e64 v[12:13] /*v[268:269]*/, v[30:31] /*v[286:287]*/, -v[12:13] /*v[268:269]*/
	s_set_vgpr_msb 64                       ;  msbs: dst=1 src0=0 src1=0 src2=0
	v_add_nc_u64_e32 v[30:31] /*v[286:287]*/, v[126:127], v[6:7]
	s_wait_dscnt 0x0
	s_set_vgpr_msb 0x45                     ;  msbs: dst=1 src0=1 src1=1 src2=0
	v_fmac_f64_e32 v[6:7] /*v[262:263]*/, v[14:15] /*v[270:271]*/, v[18:19] /*v[274:275]*/
	s_set_vgpr_msb 0x44                     ;  msbs: dst=1 src0=0 src1=1 src2=0
	ds_bpermute_b32 v14 /*v270*/, v5, v8 /*v264*/ offset:64
	ds_bpermute_b32 v15 /*v271*/, v5, v9 /*v265*/ offset:64
	ds_bpermute_b32 v18 /*v274*/, v5, v10 /*v266*/ offset:56
	ds_bpermute_b32 v19 /*v275*/, v5, v11 /*v267*/ offset:56
	s_wait_loadcnt 0x15
	s_set_vgpr_msb 4                        ;  msbs: dst=0 src0=0 src1=1 src2=0
	v_add_f64_e32 v[2:3], v[2:3], v[32:33] /*v[288:289]*/
	s_wait_loadcnt_dscnt 0x1402
	s_set_vgpr_msb 0x45                     ;  msbs: dst=1 src0=1 src1=1 src2=0
	v_add_f64_e64 v[14:15] /*v[270:271]*/, v[34:35] /*v[290:291]*/, -v[14:15] /*v[270:271]*/
	v_mul_f64_e32 v[12:13] /*v[268:269]*/, v[32:33] /*v[288:289]*/, v[12:13] /*v[268:269]*/
	global_load_b64 v[28:29] /*v[284:285]*/, v[20:21] /*v[276:277]*/, off
	global_load_b64 v[34:35] /*v[290:291]*/, v[22:23] /*v[278:279]*/, off
	s_wait_xcnt 0x1
	s_set_vgpr_msb 64                       ;  msbs: dst=1 src0=0 src1=0 src2=0
	v_add_nc_u64_e32 v[20:21] /*v[276:277]*/, v[114:115], v[6:7]
	s_wait_xcnt 0x0
	v_add_nc_u64_e32 v[22:23] /*v[278:279]*/, v[120:121], v[6:7]
	s_wait_dscnt 0x0
	s_set_vgpr_msb 0x45                     ;  msbs: dst=1 src0=1 src1=1 src2=0
	v_fmac_f64_e32 v[6:7] /*v[262:263]*/, v[16:17] /*v[272:273]*/, v[18:19] /*v[274:275]*/
	s_set_vgpr_msb 0x44                     ;  msbs: dst=1 src0=0 src1=1 src2=0
	ds_bpermute_b32 v16 /*v272*/, v5, v8 /*v264*/ offset:68
	ds_bpermute_b32 v17 /*v273*/, v5, v9 /*v265*/ offset:68
	ds_bpermute_b32 v18 /*v274*/, v5, v10 /*v266*/ offset:60
	ds_bpermute_b32 v19 /*v275*/, v5, v11 /*v267*/ offset:60
	s_wait_loadcnt 0x15
	s_set_vgpr_msb 4                        ;  msbs: dst=0 src0=0 src1=1 src2=0
	v_add_f64_e32 v[2:3], v[2:3], v[36:37] /*v[292:293]*/
	s_wait_loadcnt_dscnt 0x1402
	s_set_vgpr_msb 0x45                     ;  msbs: dst=1 src0=1 src1=1 src2=0
	v_add_f64_e64 v[16:17] /*v[272:273]*/, v[38:39] /*v[294:295]*/, -v[16:17] /*v[272:273]*/
	v_mul_f64_e32 v[14:15] /*v[270:271]*/, v[36:37] /*v[292:293]*/, v[14:15] /*v[270:271]*/
	global_load_b64 v[32:33] /*v[288:289]*/, v[20:21] /*v[276:277]*/, off
	global_load_b64 v[38:39] /*v[294:295]*/, v[22:23] /*v[278:279]*/, off
	s_wait_xcnt 0x1
	s_set_vgpr_msb 64                       ;  msbs: dst=1 src0=0 src1=0 src2=0
	v_add_nc_u64_e32 v[20:21] /*v[276:277]*/, v[118:119], v[6:7]
	s_wait_xcnt 0x0
	;; [unrolled: 22-line block ×3, first 2 shown]
	v_add_nc_u64_e32 v[22:23] /*v[278:279]*/, v[128:129], v[6:7]
	v_add_nc_u64_e32 v[40:41] /*v[296:297]*/, v[130:131], v[6:7]
	s_set_vgpr_msb 0x45                     ;  msbs: dst=1 src0=1 src1=1 src2=0
	global_load_b64 v[20:21] /*v[276:277]*/, v[20:21] /*v[276:277]*/, off
	s_wait_dscnt 0x0
	v_fmac_f64_e32 v[6:7] /*v[262:263]*/, v[14:15] /*v[270:271]*/, v[18:19] /*v[274:275]*/
	s_set_vgpr_msb 0x44                     ;  msbs: dst=1 src0=0 src1=1 src2=0
	ds_bpermute_b32 v14 /*v270*/, v5, v8 /*v264*/ offset:76
	ds_bpermute_b32 v15 /*v271*/, v5, v9 /*v265*/ offset:76
	;; [unrolled: 1-line block ×4, first 2 shown]
	s_wait_loadcnt 0x16
	s_set_vgpr_msb 4                        ;  msbs: dst=0 src0=0 src1=1 src2=0
	v_add_f64_e32 v[2:3], v[2:3], v[44:45] /*v[300:301]*/
	s_set_vgpr_msb 0x45                     ;  msbs: dst=1 src0=1 src1=1 src2=0
	v_mul_f64_e32 v[12:13] /*v[268:269]*/, v[44:45] /*v[300:301]*/, v[12:13] /*v[268:269]*/
	s_wait_loadcnt_dscnt 0x1502
	v_add_f64_e64 v[14:15] /*v[270:271]*/, v[46:47] /*v[302:303]*/, -v[14:15] /*v[270:271]*/
	s_set_vgpr_msb 64                       ;  msbs: dst=1 src0=0 src1=0 src2=0
	v_add_nc_u64_e32 v[44:45] /*v[300:301]*/, v[132:133], v[6:7]
	s_wait_dscnt 0x0
	s_set_vgpr_msb 0x45                     ;  msbs: dst=1 src0=1 src1=1 src2=0
	v_fmac_f64_e32 v[6:7] /*v[262:263]*/, v[16:17] /*v[272:273]*/, v[18:19] /*v[274:275]*/
	s_set_vgpr_msb 0x44                     ;  msbs: dst=1 src0=0 src1=1 src2=0
	ds_bpermute_b32 v16 /*v272*/, v5, v8 /*v264*/ offset:80
	ds_bpermute_b32 v17 /*v273*/, v5, v9 /*v265*/ offset:80
	;; [unrolled: 1-line block ×4, first 2 shown]
	s_wait_loadcnt 0x14
	s_set_vgpr_msb 4                        ;  msbs: dst=0 src0=0 src1=1 src2=0
	v_add_f64_e32 v[2:3], v[2:3], v[48:49] /*v[304:305]*/
	s_wait_loadcnt_dscnt 0x1302
	s_set_vgpr_msb 0x45                     ;  msbs: dst=1 src0=1 src1=1 src2=0
	v_add_f64_e64 v[16:17] /*v[272:273]*/, v[50:51] /*v[306:307]*/, -v[16:17] /*v[272:273]*/
	v_mul_f64_e32 v[14:15] /*v[270:271]*/, v[48:49] /*v[304:305]*/, v[14:15] /*v[270:271]*/
	s_wait_dscnt 0x0
	v_fmac_f64_e32 v[6:7] /*v[262:263]*/, v[12:13] /*v[268:269]*/, v[18:19] /*v[274:275]*/
	global_load_b64 v[12:13] /*v[268:269]*/, v[22:23] /*v[278:279]*/, off
	s_set_vgpr_msb 0x44                     ;  msbs: dst=1 src0=0 src1=1 src2=0
	ds_bpermute_b32 v18 /*v274*/, v5, v8 /*v264*/ offset:84
	ds_bpermute_b32 v19 /*v275*/, v5, v9 /*v265*/ offset:84
	s_wait_xcnt 0x0
	ds_bpermute_b32 v22 /*v278*/, v5, v10 /*v266*/ offset:76
	ds_bpermute_b32 v23 /*v279*/, v5, v11 /*v267*/ offset:76
	s_wait_loadcnt 0x13
	s_set_vgpr_msb 4                        ;  msbs: dst=0 src0=0 src1=1 src2=0
	v_add_f64_e32 v[2:3], v[2:3], v[52:53] /*v[308:309]*/
	s_set_vgpr_msb 0x45                     ;  msbs: dst=1 src0=1 src1=1 src2=0
	v_mul_f64_e32 v[16:17] /*v[272:273]*/, v[52:53] /*v[308:309]*/, v[16:17] /*v[272:273]*/
	s_wait_loadcnt_dscnt 0x1202
	v_add_f64_e64 v[18:19] /*v[274:275]*/, v[56:57] /*v[312:313]*/, -v[18:19] /*v[274:275]*/
	s_wait_dscnt 0x0
	v_fmac_f64_e32 v[6:7] /*v[262:263]*/, v[14:15] /*v[270:271]*/, v[22:23] /*v[278:279]*/
	global_load_b64 v[14:15] /*v[270:271]*/, v[30:31] /*v[286:287]*/, off
	s_set_vgpr_msb 0x44                     ;  msbs: dst=1 src0=0 src1=1 src2=0
	ds_bpermute_b32 v22 /*v278*/, v5, v8 /*v264*/ offset:88
	ds_bpermute_b32 v23 /*v279*/, v5, v9 /*v265*/ offset:88
	s_wait_xcnt 0x0
	ds_bpermute_b32 v30 /*v286*/, v5, v10 /*v266*/ offset:80
	ds_bpermute_b32 v31 /*v287*/, v5, v11 /*v267*/ offset:80
	s_wait_loadcnt 0x12
	s_set_vgpr_msb 4                        ;  msbs: dst=0 src0=0 src1=1 src2=0
	v_add_f64_e32 v[2:3], v[2:3], v[58:59] /*v[314:315]*/
	s_wait_loadcnt_dscnt 0x1102
	s_set_vgpr_msb 0x45                     ;  msbs: dst=1 src0=1 src1=1 src2=0
	v_add_f64_e64 v[22:23] /*v[278:279]*/, v[62:63] /*v[318:319]*/, -v[22:23] /*v[278:279]*/
	v_mul_f64_e32 v[18:19] /*v[274:275]*/, v[58:59] /*v[314:315]*/, v[18:19] /*v[274:275]*/
	s_wait_dscnt 0x0
	v_fmac_f64_e32 v[6:7] /*v[262:263]*/, v[16:17] /*v[272:273]*/, v[30:31] /*v[286:287]*/
	s_set_vgpr_msb 0x44                     ;  msbs: dst=1 src0=0 src1=1 src2=0
	ds_bpermute_b32 v16 /*v272*/, v5, v8 /*v264*/ offset:92
	ds_bpermute_b32 v17 /*v273*/, v5, v9 /*v265*/ offset:92
	;; [unrolled: 1-line block ×4, first 2 shown]
	s_wait_loadcnt 0x10
	s_set_vgpr_msb 4                        ;  msbs: dst=0 src0=0 src1=1 src2=0
	v_add_f64_e32 v[2:3], v[2:3], v[60:61] /*v[316:317]*/
	s_wait_loadcnt_dscnt 0xf02
	s_set_vgpr_msb 0x45                     ;  msbs: dst=1 src0=1 src1=1 src2=0
	v_add_f64_e64 v[16:17] /*v[272:273]*/, v[68:69] /*v[324:325]*/, -v[16:17] /*v[272:273]*/
	v_mul_f64_e32 v[22:23] /*v[278:279]*/, v[60:61] /*v[316:317]*/, v[22:23] /*v[278:279]*/
	s_wait_dscnt 0x0
	v_fmac_f64_e32 v[6:7] /*v[262:263]*/, v[18:19] /*v[274:275]*/, v[30:31] /*v[286:287]*/
	global_load_b64 v[18:19] /*v[274:275]*/, v[40:41] /*v[296:297]*/, off
	global_load_b64 v[30:31] /*v[286:287]*/, v[44:45] /*v[300:301]*/, off
	s_wait_xcnt 0x1
	s_set_vgpr_msb 0x44                     ;  msbs: dst=1 src0=0 src1=1 src2=0
	ds_bpermute_b32 v40 /*v296*/, v5, v8 /*v264*/ offset:96
	ds_bpermute_b32 v41 /*v297*/, v5, v9 /*v265*/ offset:96
	s_wait_xcnt 0x0
	ds_bpermute_b32 v44 /*v300*/, v5, v10 /*v266*/ offset:88
	ds_bpermute_b32 v45 /*v301*/, v5, v11 /*v267*/ offset:88
	s_wait_loadcnt 0x10
	s_set_vgpr_msb 4                        ;  msbs: dst=0 src0=0 src1=1 src2=0
	v_add_f64_e32 v[2:3], v[2:3], v[64:65] /*v[320:321]*/
	s_set_vgpr_msb 0x45                     ;  msbs: dst=1 src0=1 src1=1 src2=0
	v_mul_f64_e32 v[16:17] /*v[272:273]*/, v[64:65] /*v[320:321]*/, v[16:17] /*v[272:273]*/
	s_wait_loadcnt_dscnt 0xf02
	v_add_f64_e64 v[40:41] /*v[296:297]*/, v[66:67] /*v[322:323]*/, -v[40:41] /*v[296:297]*/
	s_wait_dscnt 0x0
	v_fmac_f64_e32 v[6:7] /*v[262:263]*/, v[22:23] /*v[278:279]*/, v[44:45] /*v[300:301]*/
	s_set_vgpr_msb 0x44                     ;  msbs: dst=1 src0=0 src1=1 src2=0
	ds_bpermute_b32 v22 /*v278*/, v5, v8 /*v264*/ offset:100
	ds_bpermute_b32 v23 /*v279*/, v5, v9 /*v265*/ offset:100
	;; [unrolled: 1-line block ×4, first 2 shown]
	s_wait_loadcnt 0xe
	s_set_vgpr_msb 4                        ;  msbs: dst=0 src0=0 src1=1 src2=0
	v_add_f64_e32 v[2:3], v[2:3], v[26:27] /*v[282:283]*/
	s_wait_loadcnt_dscnt 0xd02
	s_set_vgpr_msb 0x45                     ;  msbs: dst=1 src0=1 src1=1 src2=0
	v_add_f64_e64 v[22:23] /*v[278:279]*/, v[54:55] /*v[310:311]*/, -v[22:23] /*v[278:279]*/
	v_mul_f64_e32 v[40:41] /*v[296:297]*/, v[26:27] /*v[282:283]*/, v[40:41] /*v[296:297]*/
	s_set_vgpr_msb 0x44                     ;  msbs: dst=1 src0=0 src1=1 src2=0
	ds_bpermute_b32 v26 /*v282*/, v5, v8 /*v264*/ offset:108
	ds_bpermute_b32 v27 /*v283*/, v5, v9 /*v265*/ offset:108
	s_wait_dscnt 0x2
	s_set_vgpr_msb 0x45                     ;  msbs: dst=1 src0=1 src1=1 src2=0
	v_fmac_f64_e32 v[6:7] /*v[262:263]*/, v[16:17] /*v[272:273]*/, v[44:45] /*v[300:301]*/
	s_set_vgpr_msb 0x44                     ;  msbs: dst=1 src0=0 src1=1 src2=0
	ds_bpermute_b32 v16 /*v272*/, v5, v8 /*v264*/ offset:104
	ds_bpermute_b32 v17 /*v273*/, v5, v9 /*v265*/ offset:104
	;; [unrolled: 1-line block ×4, first 2 shown]
	s_wait_loadcnt 0xc
	s_set_vgpr_msb 4                        ;  msbs: dst=0 src0=0 src1=1 src2=0
	v_add_f64_e32 v[2:3], v[2:3], v[24:25] /*v[280:281]*/
	s_wait_loadcnt_dscnt 0xb02
	s_set_vgpr_msb 0x45                     ;  msbs: dst=1 src0=1 src1=1 src2=0
	v_add_f64_e64 v[16:17] /*v[272:273]*/, v[70:71] /*v[326:327]*/, -v[16:17] /*v[272:273]*/
	v_mul_f64_e32 v[22:23] /*v[278:279]*/, v[24:25] /*v[280:281]*/, v[22:23] /*v[278:279]*/
	s_wait_loadcnt 0x9
	v_add_f64_e64 v[26:27] /*v[282:283]*/, v[34:35] /*v[290:291]*/, -v[26:27] /*v[282:283]*/
	s_set_vgpr_msb 0x44                     ;  msbs: dst=1 src0=0 src1=1 src2=0
	ds_bpermute_b32 v24 /*v280*/, v5, v10 /*v266*/ offset:104
	ds_bpermute_b32 v25 /*v281*/, v5, v11 /*v267*/ offset:104
	s_wait_dscnt 0x2
	s_set_vgpr_msb 0x45                     ;  msbs: dst=1 src0=1 src1=1 src2=0
	v_fmac_f64_e32 v[6:7] /*v[262:263]*/, v[40:41] /*v[296:297]*/, v[44:45] /*v[300:301]*/
	s_set_vgpr_msb 0x44                     ;  msbs: dst=1 src0=0 src1=1 src2=0
	ds_bpermute_b32 v40 /*v296*/, v5, v10 /*v266*/ offset:100
	ds_bpermute_b32 v41 /*v297*/, v5, v11 /*v267*/ offset:100
	s_set_vgpr_msb 4                        ;  msbs: dst=0 src0=0 src1=1 src2=0
	v_add_f64_e32 v[2:3], v[2:3], v[28:29] /*v[284:285]*/
	s_set_vgpr_msb 0x45                     ;  msbs: dst=1 src0=1 src1=1 src2=0
	v_mul_f64_e32 v[16:17] /*v[272:273]*/, v[28:29] /*v[284:285]*/, v[16:17] /*v[272:273]*/
	s_wait_loadcnt 0x8
	v_mul_f64_e32 v[26:27] /*v[282:283]*/, v[32:33] /*v[288:289]*/, v[26:27] /*v[282:283]*/
	s_wait_dscnt 0x0
	v_fmac_f64_e32 v[6:7] /*v[262:263]*/, v[22:23] /*v[278:279]*/, v[40:41] /*v[296:297]*/
	s_set_vgpr_msb 0x44                     ;  msbs: dst=1 src0=0 src1=1 src2=0
	ds_bpermute_b32 v22 /*v278*/, v5, v8 /*v264*/ offset:112
	ds_bpermute_b32 v23 /*v279*/, v5, v9 /*v265*/ offset:112
	s_set_vgpr_msb 4                        ;  msbs: dst=0 src0=0 src1=1 src2=0
	v_add_f64_e32 v[2:3], v[2:3], v[32:33] /*v[288:289]*/
	s_wait_loadcnt_dscnt 0x700
	s_set_vgpr_msb 0x45                     ;  msbs: dst=1 src0=1 src1=1 src2=0
	v_add_f64_e64 v[22:23] /*v[278:279]*/, v[38:39] /*v[294:295]*/, -v[22:23] /*v[278:279]*/
	v_fmac_f64_e32 v[6:7] /*v[262:263]*/, v[16:17] /*v[272:273]*/, v[24:25] /*v[280:281]*/
	s_set_vgpr_msb 0x44                     ;  msbs: dst=1 src0=0 src1=1 src2=0
	ds_bpermute_b32 v16 /*v272*/, v5, v8 /*v264*/ offset:116
	ds_bpermute_b32 v17 /*v273*/, v5, v9 /*v265*/ offset:116
	;; [unrolled: 1-line block ×4, first 2 shown]
	s_wait_loadcnt 0x6
	s_set_vgpr_msb 4                        ;  msbs: dst=0 src0=0 src1=1 src2=0
	v_add_f64_e32 v[2:3], v[2:3], v[36:37] /*v[292:293]*/
	s_wait_loadcnt_dscnt 0x502
	s_set_vgpr_msb 0x45                     ;  msbs: dst=1 src0=1 src1=1 src2=0
	v_add_f64_e64 v[16:17] /*v[272:273]*/, v[42:43] /*v[298:299]*/, -v[16:17] /*v[272:273]*/
	v_mul_f64_e32 v[22:23] /*v[278:279]*/, v[36:37] /*v[292:293]*/, v[22:23] /*v[278:279]*/
	s_wait_dscnt 0x0
	v_fmac_f64_e32 v[6:7] /*v[262:263]*/, v[26:27] /*v[282:283]*/, v[24:25] /*v[280:281]*/
	s_set_vgpr_msb 0x44                     ;  msbs: dst=1 src0=0 src1=1 src2=0
	ds_bpermute_b32 v24 /*v280*/, v5, v10 /*v266*/ offset:112
	ds_bpermute_b32 v25 /*v281*/, v5, v11 /*v267*/ offset:112
	;; [unrolled: 1-line block ×4, first 2 shown]
	s_wait_loadcnt 0x4
	s_set_vgpr_msb 4                        ;  msbs: dst=0 src0=0 src1=1 src2=0
	v_add_f64_e32 v[2:3], v[2:3], v[20:21] /*v[276:277]*/
	s_set_vgpr_msb 0x45                     ;  msbs: dst=1 src0=1 src1=1 src2=0
	v_mul_f64_e32 v[16:17] /*v[272:273]*/, v[20:21] /*v[276:277]*/, v[16:17] /*v[272:273]*/
	s_wait_dscnt 0x2
	v_fmac_f64_e32 v[6:7] /*v[262:263]*/, v[22:23] /*v[278:279]*/, v[24:25] /*v[280:281]*/
	s_wait_loadcnt_dscnt 0x300
	v_add_f64_e64 v[12:13] /*v[268:269]*/, v[12:13] /*v[268:269]*/, -v[26:27] /*v[282:283]*/
	s_set_vgpr_msb 0x44                     ;  msbs: dst=1 src0=0 src1=1 src2=0
	ds_bpermute_b32 v22 /*v278*/, v5, v10 /*v266*/ offset:116
	ds_bpermute_b32 v23 /*v279*/, v5, v11 /*v267*/ offset:116
	s_wait_dscnt 0x0
	s_set_vgpr_msb 0x45                     ;  msbs: dst=1 src0=1 src1=1 src2=0
	v_fmac_f64_e32 v[6:7] /*v[262:263]*/, v[16:17] /*v[272:273]*/, v[22:23] /*v[278:279]*/
	s_wait_loadcnt 0x2
	v_mul_f64_e32 v[12:13] /*v[268:269]*/, v[14:15] /*v[270:271]*/, v[12:13] /*v[268:269]*/
	s_set_vgpr_msb 0x44                     ;  msbs: dst=1 src0=0 src1=1 src2=0
	ds_bpermute_b32 v16 /*v272*/, v5, v10 /*v266*/ offset:120
	ds_bpermute_b32 v17 /*v273*/, v5, v11 /*v267*/ offset:120
	s_wait_dscnt 0x0
	s_set_vgpr_msb 0x45                     ;  msbs: dst=1 src0=1 src1=1 src2=0
	v_fmac_f64_e32 v[6:7] /*v[262:263]*/, v[12:13] /*v[268:269]*/, v[16:17] /*v[272:273]*/
	s_set_vgpr_msb 0x44                     ;  msbs: dst=1 src0=0 src1=1 src2=0
	v_add_f64_e32 v[16:17] /*v[272:273]*/, v[2:3], v[14:15] /*v[270:271]*/
	ds_bpermute_b32 v14 /*v270*/, v5, v10 /*v266*/ offset:124
	ds_bpermute_b32 v15 /*v271*/, v5, v11 /*v267*/ offset:124
	;; [unrolled: 1-line block ×4, first 2 shown]
	s_set_vgpr_msb 0x41                     ;  msbs: dst=1 src0=1 src1=0 src2=0
	v_mov_b64_e32 v[8:9] /*v[264:265]*/, v[6:7] /*v[262:263]*/
.LBB38_217:                             ;   in Loop: Header=BB38_145 Depth=1
	s_wait_loadcnt_dscnt 0x0
	s_set_vgpr_msb 0x45                     ;  msbs: dst=1 src0=1 src1=1 src2=0
	v_add_f64_e64 v[6:7] /*v[262:263]*/, v[30:31] /*v[286:287]*/, -v[12:13] /*v[268:269]*/
	s_set_vgpr_msb 5                        ;  msbs: dst=0 src0=1 src1=1 src2=0
	s_delay_alu instid0(VALU_DEP_3)
	v_add_f64_e32 v[2:3], v[16:17] /*v[272:273]*/, v[18:19] /*v[274:275]*/
	s_add_nc_u64 s[24:25], s[24:25], s[20:21]
	s_set_vgpr_msb 0                        ;  msbs: dst=0 src0=0 src1=0 src2=0
	v_add_nc_u64_e32 v[134:135], s[10:11], v[134:135]
	v_cmp_ge_i64_e64 s2, s[24:25], s[4:5]
	v_add_nc_u64_e32 v[136:137], s[10:11], v[136:137]
	v_add_nc_u64_e32 v[8:9], s[10:11], v[8:9]
	v_add_nc_u64_e32 v[10:11], s[10:11], v[10:11]
	v_add_nc_u64_e32 v[12:13], s[10:11], v[12:13]
	v_add_nc_u64_e32 v[14:15], s[10:11], v[14:15]
	v_add_nc_u64_e32 v[16:17], s[10:11], v[16:17]
	v_add_nc_u64_e32 v[18:19], s[10:11], v[18:19]
	v_add_nc_u64_e32 v[20:21], s[10:11], v[20:21]
	v_add_nc_u64_e32 v[22:23], s[10:11], v[22:23]
	v_add_nc_u64_e32 v[32:33], s[10:11], v[32:33]
	v_add_nc_u64_e32 v[42:43], s[10:11], v[42:43]
	v_add_nc_u64_e32 v[46:47], s[10:11], v[46:47]
	v_add_nc_u64_e32 v[52:53], s[10:11], v[52:53]
	v_add_nc_u64_e32 v[56:57], s[10:11], v[56:57]
	v_add_nc_u64_e32 v[60:61], s[10:11], v[60:61]
	v_add_nc_u64_e32 v[64:65], s[10:11], v[64:65]
	v_add_nc_u64_e32 v[68:69], s[10:11], v[68:69]
	v_add_nc_u64_e32 v[72:73], s[10:11], v[72:73]
	v_add_nc_u64_e32 v[76:77], s[10:11], v[76:77]
	v_add_nc_u64_e32 v[80:81], s[10:11], v[80:81]
	v_add_nc_u64_e32 v[84:85], s[10:11], v[84:85]
	v_add_nc_u64_e32 v[88:89], s[10:11], v[88:89]
	v_add_nc_u64_e32 v[92:93], s[10:11], v[92:93]
	v_add_nc_u64_e32 v[96:97], s[10:11], v[96:97]
	v_add_nc_u64_e32 v[100:101], s[10:11], v[100:101]
	v_add_nc_u64_e32 v[104:105], s[10:11], v[104:105]
	v_add_nc_u64_e32 v[108:109], s[10:11], v[108:109]
	s_set_vgpr_msb 0x45                     ;  msbs: dst=1 src0=1 src1=1 src2=0
	v_mul_f64_e32 v[6:7] /*v[262:263]*/, v[18:19] /*v[274:275]*/, v[6:7] /*v[262:263]*/
	s_set_vgpr_msb 0                        ;  msbs: dst=0 src0=0 src1=0 src2=0
	v_add_nc_u64_e32 v[114:115], s[10:11], v[114:115]
	v_add_nc_u64_e32 v[118:119], s[10:11], v[118:119]
	;; [unrolled: 1-line block ×31, first 2 shown]
	s_set_vgpr_msb 0x45                     ;  msbs: dst=1 src0=1 src1=1 src2=0
	v_fmac_f64_e32 v[8:9] /*v[264:265]*/, v[6:7] /*v[262:263]*/, v[14:15] /*v[270:271]*/
	s_set_vgpr_msb 0                        ;  msbs: dst=0 src0=0 src1=0 src2=0
	v_add_nc_u64_e32 v[116:117], s[10:11], v[116:117]
	v_add_nc_u64_e32 v[120:121], s[10:11], v[120:121]
	;; [unrolled: 1-line block ×65, first 2 shown]
	s_set_vgpr_msb 0x44                     ;  msbs: dst=1 src0=0 src1=1 src2=0
	v_add_nc_u64_e32 v[0:1] /*v[256:257]*/, s[10:11], v[0:1] /*v[256:257]*/
	v_add_nc_u64_e32 v[2:3] /*v[258:259]*/, s[10:11], v[2:3] /*v[258:259]*/
	;; [unrolled: 1-line block ×3, first 2 shown]
	s_and_b32 vcc_lo, exec_lo, s2
	s_add_nc_u64 s[22:23], s[22:23], s[20:21]
	s_set_vgpr_msb 0                        ;  msbs: dst=0 src0=0 src1=0 src2=0
	s_cbranch_vccnz .LBB38_219
; %bb.218:                              ;   in Loop: Header=BB38_145 Depth=1
	s_set_vgpr_msb 0x41                     ;  msbs: dst=1 src0=1 src1=0 src2=0
	v_mov_b64_e32 v[6:7] /*v[262:263]*/, v[8:9] /*v[264:265]*/
	s_set_vgpr_msb 0                        ;  msbs: dst=0 src0=0 src1=0 src2=0
	s_branch .LBB38_145
.LBB38_219:
	s_mov_b32 s17, 0
	s_delay_alu instid0(SALU_CYCLE_1) | instskip(NEXT) | instid1(SALU_CYCLE_1)
	s_lshl_b64 s[2:3], s[16:17], 5
	v_and_or_b32 v4, 0x3ff, v0, s2
	v_mov_b32_e32 v5, s3
	s_mov_b32 s2, exec_lo
	s_delay_alu instid0(VALU_DEP_1)
	v_cmpx_gt_i64_e64 s[6:7], v[4:5]
	s_cbranch_execz .LBB38_224
; %bb.220:
	s_load_u16 s2, s[0:1], 0x4e
	v_bfe_u32 v0, v0, 10, 10
	v_mov_b32_e32 v1, 0
	s_wait_kmcnt 0x0
	s_delay_alu instid0(VALU_DEP_1) | instskip(SKIP_1) | instid1(VALU_DEP_1)
	v_mad_nc_u64_u32 v[0:1], s2, s33, v[0:1]
	s_load_b128 s[0:3], s[0:1], 0x30
	v_mul_u64_e32 v[0:1], s[6:7], v[0:1]
	s_wait_kmcnt 0x0
	s_cmp_eq_u64 s[0:1], 0
	s_cbranch_scc1 .LBB38_222
; %bb.221:
	s_delay_alu instid0(VALU_DEP_1) | instskip(NEXT) | instid1(VALU_DEP_1)
	v_lshl_add_u64 v[6:7], v[0:1], 3, s[0:1]
	v_lshl_add_u64 v[6:7], v[4:5], 3, v[6:7]
	s_set_vgpr_msb 4                        ;  msbs: dst=0 src0=0 src1=1 src2=0
	global_store_b64 v[6:7], v[8:9] /*v[264:265]*/, off
.LBB38_222:
	s_cmp_eq_u64 s[2:3], 0
	s_set_vgpr_msb 0                        ;  msbs: dst=0 src0=0 src1=0 src2=0
	s_cbranch_scc1 .LBB38_224
; %bb.223:
	s_delay_alu instid0(VALU_DEP_1) | instskip(NEXT) | instid1(VALU_DEP_1)
	v_lshl_add_u64 v[0:1], v[0:1], 3, s[2:3]
	v_lshl_add_u64 v[0:1], v[4:5], 3, v[0:1]
	global_store_b64 v[0:1], v[2:3], off
.LBB38_224:
	s_sendmsg sendmsg(MSG_DEALLOC_VGPRS)
	s_endpgm
	.section	.rodata,"a",@progbits
	.p2align	6, 0x0
	.amdhsa_kernel _ZN2at6native12_GLOBAL__N_135GammaBetaBackwardCUDAKernelTemplateIddLj32ELj1ELj32ELb1ELb0ELb0EEEvllPKT_S5_PKT0_S8_PS3_S9_
		.amdhsa_group_segment_fixed_size 0
		.amdhsa_private_segment_fixed_size 0
		.amdhsa_kernarg_size 320
		.amdhsa_user_sgpr_count 2
		.amdhsa_user_sgpr_dispatch_ptr 0
		.amdhsa_user_sgpr_queue_ptr 0
		.amdhsa_user_sgpr_kernarg_segment_ptr 1
		.amdhsa_user_sgpr_dispatch_id 0
		.amdhsa_user_sgpr_kernarg_preload_length 0
		.amdhsa_user_sgpr_kernarg_preload_offset 0
		.amdhsa_user_sgpr_private_segment_size 0
		.amdhsa_wavefront_size32 1
		.amdhsa_uses_dynamic_stack 0
		.amdhsa_enable_private_segment 0
		.amdhsa_system_sgpr_workgroup_id_x 1
		.amdhsa_system_sgpr_workgroup_id_y 1
		.amdhsa_system_sgpr_workgroup_id_z 0
		.amdhsa_system_sgpr_workgroup_info 0
		.amdhsa_system_vgpr_workitem_id 1
		.amdhsa_next_free_vgpr 404
		.amdhsa_next_free_sgpr 36
		.amdhsa_named_barrier_count 0
		.amdhsa_reserve_vcc 1
		.amdhsa_float_round_mode_32 0
		.amdhsa_float_round_mode_16_64 0
		.amdhsa_float_denorm_mode_32 3
		.amdhsa_float_denorm_mode_16_64 3
		.amdhsa_fp16_overflow 0
		.amdhsa_memory_ordered 1
		.amdhsa_forward_progress 1
		.amdhsa_inst_pref_size 179
		.amdhsa_round_robin_scheduling 0
		.amdhsa_exception_fp_ieee_invalid_op 0
		.amdhsa_exception_fp_denorm_src 0
		.amdhsa_exception_fp_ieee_div_zero 0
		.amdhsa_exception_fp_ieee_overflow 0
		.amdhsa_exception_fp_ieee_underflow 0
		.amdhsa_exception_fp_ieee_inexact 0
		.amdhsa_exception_int_div_zero 0
	.end_amdhsa_kernel
	.section	.text._ZN2at6native12_GLOBAL__N_135GammaBetaBackwardCUDAKernelTemplateIddLj32ELj1ELj32ELb1ELb0ELb0EEEvllPKT_S5_PKT0_S8_PS3_S9_,"axG",@progbits,_ZN2at6native12_GLOBAL__N_135GammaBetaBackwardCUDAKernelTemplateIddLj32ELj1ELj32ELb1ELb0ELb0EEEvllPKT_S5_PKT0_S8_PS3_S9_,comdat
.Lfunc_end38:
	.size	_ZN2at6native12_GLOBAL__N_135GammaBetaBackwardCUDAKernelTemplateIddLj32ELj1ELj32ELb1ELb0ELb0EEEvllPKT_S5_PKT0_S8_PS3_S9_, .Lfunc_end38-_ZN2at6native12_GLOBAL__N_135GammaBetaBackwardCUDAKernelTemplateIddLj32ELj1ELj32ELb1ELb0ELb0EEEvllPKT_S5_PKT0_S8_PS3_S9_
                                        ; -- End function
	.set _ZN2at6native12_GLOBAL__N_135GammaBetaBackwardCUDAKernelTemplateIddLj32ELj1ELj32ELb1ELb0ELb0EEEvllPKT_S5_PKT0_S8_PS3_S9_.num_vgpr, 404
	.set _ZN2at6native12_GLOBAL__N_135GammaBetaBackwardCUDAKernelTemplateIddLj32ELj1ELj32ELb1ELb0ELb0EEEvllPKT_S5_PKT0_S8_PS3_S9_.num_agpr, 0
	.set _ZN2at6native12_GLOBAL__N_135GammaBetaBackwardCUDAKernelTemplateIddLj32ELj1ELj32ELb1ELb0ELb0EEEvllPKT_S5_PKT0_S8_PS3_S9_.numbered_sgpr, 36
	.set _ZN2at6native12_GLOBAL__N_135GammaBetaBackwardCUDAKernelTemplateIddLj32ELj1ELj32ELb1ELb0ELb0EEEvllPKT_S5_PKT0_S8_PS3_S9_.num_named_barrier, 0
	.set _ZN2at6native12_GLOBAL__N_135GammaBetaBackwardCUDAKernelTemplateIddLj32ELj1ELj32ELb1ELb0ELb0EEEvllPKT_S5_PKT0_S8_PS3_S9_.private_seg_size, 0
	.set _ZN2at6native12_GLOBAL__N_135GammaBetaBackwardCUDAKernelTemplateIddLj32ELj1ELj32ELb1ELb0ELb0EEEvllPKT_S5_PKT0_S8_PS3_S9_.uses_vcc, 1
	.set _ZN2at6native12_GLOBAL__N_135GammaBetaBackwardCUDAKernelTemplateIddLj32ELj1ELj32ELb1ELb0ELb0EEEvllPKT_S5_PKT0_S8_PS3_S9_.uses_flat_scratch, 0
	.set _ZN2at6native12_GLOBAL__N_135GammaBetaBackwardCUDAKernelTemplateIddLj32ELj1ELj32ELb1ELb0ELb0EEEvllPKT_S5_PKT0_S8_PS3_S9_.has_dyn_sized_stack, 0
	.set _ZN2at6native12_GLOBAL__N_135GammaBetaBackwardCUDAKernelTemplateIddLj32ELj1ELj32ELb1ELb0ELb0EEEvllPKT_S5_PKT0_S8_PS3_S9_.has_recursion, 0
	.set _ZN2at6native12_GLOBAL__N_135GammaBetaBackwardCUDAKernelTemplateIddLj32ELj1ELj32ELb1ELb0ELb0EEEvllPKT_S5_PKT0_S8_PS3_S9_.has_indirect_call, 0
	.section	.AMDGPU.csdata,"",@progbits
; Kernel info:
; codeLenInByte = 22816
; TotalNumSgprs: 38
; NumVgprs: 404
; ScratchSize: 0
; MemoryBound: 0
; FloatMode: 240
; IeeeMode: 1
; LDSByteSize: 0 bytes/workgroup (compile time only)
; SGPRBlocks: 0
; VGPRBlocks: 25
; NumSGPRsForWavesPerEU: 38
; NumVGPRsForWavesPerEU: 404
; NamedBarCnt: 0
; Occupancy: 2
; WaveLimiterHint : 0
; COMPUTE_PGM_RSRC2:SCRATCH_EN: 0
; COMPUTE_PGM_RSRC2:USER_SGPR: 2
; COMPUTE_PGM_RSRC2:TRAP_HANDLER: 0
; COMPUTE_PGM_RSRC2:TGID_X_EN: 1
; COMPUTE_PGM_RSRC2:TGID_Y_EN: 1
; COMPUTE_PGM_RSRC2:TGID_Z_EN: 0
; COMPUTE_PGM_RSRC2:TIDIG_COMP_CNT: 1
	.section	.text._ZN2at6native12_GLOBAL__N_135GammaBetaBackwardCUDAKernelTemplateIddLj32ELj1ELj8ELb1ELb1ELb0EEEvllPKT_S5_PKT0_S8_PS3_S9_,"axG",@progbits,_ZN2at6native12_GLOBAL__N_135GammaBetaBackwardCUDAKernelTemplateIddLj32ELj1ELj8ELb1ELb1ELb0EEEvllPKT_S5_PKT0_S8_PS3_S9_,comdat
	.globl	_ZN2at6native12_GLOBAL__N_135GammaBetaBackwardCUDAKernelTemplateIddLj32ELj1ELj8ELb1ELb1ELb0EEEvllPKT_S5_PKT0_S8_PS3_S9_ ; -- Begin function _ZN2at6native12_GLOBAL__N_135GammaBetaBackwardCUDAKernelTemplateIddLj32ELj1ELj8ELb1ELb1ELb0EEEvllPKT_S5_PKT0_S8_PS3_S9_
	.p2align	8
	.type	_ZN2at6native12_GLOBAL__N_135GammaBetaBackwardCUDAKernelTemplateIddLj32ELj1ELj8ELb1ELb1ELb0EEEvllPKT_S5_PKT0_S8_PS3_S9_,@function
_ZN2at6native12_GLOBAL__N_135GammaBetaBackwardCUDAKernelTemplateIddLj32ELj1ELj8ELb1ELb1ELb0EEEvllPKT_S5_PKT0_S8_PS3_S9_: ; @_ZN2at6native12_GLOBAL__N_135GammaBetaBackwardCUDAKernelTemplateIddLj32ELj1ELj8ELb1ELb1ELb0EEEvllPKT_S5_PKT0_S8_PS3_S9_
; %bb.0:
	s_load_b128 s[12:15], s[0:1], 0x0
	s_bfe_u32 s3, ttmp6, 0x4000c
	s_bfe_u32 s4, ttmp6, 0x40010
	s_add_co_i32 s3, s3, 1
	s_add_co_i32 s4, s4, 1
	s_and_b32 s2, ttmp6, 15
	s_bfe_u32 s5, ttmp6, 0x40004
	s_mul_i32 s3, ttmp9, s3
	s_mul_i32 s4, ttmp7, s4
	s_getreg_b32 s6, hwreg(HW_REG_IB_STS2, 6, 4)
	s_add_co_i32 s2, s2, s3
	s_add_co_i32 s5, s5, s4
	s_cmp_eq_u32 s6, 0
	s_mov_b32 s19, 0
	s_cselect_b32 s17, ttmp7, s5
	s_cselect_b32 s16, ttmp9, s2
	s_lshl_b32 s18, s17, 3
	v_bfe_u32 v1, v0, 10, 10
	s_add_nc_u64 s[20:21], s[0:1], 64
	s_wait_kmcnt 0x0
	v_cmp_gt_i64_e64 s2, s[12:13], s[18:19]
	s_and_b32 vcc_lo, exec_lo, s2
	s_cbranch_vccnz .LBB39_2
; %bb.1:
	v_bfe_u32 v2, v0, 10, 10
	s_add_nc_u64 s[4:5], s[0:1], 64
	s_mov_b32 s2, s19
	s_branch .LBB39_3
.LBB39_2:
	s_mov_b32 s2, -1
                                        ; implicit-def: $sgpr4_sgpr5
                                        ; implicit-def: $vgpr2
.LBB39_3:
	v_mov_b64_e32 v[12:13], 0
	v_mov_b64_e32 v[4:5], 0
	v_and_b32_e32 v0, 0x3ff, v0
	s_and_not1_b32 vcc_lo, exec_lo, s2
	s_cbranch_vccnz .LBB39_11
; %bb.4:
	v_dual_mov_b32 v3, 0 :: v_dual_lshlrev_b32 v2, 3, v1
	s_clause 0x2
	s_load_b32 s2, s[0:1], 0x4c
	s_load_b32 s3, s[0:1], 0x44
	s_load_b256 s[4:11], s[0:1], 0x10
	v_mov_b32_e32 v19, 12
	v_lshl_add_u32 v8, s16, 5, v0
	v_add_nc_u64_e32 v[4:5], s[18:19], v[2:3]
	v_mov_b32_e32 v15, v3
	v_mov_b64_e32 v[12:13], 0
	s_mov_b32 s23, 0
	v_dual_mov_b32 v2, 8 :: v_dual_mov_b32 v18, 4
	v_dual_mov_b32 v20, 16 :: v_dual_mov_b32 v21, 20
	v_mul_u64_e32 v[10:11], s[14:15], v[4:5]
	v_dual_mov_b32 v22, 24 :: v_dual_mov_b32 v23, 28
	s_lshl_b64 s[28:29], s[14:15], 3
	v_mov_b32_e32 v9, v3
	s_wait_kmcnt 0x0
	s_and_b32 s2, s2, 0xffff
	s_lshl_b32 s22, s3, 3
	v_mad_u32_u24 v6, v1, s2, v0
	s_mul_u64 s[26:27], s[14:15], s[22:23]
	s_lshl_b64 s[24:25], s[22:23], 3
	s_lshl_b64 s[26:27], s[26:27], 3
	v_lshlrev_b64_e32 v[16:17], 3, v[8:9]
	v_and_b32_e32 v14, 31, v6
	s_delay_alu instid0(VALU_DEP_1) | instskip(SKIP_2) | instid1(VALU_DEP_3)
	v_add_nc_u64_e32 v[6:7], v[4:5], v[14:15]
	v_mov_b64_e32 v[4:5], 0
	v_cmp_gt_u32_e64 s2, 8, v14
	v_lshlrev_b64_e32 v[8:9], 3, v[6:7]
	v_lshl_add_u64 v[10:11], v[10:11], 3, v[16:17]
	s_branch .LBB39_7
.LBB39_5:                               ;   in Loop: Header=BB39_7 Depth=1
	s_wait_xcnt 0x0
	s_or_b32 exec_lo, exec_lo, s30
.LBB39_6:                               ;   in Loop: Header=BB39_7 Depth=1
	s_delay_alu instid0(SALU_CYCLE_1)
	s_or_b32 exec_lo, exec_lo, s3
	v_add_nc_u64_e32 v[24:25], s[6:7], v[10:11]
	v_add_nc_u64_e32 v[28:29], s[4:5], v[10:11]
	s_wait_loadcnt 0x0
	ds_bpermute_b32 v58, v3, v14
	ds_bpermute_b32 v59, v3, v15
	s_add_nc_u64 s[18:19], s[18:19], s[22:23]
	v_add_nc_u64_e32 v[8:9], s[24:25], v[8:9]
	v_cmp_lt_i64_e64 s3, s[18:19], s[12:13]
	global_load_b64 v[26:27], v[24:25], off
	s_wait_xcnt 0x0
	v_add_nc_u64_e32 v[24:25], s[28:29], v[24:25]
	v_add_nc_u64_e32 v[6:7], s[22:23], v[6:7]
	;; [unrolled: 1-line block ×3, first 2 shown]
	global_load_b64 v[30:31], v[24:25], off
	global_load_b64 v[32:33], v[28:29], off
	s_wait_xcnt 0x1
	v_add_nc_u64_e32 v[24:25], s[28:29], v[24:25]
	s_wait_xcnt 0x0
	v_add_nc_u64_e32 v[28:29], s[28:29], v[28:29]
	s_and_b32 vcc_lo, exec_lo, s3
	global_load_b64 v[34:35], v[24:25], off
	global_load_b64 v[36:37], v[28:29], off
	s_wait_xcnt 0x1
	v_add_nc_u64_e32 v[24:25], s[28:29], v[24:25]
	s_wait_xcnt 0x0
	v_add_nc_u64_e32 v[28:29], s[28:29], v[28:29]
	global_load_b64 v[38:39], v[24:25], off
	global_load_b64 v[40:41], v[28:29], off
	s_wait_xcnt 0x1
	v_add_nc_u64_e32 v[24:25], s[28:29], v[24:25]
	s_wait_xcnt 0x0
	v_add_nc_u64_e32 v[28:29], s[28:29], v[28:29]
	;; [unrolled: 6-line block ×5, first 2 shown]
	global_load_b64 v[54:55], v[24:25], off
	global_load_b64 v[56:57], v[28:29], off
	s_wait_xcnt 0x1
	v_add_nc_u64_e32 v[24:25], s[28:29], v[28:29]
	s_wait_xcnt 0x0
	ds_bpermute_b32 v28, v3, v16
	ds_bpermute_b32 v29, v3, v17
	global_load_b64 v[24:25], v[24:25], off
	s_wait_loadcnt_dscnt 0xf00
	v_add_f64_e64 v[26:27], v[26:27], -v[28:29]
	ds_bpermute_b32 v28, v18, v16
	ds_bpermute_b32 v29, v18, v17
	s_wait_loadcnt 0xd
	v_add_f64_e32 v[12:13], v[12:13], v[32:33]
	s_wait_dscnt 0x0
	v_add_f64_e64 v[28:29], v[30:31], -v[28:29]
	ds_bpermute_b32 v30, v2, v16
	ds_bpermute_b32 v31, v2, v17
	v_mul_f64_e32 v[26:27], v[32:33], v[26:27]
	ds_bpermute_b32 v32, v18, v14
	ds_bpermute_b32 v33, v18, v15
	s_wait_loadcnt 0xb
	v_add_f64_e32 v[12:13], v[12:13], v[36:37]
	s_wait_dscnt 0x2
	v_add_f64_e64 v[30:31], v[34:35], -v[30:31]
	v_mul_f64_e32 v[28:29], v[36:37], v[28:29]
	v_fmac_f64_e32 v[4:5], v[26:27], v[58:59]
	ds_bpermute_b32 v26, v19, v16
	ds_bpermute_b32 v27, v19, v17
	s_wait_loadcnt 0x9
	v_add_f64_e32 v[12:13], v[12:13], v[40:41]
	v_mul_f64_e32 v[30:31], v[40:41], v[30:31]
	s_wait_dscnt 0x0
	v_add_f64_e64 v[26:27], v[38:39], -v[26:27]
	v_fmac_f64_e32 v[4:5], v[28:29], v[32:33]
	ds_bpermute_b32 v28, v20, v16
	ds_bpermute_b32 v29, v20, v17
	;; [unrolled: 1-line block ×4, first 2 shown]
	s_wait_loadcnt 0x7
	v_add_f64_e32 v[12:13], v[12:13], v[44:45]
	s_wait_dscnt 0x2
	v_add_f64_e64 v[28:29], v[42:43], -v[28:29]
	v_mul_f64_e32 v[26:27], v[44:45], v[26:27]
	s_wait_dscnt 0x0
	v_fmac_f64_e32 v[4:5], v[30:31], v[32:33]
	ds_bpermute_b32 v30, v21, v16
	ds_bpermute_b32 v31, v21, v17
	;; [unrolled: 1-line block ×4, first 2 shown]
	s_wait_loadcnt 0x5
	v_add_f64_e32 v[12:13], v[12:13], v[48:49]
	s_wait_dscnt 0x2
	v_add_f64_e64 v[30:31], v[46:47], -v[30:31]
	v_mul_f64_e32 v[28:29], v[48:49], v[28:29]
	s_wait_dscnt 0x0
	v_fmac_f64_e32 v[4:5], v[26:27], v[32:33]
	ds_bpermute_b32 v26, v22, v16
	ds_bpermute_b32 v27, v22, v17
	;; [unrolled: 1-line block ×6, first 2 shown]
	s_wait_loadcnt 0x3
	v_add_f64_e32 v[12:13], v[12:13], v[52:53]
	s_wait_dscnt 0x4
	v_add_f64_e64 v[26:27], v[50:51], -v[26:27]
	v_mul_f64_e32 v[30:31], v[52:53], v[30:31]
	s_wait_loadcnt_dscnt 0x200
	v_add_f64_e64 v[16:17], v[54:55], -v[16:17]
	v_fmac_f64_e32 v[4:5], v[28:29], v[32:33]
	ds_bpermute_b32 v28, v21, v14
	ds_bpermute_b32 v29, v21, v15
	s_wait_loadcnt 0x1
	v_add_f64_e32 v[12:13], v[12:13], v[56:57]
	v_mul_f64_e32 v[26:27], v[56:57], v[26:27]
	s_wait_loadcnt 0x0
	v_mul_f64_e32 v[16:17], v[24:25], v[16:17]
	s_wait_dscnt 0x0
	v_fmac_f64_e32 v[4:5], v[30:31], v[28:29]
	ds_bpermute_b32 v28, v22, v14
	ds_bpermute_b32 v29, v22, v15
	;; [unrolled: 1-line block ×4, first 2 shown]
	v_add_f64_e32 v[12:13], v[12:13], v[24:25]
	s_wait_dscnt 0x2
	v_fmac_f64_e32 v[4:5], v[26:27], v[28:29]
	s_wait_dscnt 0x0
	s_delay_alu instid0(VALU_DEP_1)
	v_fmac_f64_e32 v[4:5], v[16:17], v[14:15]
	s_cbranch_vccz .LBB39_10
.LBB39_7:                               ; =>This Inner Loop Header: Depth=1
	v_mov_b64_e32 v[14:15], 0
	v_mov_b64_e32 v[16:17], 0
	s_and_saveexec_b32 s3, s2
	s_cbranch_execz .LBB39_6
; %bb.8:                                ;   in Loop: Header=BB39_7 Depth=1
	v_mov_b64_e32 v[16:17], 0
	v_mov_b64_e32 v[14:15], 0
	s_mov_b32 s30, exec_lo
	v_cmpx_gt_i64_e64 s[12:13], v[6:7]
	s_cbranch_execz .LBB39_5
; %bb.9:                                ;   in Loop: Header=BB39_7 Depth=1
	v_add_nc_u64_e32 v[24:25], s[8:9], v[8:9]
	v_add_nc_u64_e32 v[26:27], s[10:11], v[8:9]
	global_load_b64 v[16:17], v[24:25], off
	global_load_b64 v[14:15], v[26:27], off
	s_branch .LBB39_5
.LBB39_10:
	v_mov_b32_e32 v2, v1
	s_mov_b64 s[4:5], s[20:21]
.LBB39_11:
	s_load_b128 s[0:3], s[0:1], 0x30
	s_nop 0
	s_load_u16 s4, s[4:5], 0xe
	v_mov_b32_e32 v1, 0
	s_delay_alu instid0(VALU_DEP_1) | instskip(SKIP_1) | instid1(VALU_DEP_1)
	v_mov_b32_e32 v3, v1
	s_wait_kmcnt 0x0
	v_mad_nc_u64_u32 v[2:3], s4, s17, v[2:3]
	s_mov_b32 s17, 0
	s_delay_alu instid0(SALU_CYCLE_1) | instskip(SKIP_2) | instid1(VALU_DEP_2)
	s_lshl_b64 s[4:5], s[16:17], 5
	s_cmp_eq_u64 s[0:1], 0
	v_add_nc_u64_e32 v[0:1], s[4:5], v[0:1]
	v_mul_u64_e32 v[2:3], s[14:15], v[2:3]
	s_cbranch_scc1 .LBB39_13
; %bb.12:
	s_delay_alu instid0(VALU_DEP_1) | instskip(NEXT) | instid1(VALU_DEP_1)
	v_lshl_add_u64 v[6:7], v[2:3], 3, s[0:1]
	v_lshl_add_u64 v[6:7], v[0:1], 3, v[6:7]
	global_store_b64 v[6:7], v[4:5], off
.LBB39_13:
	s_cmp_eq_u64 s[2:3], 0
	s_cbranch_scc1 .LBB39_15
; %bb.14:
	s_delay_alu instid0(VALU_DEP_1) | instskip(NEXT) | instid1(VALU_DEP_1)
	v_lshl_add_u64 v[2:3], v[2:3], 3, s[2:3]
	v_lshl_add_u64 v[0:1], v[0:1], 3, v[2:3]
	global_store_b64 v[0:1], v[12:13], off
.LBB39_15:
	s_endpgm
	.section	.rodata,"a",@progbits
	.p2align	6, 0x0
	.amdhsa_kernel _ZN2at6native12_GLOBAL__N_135GammaBetaBackwardCUDAKernelTemplateIddLj32ELj1ELj8ELb1ELb1ELb0EEEvllPKT_S5_PKT0_S8_PS3_S9_
		.amdhsa_group_segment_fixed_size 0
		.amdhsa_private_segment_fixed_size 0
		.amdhsa_kernarg_size 320
		.amdhsa_user_sgpr_count 2
		.amdhsa_user_sgpr_dispatch_ptr 0
		.amdhsa_user_sgpr_queue_ptr 0
		.amdhsa_user_sgpr_kernarg_segment_ptr 1
		.amdhsa_user_sgpr_dispatch_id 0
		.amdhsa_user_sgpr_kernarg_preload_length 0
		.amdhsa_user_sgpr_kernarg_preload_offset 0
		.amdhsa_user_sgpr_private_segment_size 0
		.amdhsa_wavefront_size32 1
		.amdhsa_uses_dynamic_stack 0
		.amdhsa_enable_private_segment 0
		.amdhsa_system_sgpr_workgroup_id_x 1
		.amdhsa_system_sgpr_workgroup_id_y 1
		.amdhsa_system_sgpr_workgroup_id_z 0
		.amdhsa_system_sgpr_workgroup_info 0
		.amdhsa_system_vgpr_workitem_id 1
		.amdhsa_next_free_vgpr 60
		.amdhsa_next_free_sgpr 31
		.amdhsa_named_barrier_count 0
		.amdhsa_reserve_vcc 1
		.amdhsa_float_round_mode_32 0
		.amdhsa_float_round_mode_16_64 0
		.amdhsa_float_denorm_mode_32 3
		.amdhsa_float_denorm_mode_16_64 3
		.amdhsa_fp16_overflow 0
		.amdhsa_memory_ordered 1
		.amdhsa_forward_progress 1
		.amdhsa_inst_pref_size 12
		.amdhsa_round_robin_scheduling 0
		.amdhsa_exception_fp_ieee_invalid_op 0
		.amdhsa_exception_fp_denorm_src 0
		.amdhsa_exception_fp_ieee_div_zero 0
		.amdhsa_exception_fp_ieee_overflow 0
		.amdhsa_exception_fp_ieee_underflow 0
		.amdhsa_exception_fp_ieee_inexact 0
		.amdhsa_exception_int_div_zero 0
	.end_amdhsa_kernel
	.section	.text._ZN2at6native12_GLOBAL__N_135GammaBetaBackwardCUDAKernelTemplateIddLj32ELj1ELj8ELb1ELb1ELb0EEEvllPKT_S5_PKT0_S8_PS3_S9_,"axG",@progbits,_ZN2at6native12_GLOBAL__N_135GammaBetaBackwardCUDAKernelTemplateIddLj32ELj1ELj8ELb1ELb1ELb0EEEvllPKT_S5_PKT0_S8_PS3_S9_,comdat
.Lfunc_end39:
	.size	_ZN2at6native12_GLOBAL__N_135GammaBetaBackwardCUDAKernelTemplateIddLj32ELj1ELj8ELb1ELb1ELb0EEEvllPKT_S5_PKT0_S8_PS3_S9_, .Lfunc_end39-_ZN2at6native12_GLOBAL__N_135GammaBetaBackwardCUDAKernelTemplateIddLj32ELj1ELj8ELb1ELb1ELb0EEEvllPKT_S5_PKT0_S8_PS3_S9_
                                        ; -- End function
	.set _ZN2at6native12_GLOBAL__N_135GammaBetaBackwardCUDAKernelTemplateIddLj32ELj1ELj8ELb1ELb1ELb0EEEvllPKT_S5_PKT0_S8_PS3_S9_.num_vgpr, 60
	.set _ZN2at6native12_GLOBAL__N_135GammaBetaBackwardCUDAKernelTemplateIddLj32ELj1ELj8ELb1ELb1ELb0EEEvllPKT_S5_PKT0_S8_PS3_S9_.num_agpr, 0
	.set _ZN2at6native12_GLOBAL__N_135GammaBetaBackwardCUDAKernelTemplateIddLj32ELj1ELj8ELb1ELb1ELb0EEEvllPKT_S5_PKT0_S8_PS3_S9_.numbered_sgpr, 31
	.set _ZN2at6native12_GLOBAL__N_135GammaBetaBackwardCUDAKernelTemplateIddLj32ELj1ELj8ELb1ELb1ELb0EEEvllPKT_S5_PKT0_S8_PS3_S9_.num_named_barrier, 0
	.set _ZN2at6native12_GLOBAL__N_135GammaBetaBackwardCUDAKernelTemplateIddLj32ELj1ELj8ELb1ELb1ELb0EEEvllPKT_S5_PKT0_S8_PS3_S9_.private_seg_size, 0
	.set _ZN2at6native12_GLOBAL__N_135GammaBetaBackwardCUDAKernelTemplateIddLj32ELj1ELj8ELb1ELb1ELb0EEEvllPKT_S5_PKT0_S8_PS3_S9_.uses_vcc, 1
	.set _ZN2at6native12_GLOBAL__N_135GammaBetaBackwardCUDAKernelTemplateIddLj32ELj1ELj8ELb1ELb1ELb0EEEvllPKT_S5_PKT0_S8_PS3_S9_.uses_flat_scratch, 0
	.set _ZN2at6native12_GLOBAL__N_135GammaBetaBackwardCUDAKernelTemplateIddLj32ELj1ELj8ELb1ELb1ELb0EEEvllPKT_S5_PKT0_S8_PS3_S9_.has_dyn_sized_stack, 0
	.set _ZN2at6native12_GLOBAL__N_135GammaBetaBackwardCUDAKernelTemplateIddLj32ELj1ELj8ELb1ELb1ELb0EEEvllPKT_S5_PKT0_S8_PS3_S9_.has_recursion, 0
	.set _ZN2at6native12_GLOBAL__N_135GammaBetaBackwardCUDAKernelTemplateIddLj32ELj1ELj8ELb1ELb1ELb0EEEvllPKT_S5_PKT0_S8_PS3_S9_.has_indirect_call, 0
	.section	.AMDGPU.csdata,"",@progbits
; Kernel info:
; codeLenInByte = 1452
; TotalNumSgprs: 33
; NumVgprs: 60
; ScratchSize: 0
; MemoryBound: 0
; FloatMode: 240
; IeeeMode: 1
; LDSByteSize: 0 bytes/workgroup (compile time only)
; SGPRBlocks: 0
; VGPRBlocks: 3
; NumSGPRsForWavesPerEU: 33
; NumVGPRsForWavesPerEU: 60
; NamedBarCnt: 0
; Occupancy: 16
; WaveLimiterHint : 0
; COMPUTE_PGM_RSRC2:SCRATCH_EN: 0
; COMPUTE_PGM_RSRC2:USER_SGPR: 2
; COMPUTE_PGM_RSRC2:TRAP_HANDLER: 0
; COMPUTE_PGM_RSRC2:TGID_X_EN: 1
; COMPUTE_PGM_RSRC2:TGID_Y_EN: 1
; COMPUTE_PGM_RSRC2:TGID_Z_EN: 0
; COMPUTE_PGM_RSRC2:TIDIG_COMP_CNT: 1
	.section	.text._ZN2at6native12_GLOBAL__N_135GammaBetaBackwardCUDAKernelTemplateIddLj32ELj1ELj8ELb1ELb0ELb0EEEvllPKT_S5_PKT0_S8_PS3_S9_,"axG",@progbits,_ZN2at6native12_GLOBAL__N_135GammaBetaBackwardCUDAKernelTemplateIddLj32ELj1ELj8ELb1ELb0ELb0EEEvllPKT_S5_PKT0_S8_PS3_S9_,comdat
	.globl	_ZN2at6native12_GLOBAL__N_135GammaBetaBackwardCUDAKernelTemplateIddLj32ELj1ELj8ELb1ELb0ELb0EEEvllPKT_S5_PKT0_S8_PS3_S9_ ; -- Begin function _ZN2at6native12_GLOBAL__N_135GammaBetaBackwardCUDAKernelTemplateIddLj32ELj1ELj8ELb1ELb0ELb0EEEvllPKT_S5_PKT0_S8_PS3_S9_
	.p2align	8
	.type	_ZN2at6native12_GLOBAL__N_135GammaBetaBackwardCUDAKernelTemplateIddLj32ELj1ELj8ELb1ELb0ELb0EEEvllPKT_S5_PKT0_S8_PS3_S9_,@function
_ZN2at6native12_GLOBAL__N_135GammaBetaBackwardCUDAKernelTemplateIddLj32ELj1ELj8ELb1ELb0ELb0EEEvllPKT_S5_PKT0_S8_PS3_S9_: ; @_ZN2at6native12_GLOBAL__N_135GammaBetaBackwardCUDAKernelTemplateIddLj32ELj1ELj8ELb1ELb0ELb0EEEvllPKT_S5_PKT0_S8_PS3_S9_
; %bb.0:
	s_load_b256 s[4:11], s[0:1], 0x0
	s_bfe_u32 s3, ttmp6, 0x4000c
	s_bfe_u32 s12, ttmp6, 0x40010
	s_add_co_i32 s3, s3, 1
	s_add_co_i32 s12, s12, 1
	s_and_b32 s2, ttmp6, 15
	s_bfe_u32 s13, ttmp6, 0x40004
	s_mul_i32 s3, ttmp9, s3
	s_mul_i32 s12, ttmp7, s12
	s_getreg_b32 s14, hwreg(HW_REG_IB_STS2, 6, 4)
	s_add_co_i32 s2, s2, s3
	s_add_co_i32 s3, s13, s12
	s_cmp_eq_u32 s14, 0
	s_mov_b32 s19, 0
	s_cselect_b32 s16, ttmp9, s2
	s_cselect_b32 s33, ttmp7, s3
	s_lshl_b32 s3, s16, 5
	s_load_b128 s[12:15], s[0:1], 0x20
	s_or_b32 s18, s3, 31
	s_wait_kmcnt 0x0
	v_cmp_le_i64_e64 s2, s[6:7], s[18:19]
	s_lshl_b32 s18, s33, 3
	s_delay_alu instid0(SALU_CYCLE_1) | instskip(SKIP_2) | instid1(VALU_DEP_1)
	v_cmp_gt_i64_e64 s17, s[4:5], s[18:19]
	s_and_b32 vcc_lo, exec_lo, s2
	v_cndmask_b32_e64 v1, 0, 1, s17
	v_cmp_ne_u32_e64 s2, 1, v1
	s_cbranch_vccz .LBB40_49
; %bb.1:
	v_mov_b64_e32 v[36:37], 0
	v_mov_b64_e32 v[40:41], 0
	s_and_b32 vcc_lo, exec_lo, s2
	s_cbranch_vccnz .LBB40_50
; %bb.2:
	v_bfe_u32 v1, v0, 10, 10
	v_mov_b32_e32 v2, 0
	v_and_b32_e32 v84, 0x3ff, v0
	s_load_b32 s20, s[0:1], 0x44
	s_mov_b32 s21, 0
	s_delay_alu instid0(VALU_DEP_2) | instskip(NEXT) | instid1(VALU_DEP_2)
	v_dual_mov_b32 v39, v2 :: v_dual_lshlrev_b32 v38, 3, v1
	v_dual_mov_b32 v19, v2 :: v_dual_add_nc_u32 v18, s3, v84
	v_mov_b64_e32 v[76:77], 0
	v_mov_b64_e32 v[36:37], 0
	s_delay_alu instid0(VALU_DEP_4)
	v_add_nc_u64_e32 v[4:5], s[18:19], v[38:39]
	s_mov_b32 s23, s21
	v_cmp_gt_i64_e64 s2, s[6:7], v[18:19]
	v_lshlrev_b64_e32 v[42:43], 3, v[18:19]
	s_add_nc_u64 s[24:25], s[0:1], 64
	s_mov_b64 s[28:29], 7
	s_mov_b64 s[30:31], s[18:19]
	v_mul_u64_e32 v[6:7], s[6:7], v[4:5]
	v_add_nc_u64_e32 v[8:9], 7, v[4:5]
	v_add_nc_u64_e32 v[10:11], 6, v[4:5]
	;; [unrolled: 1-line block ×6, first 2 shown]
	s_wait_kmcnt 0x0
	s_lshl_b32 s22, s20, 3
	v_mul_u64_e32 v[8:9], s[6:7], v[8:9]
	v_mul_u64_e32 v[10:11], s[6:7], v[10:11]
	;; [unrolled: 1-line block ×6, first 2 shown]
	s_mul_u64 s[26:27], s[6:7], s[22:23]
	s_delay_alu instid0(SALU_CYCLE_1) | instskip(SKIP_2) | instid1(VALU_DEP_2)
	s_lshl_b64 s[26:27], s[26:27], 3
	v_lshlrev_b64_e32 v[20:21], 3, v[6:7]
	v_add_nc_u64_e32 v[6:7], s[6:7], v[6:7]
	v_add_nc_u64_e32 v[44:45], s[8:9], v[20:21]
	v_lshlrev_b64_e32 v[8:9], 3, v[8:9]
	v_lshlrev_b64_e32 v[10:11], 3, v[10:11]
	;; [unrolled: 1-line block ×7, first 2 shown]
	v_add_nc_u64_e32 v[46:47], s[10:11], v[20:21]
	v_add_nc_u64_e32 v[48:49], s[8:9], v[8:9]
	;; [unrolled: 1-line block ×15, first 2 shown]
.LBB40_3:                               ; =>This Inner Loop Header: Depth=1
	s_add_nc_u64 s[34:35], s[18:19], s[28:29]
	v_add_nc_u64_e32 v[78:79], s[18:19], v[38:39]
	v_cmp_ge_i64_e64 s20, s[34:35], s[4:5]
                                        ; implicit-def: $vgpr4_vgpr5_vgpr6_vgpr7_vgpr8_vgpr9_vgpr10_vgpr11_vgpr12_vgpr13_vgpr14_vgpr15_vgpr16_vgpr17_vgpr18_vgpr19
                                        ; implicit-def: $vgpr82_vgpr83
                                        ; implicit-def: $vgpr20_vgpr21_vgpr22_vgpr23_vgpr24_vgpr25_vgpr26_vgpr27_vgpr28_vgpr29_vgpr30_vgpr31_vgpr32_vgpr33_vgpr34_vgpr35
                                        ; implicit-def: $vgpr6
                                        ; implicit-def: $vgpr4_vgpr5
                                        ; implicit-def: $vgpr40_vgpr41
	s_and_b32 vcc_lo, exec_lo, s20
	s_mov_b32 s20, -1
	s_cbranch_vccz .LBB40_25
; %bb.4:                                ;   in Loop: Header=BB40_3 Depth=1
	s_load_b32 s20, s[24:25], 0xc
	v_mov_b64_e32 v[82:83], 0
	v_mov_b64_e32 v[80:81], 0
	s_wait_kmcnt 0x0
	s_and_b32 s20, s20, 0xffff
	s_delay_alu instid0(SALU_CYCLE_1) | instskip(SKIP_1) | instid1(VALU_DEP_1)
	v_mad_u32_u24 v3, v1, s20, v84
	s_mov_b32 s20, exec_lo
	v_and_b32_e32 v4, 31, v3
	s_delay_alu instid0(VALU_DEP_1)
	v_cmpx_gt_u32_e32 8, v4
	s_cbranch_execz .LBB40_8
; %bb.5:                                ;   in Loop: Header=BB40_3 Depth=1
	v_mov_b32_e32 v5, v2
	v_mov_b64_e32 v[80:81], 0
	v_mov_b64_e32 v[82:83], 0
	s_mov_b32 s34, exec_lo
	s_delay_alu instid0(VALU_DEP_3) | instskip(NEXT) | instid1(VALU_DEP_1)
	v_add_nc_u64_e32 v[4:5], v[78:79], v[4:5]
	v_cmpx_gt_i64_e64 s[4:5], v[4:5]
	s_cbranch_execz .LBB40_7
; %bb.6:                                ;   in Loop: Header=BB40_3 Depth=1
	v_lshlrev_b64_e32 v[4:5], 3, v[4:5]
	s_delay_alu instid0(VALU_DEP_1)
	v_add_nc_u64_e32 v[6:7], s[12:13], v[4:5]
	v_add_nc_u64_e32 v[4:5], s[14:15], v[4:5]
	global_load_b64 v[80:81], v[6:7], off
	global_load_b64 v[82:83], v[4:5], off
.LBB40_7:                               ;   in Loop: Header=BB40_3 Depth=1
	s_wait_xcnt 0x0
	s_or_b32 exec_lo, exec_lo, s34
.LBB40_8:                               ;   in Loop: Header=BB40_3 Depth=1
	s_delay_alu instid0(SALU_CYCLE_1)
	s_or_b32 exec_lo, exec_lo, s20
	v_dual_mov_b32 v15, v2 :: v_dual_mov_b32 v16, v2
	v_dual_mov_b32 v17, v2 :: v_dual_mov_b32 v3, v2
	;; [unrolled: 1-line block ×7, first 2 shown]
	v_mov_b32_e32 v14, v2
	v_cmp_gt_i64_e32 vcc_lo, s[4:5], v[78:79]
	v_mov_b64_e32 v[34:35], v[16:17]
	v_mov_b64_e32 v[28:29], v[10:11]
	;; [unrolled: 1-line block ×16, first 2 shown]
	s_and_b32 s34, s2, vcc_lo
	s_delay_alu instid0(SALU_CYCLE_1)
	s_and_saveexec_b32 s20, s34
	s_cbranch_execz .LBB40_10
; %bb.9:                                ;   in Loop: Header=BB40_3 Depth=1
	v_add_nc_u64_e32 v[6:7], v[44:45], v[42:43]
	v_add_nc_u64_e32 v[8:9], v[46:47], v[42:43]
	v_dual_mov_b32 v10, v2 :: v_dual_mov_b32 v11, v2
	v_dual_mov_b32 v12, v2 :: v_dual_mov_b32 v13, v2
	;; [unrolled: 1-line block ×3, first 2 shown]
	global_load_b64 v[4:5], v[6:7], off
	global_load_b64 v[20:21], v[8:9], off
	s_wait_xcnt 0x1
	v_dual_mov_b32 v6, v2 :: v_dual_mov_b32 v7, v2
	s_wait_xcnt 0x0
	v_dual_mov_b32 v8, v2 :: v_dual_mov_b32 v9, v2
	v_dual_mov_b32 v16, v2 :: v_dual_mov_b32 v17, v2
	;; [unrolled: 1-line block ×10, first 2 shown]
.LBB40_10:                              ;   in Loop: Header=BB40_3 Depth=1
	s_or_b32 exec_lo, exec_lo, s20
	v_add_nc_u64_e32 v[40:41], 1, v[78:79]
	s_delay_alu instid0(VALU_DEP_1) | instskip(SKIP_1) | instid1(SALU_CYCLE_1)
	v_cmp_gt_i64_e32 vcc_lo, s[4:5], v[40:41]
	s_and_b32 s34, s2, vcc_lo
	s_and_saveexec_b32 s20, s34
	s_cbranch_execz .LBB40_12
; %bb.11:                               ;   in Loop: Header=BB40_3 Depth=1
	v_add_nc_u64_e32 v[40:41], v[72:73], v[42:43]
	v_add_nc_u64_e32 v[86:87], v[74:75], v[42:43]
	global_load_b64 v[6:7], v[40:41], off
	global_load_b64 v[22:23], v[86:87], off
.LBB40_12:                              ;   in Loop: Header=BB40_3 Depth=1
	s_wait_xcnt 0x0
	s_or_b32 exec_lo, exec_lo, s20
	v_add_nc_u64_e32 v[40:41], 2, v[78:79]
	s_delay_alu instid0(VALU_DEP_1) | instskip(SKIP_1) | instid1(SALU_CYCLE_1)
	v_cmp_gt_i64_e32 vcc_lo, s[4:5], v[40:41]
	s_and_b32 s34, s2, vcc_lo
	s_and_saveexec_b32 s20, s34
	s_cbranch_execz .LBB40_14
; %bb.13:                               ;   in Loop: Header=BB40_3 Depth=1
	v_add_nc_u64_e32 v[40:41], v[68:69], v[42:43]
	v_add_nc_u64_e32 v[86:87], v[70:71], v[42:43]
	global_load_b64 v[8:9], v[40:41], off
	global_load_b64 v[24:25], v[86:87], off
.LBB40_14:                              ;   in Loop: Header=BB40_3 Depth=1
	s_wait_xcnt 0x0
	;; [unrolled: 14-line block ×7, first 2 shown]
	s_or_b32 exec_lo, exec_lo, s20
	s_wait_loadcnt 0x1
	ds_bpermute_b32 v40, v2, v80
	ds_bpermute_b32 v41, v2, v81
	s_wait_loadcnt 0x0
	ds_bpermute_b32 v86, v2, v82
	ds_bpermute_b32 v87, v2, v83
	s_mov_b32 s20, 0
	s_wait_dscnt 0x2
	v_add_f64_e64 v[20:21], v[20:21], -v[40:41]
	ds_bpermute_b32 v40, v2, v80 offset:4
	ds_bpermute_b32 v41, v2, v81 offset:4
	s_wait_dscnt 0x0
	v_add_f64_e64 v[22:23], v[22:23], -v[40:41]
	ds_bpermute_b32 v40, v2, v80 offset:8
	ds_bpermute_b32 v41, v2, v81 offset:8
	v_mul_f64_e32 v[20:21], v[4:5], v[20:21]
	v_add_f64_e32 v[4:5], v[36:37], v[4:5]
	s_wait_dscnt 0x0
	v_add_f64_e64 v[24:25], v[24:25], -v[40:41]
	v_mul_f64_e32 v[22:23], v[6:7], v[22:23]
	s_delay_alu instid0(VALU_DEP_4)
	v_fma_f64 v[40:41], v[20:21], v[86:87], v[76:77]
	ds_bpermute_b32 v20, v2, v80 offset:12
	ds_bpermute_b32 v21, v2, v81 offset:12
	;; [unrolled: 1-line block ×4, first 2 shown]
	v_add_f64_e32 v[4:5], v[6:7], v[4:5]
	ds_bpermute_b32 v6, v2, v80 offset:16
	ds_bpermute_b32 v7, v2, v81 offset:16
	v_mul_f64_e32 v[24:25], v[8:9], v[24:25]
	s_wait_dscnt 0x4
	v_add_f64_e64 v[20:21], v[26:27], -v[20:21]
	s_wait_dscnt 0x0
	v_add_f64_e64 v[6:7], v[28:29], -v[6:7]
	v_fmac_f64_e32 v[40:41], v[22:23], v[86:87]
	ds_bpermute_b32 v22, v2, v82 offset:8
	ds_bpermute_b32 v23, v2, v83 offset:8
	v_add_f64_e32 v[4:5], v[8:9], v[4:5]
	ds_bpermute_b32 v8, v2, v80 offset:20
	ds_bpermute_b32 v9, v2, v81 offset:20
	v_mul_f64_e32 v[20:21], v[10:11], v[20:21]
	s_wait_dscnt 0x0
	v_add_f64_e64 v[8:9], v[30:31], -v[8:9]
	v_mul_f64_e32 v[6:7], v[12:13], v[6:7]
	v_fmac_f64_e32 v[40:41], v[24:25], v[22:23]
	ds_bpermute_b32 v22, v2, v82 offset:12
	ds_bpermute_b32 v23, v2, v83 offset:12
	v_add_f64_e32 v[4:5], v[10:11], v[4:5]
	ds_bpermute_b32 v10, v2, v80 offset:24
	ds_bpermute_b32 v11, v2, v81 offset:24
	s_wait_dscnt 0x0
	v_add_f64_e64 v[10:11], v[32:33], -v[10:11]
	v_mul_f64_e32 v[8:9], v[14:15], v[8:9]
	v_fmac_f64_e32 v[40:41], v[20:21], v[22:23]
	ds_bpermute_b32 v20, v2, v82 offset:16
	ds_bpermute_b32 v21, v2, v83 offset:16
	v_add_f64_e32 v[4:5], v[12:13], v[4:5]
	v_mul_f64_e32 v[10:11], v[16:17], v[10:11]
	s_wait_dscnt 0x0
	v_fmac_f64_e32 v[40:41], v[6:7], v[20:21]
	ds_bpermute_b32 v6, v2, v82 offset:20
	ds_bpermute_b32 v7, v2, v83 offset:20
	v_add_f64_e32 v[4:5], v[14:15], v[4:5]
	s_wait_dscnt 0x0
	v_fmac_f64_e32 v[40:41], v[8:9], v[6:7]
	ds_bpermute_b32 v6, v2, v82 offset:24
	ds_bpermute_b32 v7, v2, v83 offset:24
	;; [unrolled: 1-line block ×4, first 2 shown]
	v_add_f64_e32 v[4:5], v[16:17], v[4:5]
	s_wait_dscnt 0x2
	v_fmac_f64_e32 v[40:41], v[10:11], v[6:7]
	ds_bpermute_b32 v6, v2, v80 offset:28
	ds_bpermute_b32 v7, v2, v81 offset:28
.LBB40_25:                              ;   in Loop: Header=BB40_3 Depth=1
	s_and_b32 vcc_lo, exec_lo, s20
	s_cbranch_vccz .LBB40_40
; %bb.26:                               ;   in Loop: Header=BB40_3 Depth=1
	s_load_b32 s20, s[24:25], 0x0
	v_mov_b64_e32 v[80:81], 0
	v_mov_b64_e32 v[40:41], 0
	s_wait_kmcnt 0x0
	s_cmp_lt_u32 s16, s20
	s_cselect_b32 s20, 12, 18
	s_delay_alu instid0(SALU_CYCLE_1) | instskip(SKIP_4) | instid1(VALU_DEP_1)
	s_add_nc_u64 s[34:35], s[24:25], s[20:21]
	s_load_u16 s20, s[34:35], 0x0
	s_wait_kmcnt 0x0
	v_mad_u32_u24 v3, v1, s20, v84
	s_mov_b32 s20, exec_lo
	v_and_b32_e32 v4, 31, v3
	s_delay_alu instid0(VALU_DEP_1)
	v_cmpx_gt_u32_e32 8, v4
	s_cbranch_execz .LBB40_30
; %bb.27:                               ;   in Loop: Header=BB40_3 Depth=1
	v_mov_b32_e32 v5, v2
	v_mov_b64_e32 v[40:41], 0
	v_mov_b64_e32 v[80:81], 0
	s_mov_b32 s34, exec_lo
	s_delay_alu instid0(VALU_DEP_3) | instskip(NEXT) | instid1(VALU_DEP_1)
	v_add_nc_u64_e32 v[4:5], v[78:79], v[4:5]
	v_cmpx_gt_i64_e64 s[4:5], v[4:5]
	s_cbranch_execz .LBB40_29
; %bb.28:                               ;   in Loop: Header=BB40_3 Depth=1
	v_lshlrev_b64_e32 v[4:5], 3, v[4:5]
	s_wait_dscnt 0x0
	s_delay_alu instid0(VALU_DEP_1)
	v_add_nc_u64_e32 v[6:7], s[12:13], v[4:5]
	v_add_nc_u64_e32 v[4:5], s[14:15], v[4:5]
	global_load_b64 v[40:41], v[6:7], off
	global_load_b64 v[80:81], v[4:5], off
.LBB40_29:                              ;   in Loop: Header=BB40_3 Depth=1
	s_wait_xcnt 0x0
	s_or_b32 exec_lo, exec_lo, s34
.LBB40_30:                              ;   in Loop: Header=BB40_3 Depth=1
	s_delay_alu instid0(SALU_CYCLE_1)
	s_or_b32 exec_lo, exec_lo, s20
	v_dual_mov_b32 v15, v2 :: v_dual_mov_b32 v16, v2
	v_dual_mov_b32 v17, v2 :: v_dual_mov_b32 v3, v2
	;; [unrolled: 1-line block ×3, first 2 shown]
	s_wait_dscnt 0x0
	v_dual_mov_b32 v6, v2 :: v_dual_mov_b32 v7, v2
	v_dual_mov_b32 v8, v2 :: v_dual_mov_b32 v9, v2
	;; [unrolled: 1-line block ×4, first 2 shown]
	v_mov_b32_e32 v14, v2
	v_mov_b64_e32 v[34:35], v[16:17]
	s_delay_alu instid0(VALU_DEP_4)
	v_mov_b64_e32 v[28:29], v[10:11]
	v_mov_b64_e32 v[26:27], v[8:9]
	;; [unrolled: 1-line block ×15, first 2 shown]
	s_and_saveexec_b32 s20, s2
	s_cbranch_execnz .LBB40_42
; %bb.31:                               ;   in Loop: Header=BB40_3 Depth=1
	s_or_b32 exec_lo, exec_lo, s20
	s_and_saveexec_b32 s20, s2
	s_cbranch_execnz .LBB40_43
.LBB40_32:                              ;   in Loop: Header=BB40_3 Depth=1
	s_or_b32 exec_lo, exec_lo, s20
	s_and_saveexec_b32 s20, s2
	s_cbranch_execnz .LBB40_44
.LBB40_33:                              ;   in Loop: Header=BB40_3 Depth=1
	s_or_b32 exec_lo, exec_lo, s20
	s_and_saveexec_b32 s20, s2
	s_cbranch_execnz .LBB40_45
.LBB40_34:                              ;   in Loop: Header=BB40_3 Depth=1
	s_or_b32 exec_lo, exec_lo, s20
	s_and_saveexec_b32 s20, s2
	s_cbranch_execnz .LBB40_46
.LBB40_35:                              ;   in Loop: Header=BB40_3 Depth=1
	s_or_b32 exec_lo, exec_lo, s20
	s_and_saveexec_b32 s20, s2
	s_cbranch_execnz .LBB40_47
.LBB40_36:                              ;   in Loop: Header=BB40_3 Depth=1
	s_or_b32 exec_lo, exec_lo, s20
	s_and_saveexec_b32 s20, s2
	s_cbranch_execnz .LBB40_48
.LBB40_37:                              ;   in Loop: Header=BB40_3 Depth=1
	s_or_b32 exec_lo, exec_lo, s20
	s_and_saveexec_b32 s20, s2
	s_cbranch_execz .LBB40_39
.LBB40_38:                              ;   in Loop: Header=BB40_3 Depth=1
	v_add_nc_u64_e32 v[78:79], v[48:49], v[42:43]
	v_add_nc_u64_e32 v[82:83], v[50:51], v[42:43]
	global_load_b64 v[18:19], v[78:79], off
	global_load_b64 v[34:35], v[82:83], off
.LBB40_39:                              ;   in Loop: Header=BB40_3 Depth=1
	s_wait_xcnt 0x0
	s_or_b32 exec_lo, exec_lo, s20
	s_wait_loadcnt 0x1
	ds_bpermute_b32 v78, v2, v40
	ds_bpermute_b32 v79, v2, v41
	s_wait_loadcnt 0x0
	ds_bpermute_b32 v82, v2, v80
	ds_bpermute_b32 v83, v2, v81
	s_wait_dscnt 0x2
	v_add_f64_e64 v[20:21], v[20:21], -v[78:79]
	ds_bpermute_b32 v78, v2, v40 offset:4
	ds_bpermute_b32 v79, v2, v41 offset:4
	s_wait_dscnt 0x0
	v_add_f64_e64 v[22:23], v[22:23], -v[78:79]
	ds_bpermute_b32 v78, v2, v40 offset:8
	ds_bpermute_b32 v79, v2, v41 offset:8
	v_mul_f64_e32 v[20:21], v[4:5], v[20:21]
	v_add_f64_e32 v[4:5], v[36:37], v[4:5]
	ds_bpermute_b32 v36, v2, v80 offset:4
	ds_bpermute_b32 v37, v2, v81 offset:4
	s_wait_dscnt 0x2
	v_add_f64_e64 v[24:25], v[24:25], -v[78:79]
	v_mul_f64_e32 v[22:23], v[6:7], v[22:23]
	v_fmac_f64_e32 v[76:77], v[20:21], v[82:83]
	ds_bpermute_b32 v20, v2, v40 offset:12
	ds_bpermute_b32 v21, v2, v41 offset:12
	v_add_f64_e32 v[4:5], v[6:7], v[4:5]
	ds_bpermute_b32 v6, v2, v40 offset:16
	ds_bpermute_b32 v7, v2, v41 offset:16
	;; [unrolled: 1-line block ×4, first 2 shown]
	v_mul_f64_e32 v[24:25], v[8:9], v[24:25]
	s_wait_dscnt 0x4
	v_add_f64_e64 v[20:21], v[26:27], -v[20:21]
	s_wait_dscnt 0x2
	v_add_f64_e64 v[6:7], v[28:29], -v[6:7]
	v_fmac_f64_e32 v[76:77], v[22:23], v[36:37]
	ds_bpermute_b32 v22, v2, v80 offset:8
	ds_bpermute_b32 v23, v2, v81 offset:8
	v_add_f64_e32 v[4:5], v[8:9], v[4:5]
	ds_bpermute_b32 v8, v2, v40 offset:20
	ds_bpermute_b32 v9, v2, v41 offset:20
	v_mul_f64_e32 v[20:21], v[10:11], v[20:21]
	s_wait_dscnt 0x0
	v_add_f64_e64 v[8:9], v[30:31], -v[8:9]
	v_mul_f64_e32 v[6:7], v[12:13], v[6:7]
	v_fmac_f64_e32 v[76:77], v[24:25], v[22:23]
	ds_bpermute_b32 v22, v2, v80 offset:12
	ds_bpermute_b32 v23, v2, v81 offset:12
	v_add_f64_e32 v[4:5], v[10:11], v[4:5]
	ds_bpermute_b32 v10, v2, v80 offset:16
	ds_bpermute_b32 v11, v2, v81 offset:16
	v_mul_f64_e32 v[8:9], v[14:15], v[8:9]
	s_wait_dscnt 0x2
	v_fmac_f64_e32 v[76:77], v[20:21], v[22:23]
	ds_bpermute_b32 v20, v2, v40 offset:24
	ds_bpermute_b32 v21, v2, v41 offset:24
	v_add_f64_e32 v[4:5], v[12:13], v[4:5]
	s_wait_dscnt 0x2
	v_fmac_f64_e32 v[76:77], v[6:7], v[10:11]
	s_wait_dscnt 0x0
	v_add_f64_e64 v[6:7], v[32:33], -v[20:21]
	ds_bpermute_b32 v10, v2, v80 offset:20
	ds_bpermute_b32 v11, v2, v81 offset:20
	v_add_f64_e32 v[4:5], v[14:15], v[4:5]
	s_wait_dscnt 0x0
	v_fmac_f64_e32 v[76:77], v[8:9], v[10:11]
	v_mul_f64_e32 v[6:7], v[16:17], v[6:7]
	ds_bpermute_b32 v8, v2, v80 offset:24
	ds_bpermute_b32 v9, v2, v81 offset:24
	v_add_f64_e32 v[4:5], v[16:17], v[4:5]
	s_wait_dscnt 0x0
	v_fmac_f64_e32 v[76:77], v[6:7], v[8:9]
	ds_bpermute_b32 v6, v2, v40 offset:28
	ds_bpermute_b32 v7, v2, v41 offset:28
	v_mov_b64_e32 v[40:41], v[76:77]
.LBB40_40:                              ;   in Loop: Header=BB40_3 Depth=1
	s_wait_dscnt 0x0
	v_add_f64_e64 v[6:7], v[34:35], -v[6:7]
	v_add_f64_e32 v[36:37], v[4:5], v[18:19]
	s_add_nc_u64 s[30:31], s[30:31], s[22:23]
	v_add_nc_u64_e32 v[44:45], s[26:27], v[44:45]
	v_cmp_lt_i64_e64 s20, s[30:31], s[4:5]
	v_add_nc_u64_e32 v[46:47], s[26:27], v[46:47]
	v_add_nc_u64_e32 v[48:49], s[26:27], v[48:49]
	;; [unrolled: 1-line block ×16, first 2 shown]
	s_and_b32 vcc_lo, exec_lo, s20
	s_add_nc_u64 s[28:29], s[28:29], s[22:23]
	v_mul_f64_e32 v[6:7], v[18:19], v[6:7]
	s_delay_alu instid0(VALU_DEP_1)
	v_fmac_f64_e32 v[40:41], v[6:7], v[82:83]
	s_cbranch_vccz .LBB40_50
; %bb.41:                               ;   in Loop: Header=BB40_3 Depth=1
	s_delay_alu instid0(VALU_DEP_1)
	v_mov_b64_e32 v[76:77], v[40:41]
	s_branch .LBB40_3
.LBB40_42:                              ;   in Loop: Header=BB40_3 Depth=1
	v_add_nc_u64_e32 v[6:7], v[44:45], v[42:43]
	v_add_nc_u64_e32 v[8:9], v[46:47], v[42:43]
	v_dual_mov_b32 v10, v2 :: v_dual_mov_b32 v11, v2
	v_dual_mov_b32 v12, v2 :: v_dual_mov_b32 v13, v2
	;; [unrolled: 1-line block ×3, first 2 shown]
	global_load_b64 v[4:5], v[6:7], off
	global_load_b64 v[20:21], v[8:9], off
	s_wait_xcnt 0x1
	v_dual_mov_b32 v6, v2 :: v_dual_mov_b32 v7, v2
	s_wait_xcnt 0x0
	v_dual_mov_b32 v8, v2 :: v_dual_mov_b32 v9, v2
	v_dual_mov_b32 v16, v2 :: v_dual_mov_b32 v17, v2
	v_dual_mov_b32 v18, v2 :: v_dual_mov_b32 v19, v2
	v_dual_mov_b32 v22, v2 :: v_dual_mov_b32 v23, v2
	v_dual_mov_b32 v24, v2 :: v_dual_mov_b32 v25, v2
	v_dual_mov_b32 v26, v2 :: v_dual_mov_b32 v27, v2
	v_dual_mov_b32 v28, v2 :: v_dual_mov_b32 v29, v2
	v_dual_mov_b32 v30, v2 :: v_dual_mov_b32 v31, v2
	v_dual_mov_b32 v32, v2 :: v_dual_mov_b32 v33, v2
	v_dual_mov_b32 v34, v2 :: v_dual_mov_b32 v35, v2
	s_or_b32 exec_lo, exec_lo, s20
	s_and_saveexec_b32 s20, s2
	s_cbranch_execz .LBB40_32
.LBB40_43:                              ;   in Loop: Header=BB40_3 Depth=1
	v_add_nc_u64_e32 v[78:79], v[72:73], v[42:43]
	v_add_nc_u64_e32 v[82:83], v[74:75], v[42:43]
	global_load_b64 v[6:7], v[78:79], off
	global_load_b64 v[22:23], v[82:83], off
	s_wait_xcnt 0x0
	s_or_b32 exec_lo, exec_lo, s20
	s_and_saveexec_b32 s20, s2
	s_cbranch_execz .LBB40_33
.LBB40_44:                              ;   in Loop: Header=BB40_3 Depth=1
	v_add_nc_u64_e32 v[78:79], v[68:69], v[42:43]
	v_add_nc_u64_e32 v[82:83], v[70:71], v[42:43]
	global_load_b64 v[8:9], v[78:79], off
	global_load_b64 v[24:25], v[82:83], off
	s_wait_xcnt 0x0
	s_or_b32 exec_lo, exec_lo, s20
	s_and_saveexec_b32 s20, s2
	s_cbranch_execz .LBB40_34
.LBB40_45:                              ;   in Loop: Header=BB40_3 Depth=1
	v_add_nc_u64_e32 v[78:79], v[64:65], v[42:43]
	v_add_nc_u64_e32 v[82:83], v[66:67], v[42:43]
	global_load_b64 v[10:11], v[78:79], off
	global_load_b64 v[26:27], v[82:83], off
	s_wait_xcnt 0x0
	s_or_b32 exec_lo, exec_lo, s20
	s_and_saveexec_b32 s20, s2
	s_cbranch_execz .LBB40_35
.LBB40_46:                              ;   in Loop: Header=BB40_3 Depth=1
	v_add_nc_u64_e32 v[78:79], v[60:61], v[42:43]
	v_add_nc_u64_e32 v[82:83], v[62:63], v[42:43]
	global_load_b64 v[12:13], v[78:79], off
	global_load_b64 v[28:29], v[82:83], off
	s_wait_xcnt 0x0
	s_or_b32 exec_lo, exec_lo, s20
	s_and_saveexec_b32 s20, s2
	s_cbranch_execz .LBB40_36
.LBB40_47:                              ;   in Loop: Header=BB40_3 Depth=1
	v_add_nc_u64_e32 v[78:79], v[56:57], v[42:43]
	v_add_nc_u64_e32 v[82:83], v[58:59], v[42:43]
	global_load_b64 v[14:15], v[78:79], off
	global_load_b64 v[30:31], v[82:83], off
	s_wait_xcnt 0x0
	s_or_b32 exec_lo, exec_lo, s20
	s_and_saveexec_b32 s20, s2
	s_cbranch_execz .LBB40_37
.LBB40_48:                              ;   in Loop: Header=BB40_3 Depth=1
	v_add_nc_u64_e32 v[78:79], v[52:53], v[42:43]
	v_add_nc_u64_e32 v[82:83], v[54:55], v[42:43]
	global_load_b64 v[16:17], v[78:79], off
	global_load_b64 v[32:33], v[82:83], off
	s_wait_xcnt 0x0
	s_or_b32 exec_lo, exec_lo, s20
	s_and_saveexec_b32 s20, s2
	s_cbranch_execnz .LBB40_38
	s_branch .LBB40_39
.LBB40_49:
                                        ; implicit-def: $vgpr36_vgpr37
                                        ; implicit-def: $vgpr40_vgpr41
	s_branch .LBB40_51
.LBB40_50:
	s_cbranch_execnz .LBB40_82
.LBB40_51:
	v_mov_b64_e32 v[36:37], 0
	v_mov_b64_e32 v[40:41], 0
	s_and_not1_b32 vcc_lo, exec_lo, s17
	s_cbranch_vccnz .LBB40_82
; %bb.52:
	v_bfe_u32 v1, v0, 10, 10
	v_mov_b32_e32 v2, 0
	v_and_b32_e32 v110, 0x3ff, v0
	s_load_b32 s2, s[0:1], 0x44
	v_mov_b64_e32 v[40:41], 0
	s_delay_alu instid0(VALU_DEP_3) | instskip(SKIP_3) | instid1(VALU_DEP_3)
	v_dual_mov_b32 v5, v2 :: v_dual_lshlrev_b32 v4, 6, v1
	v_dual_mov_b32 v39, v2 :: v_dual_lshlrev_b32 v38, 3, v1
	v_mov_b64_e32 v[36:37], 0
	s_mov_b64 s[22:23], 7
	v_lshl_add_u64 v[4:5], s[18:19], 3, v[4:5]
	s_mov_b64 s[24:25], s[18:19]
	s_delay_alu instid0(VALU_DEP_1)
	v_add_nc_u64_e32 v[6:7], 8, v[4:5]
	v_add_nc_u64_e32 v[10:11], 16, v[4:5]
	;; [unrolled: 1-line block ×7, first 2 shown]
	v_mad_nc_u64_u32 v[42:43], s6, v6, s[8:9]
	v_mul_lo_u32 v3, s6, v7
	v_mul_lo_u32 v20, s7, v6
	v_mad_nc_u64_u32 v[52:53], s6, v6, s[10:11]
	v_mad_nc_u64_u32 v[46:47], s6, v12, s[8:9]
	v_mul_lo_u32 v26, s6, v13
	v_mad_nc_u64_u32 v[62:63], s6, v4, s[8:9]
	v_mad_nc_u64_u32 v[68:69], s6, v4, s[10:11]
	v_mul_lo_u32 v27, s7, v12
	v_mad_nc_u64_u32 v[48:49], s6, v14, s[8:9]
	v_mul_lo_u32 v28, s6, v15
	v_mul_lo_u32 v29, s7, v14
	v_mad_nc_u64_u32 v[56:57], s6, v12, s[10:11]
	v_add3_u32 v43, v20, v43, v3
	v_add3_u32 v53, v20, v53, v3
	v_mul_lo_u32 v3, s6, v5
	v_mul_lo_u32 v5, s7, v4
	v_add_nc_u32_e32 v4, s3, v110
	v_add_nc_u64_e32 v[8:9], s[18:19], v[38:39]
	v_mad_nc_u64_u32 v[60:61], s6, v14, s[10:11]
	v_mad_nc_u64_u32 v[44:45], s6, v10, s[8:9]
	v_mul_lo_u32 v24, s6, v11
	v_mul_lo_u32 v25, s7, v10
	v_mad_nc_u64_u32 v[54:55], s6, v10, s[10:11]
	v_mad_nc_u64_u32 v[50:51], s6, v16, s[8:9]
	v_add_nc_u64_e32 v[6:7], 7, v[8:9]
	v_add_nc_u64_e32 v[12:13], 6, v[8:9]
	;; [unrolled: 1-line block ×3, first 2 shown]
	v_mul_u64_e32 v[10:11], s[6:7], v[8:9]
	v_add_nc_u64_e32 v[20:21], 4, v[8:9]
	v_add_nc_u64_e32 v[22:23], 3, v[8:9]
	;; [unrolled: 1-line block ×3, first 2 shown]
	v_mul_u64_e32 v[6:7], s[6:7], v[6:7]
	v_mul_u64_e32 v[12:13], s[6:7], v[12:13]
	;; [unrolled: 1-line block ×3, first 2 shown]
	v_mul_lo_u32 v30, s6, v17
	v_mul_lo_u32 v31, s7, v16
	v_mul_u64_e32 v[20:21], s[6:7], v[20:21]
	v_mad_nc_u64_u32 v[64:65], s6, v16, s[10:11]
	v_mul_u64_e32 v[16:17], s[6:7], v[22:23]
	v_mul_u64_e32 v[8:9], s[6:7], v[8:9]
	v_mad_nc_u64_u32 v[58:59], s6, v18, s[8:9]
	v_mul_lo_u32 v19, s6, v19
	v_mul_lo_u32 v32, s7, v18
	v_mad_nc_u64_u32 v[66:67], s6, v18, s[10:11]
	v_add3_u32 v63, v5, v63, v3
	v_add3_u32 v69, v5, v69, v3
	v_mov_b32_e32 v5, v2
	s_mov_b32 s3, 0
	s_wait_kmcnt 0x0
	s_lshl_b32 s20, s2, 3
	s_mov_b32 s21, s3
	v_add3_u32 v45, v25, v45, v24
	v_lshlrev_b64_e32 v[70:71], 3, v[4:5]
	v_add3_u32 v47, v27, v47, v26
	v_add3_u32 v59, v32, v59, v19
	;; [unrolled: 1-line block ×7, first 2 shown]
	v_lshlrev_b64_e32 v[18:19], 3, v[10:11]
	v_add_nc_u64_e32 v[10:11], s[6:7], v[10:11]
	v_add3_u32 v51, v31, v51, v30
	v_add3_u32 v65, v31, v65, v30
	v_lshlrev_b64_e32 v[6:7], 3, v[6:7]
	v_lshlrev_b64_e32 v[4:5], 3, v[12:13]
	v_add_nc_u64_e32 v[72:73], s[8:9], v[18:19]
	v_add_nc_u64_e32 v[74:75], s[10:11], v[18:19]
	v_lshlrev_b64_e32 v[12:13], 3, v[20:21]
	v_add_nc_u64_e32 v[76:77], s[8:9], v[6:7]
	v_add_nc_u64_e32 v[78:79], s[10:11], v[6:7]
	;; [unrolled: 3-line block ×3, first 2 shown]
	v_lshlrev_b64_e32 v[4:5], 3, v[16:17]
	v_lshlrev_b64_e32 v[8:9], 3, v[8:9]
	v_add_nc_u64_e32 v[88:89], s[8:9], v[12:13]
	v_add_nc_u64_e32 v[90:91], s[10:11], v[12:13]
	;; [unrolled: 1-line block ×4, first 2 shown]
	v_lshlrev_b64_e32 v[6:7], 3, v[10:11]
	v_add_nc_u64_e32 v[92:93], s[8:9], v[4:5]
	v_add_nc_u64_e32 v[94:95], s[10:11], v[4:5]
	;; [unrolled: 1-line block ×6, first 2 shown]
	s_mul_u64 s[10:11], s[6:7], s[20:21]
	s_add_nc_u64 s[8:9], s[0:1], 64
	s_lshl_b64 s[10:11], s[10:11], 3
	s_branch .LBB40_56
.LBB40_53:                              ;   in Loop: Header=BB40_56 Depth=1
	s_wait_xcnt 0x0
	s_or_b32 exec_lo, exec_lo, s17
.LBB40_54:                              ;   in Loop: Header=BB40_56 Depth=1
	s_delay_alu instid0(SALU_CYCLE_1)
	s_or_b32 exec_lo, exec_lo, s2
	v_add_nc_u64_e32 v[8:9], v[74:75], v[70:71]
	v_add_nc_u64_e32 v[10:11], v[52:53], v[70:71]
	;; [unrolled: 1-line block ×4, first 2 shown]
	global_load_b64 v[8:9], v[8:9], off
	global_load_b64 v[14:15], v[10:11], off
	;; [unrolled: 1-line block ×3, first 2 shown]
	s_wait_xcnt 0x1
	v_add_nc_u64_e32 v[10:11], v[54:55], v[70:71]
	s_wait_xcnt 0x0
	v_add_nc_u64_e32 v[12:13], v[42:43], v[70:71]
	global_load_b64 v[20:21], v[10:11], off
	global_load_b64 v[22:23], v[12:13], off
	s_wait_xcnt 0x1
	v_add_nc_u64_e32 v[10:11], v[56:57], v[70:71]
	s_wait_xcnt 0x0
	v_add_nc_u64_e32 v[12:13], v[44:45], v[70:71]
	global_load_b64 v[24:25], v[10:11], off
	global_load_b64 v[26:27], v[12:13], off
	;; [unrolled: 6-line block ×5, first 2 shown]
	global_load_b64 v[108:109], v[18:19], off
	s_wait_xcnt 0x2
	v_add_nc_u64_e32 v[10:11], v[58:59], v[70:71]
	s_wait_xcnt 0x1
	v_add_nc_u64_e32 v[12:13], v[62:63], v[70:71]
	global_load_b64 v[112:113], v[10:11], off
	global_load_b64 v[18:19], v[12:13], off
	s_wait_loadcnt 0x11
	s_wait_xcnt 0x1
	ds_bpermute_b32 v10, v2, v6
	ds_bpermute_b32 v11, v2, v7
	s_wait_xcnt 0x0
	ds_bpermute_b32 v12, v2, v6 offset:8
	ds_bpermute_b32 v13, v2, v7 offset:8
	s_wait_loadcnt_dscnt 0xf02
	v_add_f64_e64 v[8:9], v[8:9], -v[10:11]
	ds_bpermute_b32 v10, v2, v6 offset:4
	ds_bpermute_b32 v11, v2, v7 offset:4
	s_wait_loadcnt_dscnt 0xc02
	v_add_f64_e64 v[12:13], v[20:21], -v[12:13]
	s_wait_dscnt 0x0
	v_add_f64_e64 v[10:11], v[14:15], -v[10:11]
	ds_bpermute_b32 v14, v2, v4
	ds_bpermute_b32 v15, v2, v5
	v_mul_f64_e32 v[8:9], v[16:17], v[8:9]
	s_wait_loadcnt 0x9
	v_mul_f64_e32 v[12:13], v[26:27], v[12:13]
	v_mul_f64_e32 v[10:11], v[22:23], v[10:11]
	s_wait_dscnt 0x0
	s_delay_alu instid0(VALU_DEP_3)
	v_fmac_f64_e32 v[40:41], v[8:9], v[14:15]
	v_add_f64_e32 v[8:9], v[36:37], v[16:17]
	ds_bpermute_b32 v14, v2, v6 offset:12
	ds_bpermute_b32 v15, v2, v7 offset:12
	;; [unrolled: 1-line block ×4, first 2 shown]
	s_wait_dscnt 0x2
	v_add_f64_e64 v[14:15], v[24:25], -v[14:15]
	s_wait_dscnt 0x0
	v_fmac_f64_e32 v[40:41], v[10:11], v[16:17]
	v_add_f64_e32 v[8:9], v[8:9], v[22:23]
	ds_bpermute_b32 v10, v2, v6 offset:16
	ds_bpermute_b32 v11, v2, v7 offset:16
	;; [unrolled: 1-line block ×4, first 2 shown]
	s_wait_loadcnt_dscnt 0x802
	v_add_f64_e64 v[10:11], v[28:29], -v[10:11]
	s_wait_loadcnt 0x7
	v_mul_f64_e32 v[14:15], v[30:31], v[14:15]
	s_wait_dscnt 0x0
	v_fmac_f64_e32 v[40:41], v[12:13], v[16:17]
	v_add_f64_e32 v[8:9], v[8:9], v[26:27]
	ds_bpermute_b32 v12, v2, v6 offset:20
	ds_bpermute_b32 v13, v2, v7 offset:20
	;; [unrolled: 1-line block ×4, first 2 shown]
	s_wait_loadcnt_dscnt 0x602
	v_add_f64_e64 v[12:13], v[32:33], -v[12:13]
	s_wait_loadcnt 0x5
	v_mul_f64_e32 v[10:11], v[34:35], v[10:11]
	s_wait_dscnt 0x0
	v_fmac_f64_e32 v[40:41], v[14:15], v[16:17]
	v_add_f64_e32 v[8:9], v[8:9], v[30:31]
	ds_bpermute_b32 v14, v2, v6 offset:24
	ds_bpermute_b32 v16, v2, v4 offset:16
	;; [unrolled: 1-line block ×6, first 2 shown]
	s_wait_loadcnt 0x4
	v_mul_f64_e32 v[12:13], v[104:105], v[12:13]
	s_wait_loadcnt_dscnt 0x200
	v_add_f64_e64 v[6:7], v[108:109], -v[6:7]
	v_fmac_f64_e32 v[40:41], v[10:11], v[16:17]
	v_add_f64_e64 v[10:11], v[106:107], -v[14:15]
	v_add_f64_e32 v[8:9], v[8:9], v[34:35]
	ds_bpermute_b32 v14, v2, v4 offset:20
	ds_bpermute_b32 v15, v2, v5 offset:20
	s_wait_dscnt 0x0
	v_fmac_f64_e32 v[40:41], v[12:13], v[14:15]
	s_wait_loadcnt 0x1
	v_mul_f64_e32 v[10:11], v[112:113], v[10:11]
	v_add_f64_e32 v[8:9], v[8:9], v[104:105]
	s_wait_loadcnt 0x0
	v_mul_f64_e32 v[12:13], v[18:19], v[6:7]
	ds_bpermute_b32 v6, v2, v4 offset:24
	ds_bpermute_b32 v7, v2, v5 offset:24
	;; [unrolled: 1-line block ×4, first 2 shown]
	s_wait_dscnt 0x2
	v_fmac_f64_e32 v[40:41], v[10:11], v[6:7]
	v_add_f64_e32 v[6:7], v[8:9], v[112:113]
	s_wait_dscnt 0x0
	v_mul_f64_e32 v[8:9], v[12:13], v[4:5]
	s_delay_alu instid0(VALU_DEP_3)
	v_mov_b64_e32 v[4:5], v[40:41]
.LBB40_55:                              ;   in Loop: Header=BB40_56 Depth=1
	s_delay_alu instid0(VALU_DEP_1) | instskip(NEXT) | instid1(VALU_DEP_4)
	v_add_f64_e32 v[40:41], v[4:5], v[8:9]
	v_add_f64_e32 v[36:37], v[6:7], v[18:19]
	s_add_nc_u64 s[24:25], s[24:25], s[20:21]
	v_add_nc_u64_e32 v[72:73], s[10:11], v[72:73]
	v_cmp_ge_i64_e64 s2, s[24:25], s[4:5]
	v_add_nc_u64_e32 v[74:75], s[10:11], v[74:75]
	v_add_nc_u64_e32 v[38:39], s[20:21], v[38:39]
	;; [unrolled: 1-line block ×30, first 2 shown]
	s_and_b32 vcc_lo, exec_lo, s2
	s_add_nc_u64 s[22:23], s[22:23], s[20:21]
	s_cbranch_vccnz .LBB40_82
.LBB40_56:                              ; =>This Inner Loop Header: Depth=1
	s_add_nc_u64 s[26:27], s[18:19], s[22:23]
	v_add_nc_u64_e32 v[104:105], s[18:19], v[38:39]
	v_cmp_ge_i64_e64 s2, s[26:27], s[4:5]
                                        ; implicit-def: $vgpr18_vgpr19
                                        ; implicit-def: $vgpr8_vgpr9
                                        ; implicit-def: $vgpr6_vgpr7
                                        ; implicit-def: $vgpr4_vgpr5
	s_and_b32 vcc_lo, exec_lo, s2
	s_mov_b32 s2, -1
	s_cbranch_vccz .LBB40_78
; %bb.57:                               ;   in Loop: Header=BB40_56 Depth=1
	s_load_b32 s2, s[8:9], 0xc
	v_mov_b64_e32 v[106:107], 0
	v_mov_b64_e32 v[108:109], 0
	s_wait_kmcnt 0x0
	s_and_b32 s2, s2, 0xffff
	s_delay_alu instid0(SALU_CYCLE_1) | instskip(SKIP_1) | instid1(VALU_DEP_1)
	v_mad_u32_u24 v3, v1, s2, v110
	s_mov_b32 s2, exec_lo
	v_and_b32_e32 v4, 31, v3
	s_delay_alu instid0(VALU_DEP_1)
	v_cmpx_gt_u32_e32 8, v4
	s_cbranch_execz .LBB40_61
; %bb.58:                               ;   in Loop: Header=BB40_56 Depth=1
	v_mov_b32_e32 v5, v2
	v_mov_b64_e32 v[108:109], 0
	v_mov_b64_e32 v[106:107], 0
	s_mov_b32 s17, exec_lo
	s_delay_alu instid0(VALU_DEP_3) | instskip(NEXT) | instid1(VALU_DEP_1)
	v_add_nc_u64_e32 v[4:5], v[104:105], v[4:5]
	v_cmpx_gt_i64_e64 s[4:5], v[4:5]
	s_cbranch_execz .LBB40_60
; %bb.59:                               ;   in Loop: Header=BB40_56 Depth=1
	v_lshlrev_b64_e32 v[4:5], 3, v[4:5]
	s_delay_alu instid0(VALU_DEP_1)
	v_add_nc_u64_e32 v[6:7], s[12:13], v[4:5]
	v_add_nc_u64_e32 v[4:5], s[14:15], v[4:5]
	global_load_b64 v[108:109], v[6:7], off
	global_load_b64 v[106:107], v[4:5], off
.LBB40_60:                              ;   in Loop: Header=BB40_56 Depth=1
	s_wait_xcnt 0x0
	s_or_b32 exec_lo, exec_lo, s17
.LBB40_61:                              ;   in Loop: Header=BB40_56 Depth=1
	s_delay_alu instid0(SALU_CYCLE_1)
	s_or_b32 exec_lo, exec_lo, s2
	v_dual_mov_b32 v15, v2 :: v_dual_mov_b32 v16, v2
	v_dual_mov_b32 v17, v2 :: v_dual_mov_b32 v3, v2
	;; [unrolled: 1-line block ×7, first 2 shown]
	v_mov_b32_e32 v14, v2
	v_mov_b64_e32 v[34:35], v[16:17]
	s_delay_alu instid0(VALU_DEP_4)
	v_mov_b64_e32 v[28:29], v[10:11]
	v_mov_b64_e32 v[26:27], v[8:9]
	v_mov_b64_e32 v[30:31], v[12:13]
	v_mov_b64_e32 v[32:33], v[14:15]
	v_mov_b64_e32 v[24:25], v[6:7]
	v_mov_b64_e32 v[22:23], v[4:5]
	v_mov_b64_e32 v[20:21], v[2:3]
	v_mov_b64_e32 v[18:19], v[16:17]
	v_mov_b64_e32 v[16:17], v[14:15]
	v_mov_b64_e32 v[14:15], v[12:13]
	v_mov_b64_e32 v[12:13], v[10:11]
	v_mov_b64_e32 v[10:11], v[8:9]
	v_mov_b64_e32 v[8:9], v[6:7]
	v_mov_b64_e32 v[6:7], v[4:5]
	v_mov_b64_e32 v[4:5], v[2:3]
	s_mov_b32 s2, exec_lo
	v_cmpx_gt_i64_e64 s[4:5], v[104:105]
	s_cbranch_execz .LBB40_63
; %bb.62:                               ;   in Loop: Header=BB40_56 Depth=1
	v_add_nc_u64_e32 v[6:7], v[72:73], v[70:71]
	v_add_nc_u64_e32 v[8:9], v[74:75], v[70:71]
	v_dual_mov_b32 v10, v2 :: v_dual_mov_b32 v11, v2
	v_dual_mov_b32 v12, v2 :: v_dual_mov_b32 v13, v2
	;; [unrolled: 1-line block ×3, first 2 shown]
	global_load_b64 v[4:5], v[6:7], off
	global_load_b64 v[20:21], v[8:9], off
	s_wait_xcnt 0x1
	v_dual_mov_b32 v6, v2 :: v_dual_mov_b32 v7, v2
	s_wait_xcnt 0x0
	v_dual_mov_b32 v8, v2 :: v_dual_mov_b32 v9, v2
	v_dual_mov_b32 v16, v2 :: v_dual_mov_b32 v17, v2
	;; [unrolled: 1-line block ×10, first 2 shown]
.LBB40_63:                              ;   in Loop: Header=BB40_56 Depth=1
	s_or_b32 exec_lo, exec_lo, s2
	v_add_nc_u64_e32 v[112:113], 1, v[104:105]
	s_mov_b32 s2, exec_lo
	s_delay_alu instid0(VALU_DEP_1)
	v_cmpx_gt_i64_e64 s[4:5], v[112:113]
	s_cbranch_execz .LBB40_65
; %bb.64:                               ;   in Loop: Header=BB40_56 Depth=1
	v_add_nc_u64_e32 v[112:113], v[100:101], v[70:71]
	v_add_nc_u64_e32 v[114:115], v[102:103], v[70:71]
	global_load_b64 v[6:7], v[112:113], off
	global_load_b64 v[22:23], v[114:115], off
.LBB40_65:                              ;   in Loop: Header=BB40_56 Depth=1
	s_wait_xcnt 0x0
	s_or_b32 exec_lo, exec_lo, s2
	v_add_nc_u64_e32 v[112:113], 2, v[104:105]
	s_mov_b32 s2, exec_lo
	s_delay_alu instid0(VALU_DEP_1)
	v_cmpx_gt_i64_e64 s[4:5], v[112:113]
	s_cbranch_execz .LBB40_67
; %bb.66:                               ;   in Loop: Header=BB40_56 Depth=1
	v_add_nc_u64_e32 v[112:113], v[96:97], v[70:71]
	v_add_nc_u64_e32 v[114:115], v[98:99], v[70:71]
	global_load_b64 v[8:9], v[112:113], off
	global_load_b64 v[24:25], v[114:115], off
.LBB40_67:                              ;   in Loop: Header=BB40_56 Depth=1
	s_wait_xcnt 0x0
	;; [unrolled: 13-line block ×7, first 2 shown]
	s_or_b32 exec_lo, exec_lo, s2
	s_wait_loadcnt 0x1
	ds_bpermute_b32 v112, v2, v108
	ds_bpermute_b32 v113, v2, v109
	s_wait_loadcnt 0x0
	ds_bpermute_b32 v114, v2, v106
	ds_bpermute_b32 v115, v2, v107
	v_add_f64_e32 v[116:117], v[36:37], v[4:5]
	s_mov_b32 s2, 0
	s_wait_dscnt 0x2
	v_add_f64_e64 v[20:21], v[20:21], -v[112:113]
	ds_bpermute_b32 v112, v2, v108 offset:4
	ds_bpermute_b32 v113, v2, v109 offset:4
	s_wait_dscnt 0x0
	v_add_f64_e64 v[22:23], v[22:23], -v[112:113]
	ds_bpermute_b32 v112, v2, v108 offset:8
	ds_bpermute_b32 v113, v2, v109 offset:8
	v_mul_f64_e32 v[20:21], v[4:5], v[20:21]
	s_wait_dscnt 0x0
	v_add_f64_e64 v[24:25], v[24:25], -v[112:113]
	ds_bpermute_b32 v112, v2, v106 offset:4
	ds_bpermute_b32 v113, v2, v107 offset:4
	v_mul_f64_e32 v[22:23], v[6:7], v[22:23]
	v_add_f64_e32 v[6:7], v[6:7], v[116:117]
	v_fma_f64 v[4:5], v[20:21], v[114:115], v[40:41]
	ds_bpermute_b32 v20, v2, v108 offset:12
	ds_bpermute_b32 v21, v2, v109 offset:12
	v_mul_f64_e32 v[24:25], v[8:9], v[24:25]
	s_wait_dscnt 0x0
	v_add_f64_e64 v[20:21], v[26:27], -v[20:21]
	ds_bpermute_b32 v26, v2, v106 offset:8
	ds_bpermute_b32 v27, v2, v107 offset:8
	v_add_f64_e32 v[6:7], v[8:9], v[6:7]
	ds_bpermute_b32 v8, v2, v108 offset:20
	ds_bpermute_b32 v9, v2, v109 offset:20
	v_fmac_f64_e32 v[4:5], v[22:23], v[112:113]
	ds_bpermute_b32 v22, v2, v108 offset:16
	ds_bpermute_b32 v23, v2, v109 offset:16
	s_wait_dscnt 0x2
	v_add_f64_e64 v[8:9], v[30:31], -v[8:9]
	s_wait_dscnt 0x0
	v_add_f64_e64 v[22:23], v[28:29], -v[22:23]
	v_mul_f64_e32 v[20:21], v[10:11], v[20:21]
	v_add_f64_e32 v[6:7], v[10:11], v[6:7]
	ds_bpermute_b32 v10, v2, v108 offset:24
	ds_bpermute_b32 v11, v2, v109 offset:24
	v_fmac_f64_e32 v[4:5], v[24:25], v[26:27]
	ds_bpermute_b32 v24, v2, v106 offset:12
	ds_bpermute_b32 v25, v2, v107 offset:12
	s_wait_dscnt 0x2
	v_add_f64_e64 v[10:11], v[32:33], -v[10:11]
	v_mul_f64_e32 v[8:9], v[14:15], v[8:9]
	v_mul_f64_e32 v[22:23], v[12:13], v[22:23]
	v_add_f64_e32 v[6:7], v[12:13], v[6:7]
	s_wait_dscnt 0x0
	v_fmac_f64_e32 v[4:5], v[20:21], v[24:25]
	ds_bpermute_b32 v20, v2, v106 offset:16
	ds_bpermute_b32 v21, v2, v107 offset:16
	;; [unrolled: 1-line block ×4, first 2 shown]
	v_mul_f64_e32 v[10:11], v[16:17], v[10:11]
	s_wait_dscnt 0x0
	v_add_f64_e64 v[12:13], v[34:35], -v[24:25]
	v_add_f64_e32 v[6:7], v[14:15], v[6:7]
	ds_bpermute_b32 v14, v2, v106 offset:28
	ds_bpermute_b32 v15, v2, v107 offset:28
	v_fmac_f64_e32 v[4:5], v[22:23], v[20:21]
	ds_bpermute_b32 v20, v2, v106 offset:20
	ds_bpermute_b32 v21, v2, v107 offset:20
	v_add_f64_e32 v[6:7], v[16:17], v[6:7]
	s_wait_dscnt 0x0
	v_fmac_f64_e32 v[4:5], v[8:9], v[20:21]
	v_mul_f64_e32 v[8:9], v[18:19], v[12:13]
	ds_bpermute_b32 v12, v2, v106 offset:24
	ds_bpermute_b32 v13, v2, v107 offset:24
	s_wait_dscnt 0x0
	v_fmac_f64_e32 v[4:5], v[10:11], v[12:13]
	v_mul_f64_e32 v[8:9], v[8:9], v[14:15]
.LBB40_78:                              ;   in Loop: Header=BB40_56 Depth=1
	s_and_b32 vcc_lo, exec_lo, s2
	s_cbranch_vccz .LBB40_55
; %bb.79:                               ;   in Loop: Header=BB40_56 Depth=1
	s_load_b32 s2, s[8:9], 0x0
	v_mov_b64_e32 v[4:5], 0
	v_mov_b64_e32 v[6:7], 0
	s_wait_kmcnt 0x0
	s_cmp_lt_u32 s16, s2
	s_cselect_b32 s2, 12, 18
	s_delay_alu instid0(SALU_CYCLE_1) | instskip(SKIP_4) | instid1(VALU_DEP_1)
	s_add_nc_u64 s[26:27], s[8:9], s[2:3]
	s_load_u16 s2, s[26:27], 0x0
	s_wait_kmcnt 0x0
	v_mad_u32_u24 v3, v1, s2, v110
	s_mov_b32 s2, exec_lo
	v_and_b32_e32 v8, 31, v3
	s_delay_alu instid0(VALU_DEP_1)
	v_cmpx_gt_u32_e32 8, v8
	s_cbranch_execz .LBB40_54
; %bb.80:                               ;   in Loop: Header=BB40_56 Depth=1
	v_mov_b32_e32 v9, v2
	v_mov_b64_e32 v[6:7], 0
	v_mov_b64_e32 v[4:5], 0
	s_mov_b32 s17, exec_lo
	s_delay_alu instid0(VALU_DEP_3) | instskip(NEXT) | instid1(VALU_DEP_1)
	v_add_nc_u64_e32 v[8:9], v[104:105], v[8:9]
	v_cmpx_gt_i64_e64 s[4:5], v[8:9]
	s_cbranch_execz .LBB40_53
; %bb.81:                               ;   in Loop: Header=BB40_56 Depth=1
	v_lshlrev_b64_e32 v[4:5], 3, v[8:9]
	s_delay_alu instid0(VALU_DEP_1)
	v_add_nc_u64_e32 v[8:9], s[12:13], v[4:5]
	v_add_nc_u64_e32 v[10:11], s[14:15], v[4:5]
	global_load_b64 v[6:7], v[8:9], off
	global_load_b64 v[4:5], v[10:11], off
	s_branch .LBB40_53
.LBB40_82:
	s_mov_b32 s17, 0
	s_delay_alu instid0(SALU_CYCLE_1) | instskip(NEXT) | instid1(SALU_CYCLE_1)
	s_lshl_b64 s[2:3], s[16:17], 5
	v_and_or_b32 v2, 0x3ff, v0, s2
	v_mov_b32_e32 v3, s3
	s_mov_b32 s2, exec_lo
	s_delay_alu instid0(VALU_DEP_1)
	v_cmpx_gt_i64_e64 s[6:7], v[2:3]
	s_cbranch_execz .LBB40_87
; %bb.83:
	s_load_u16 s2, s[0:1], 0x4e
	v_bfe_u32 v0, v0, 10, 10
	v_mov_b32_e32 v1, 0
	s_wait_kmcnt 0x0
	s_delay_alu instid0(VALU_DEP_1) | instskip(SKIP_1) | instid1(VALU_DEP_1)
	v_mad_nc_u64_u32 v[0:1], s2, s33, v[0:1]
	s_load_b128 s[0:3], s[0:1], 0x30
	v_mul_u64_e32 v[0:1], s[6:7], v[0:1]
	s_wait_kmcnt 0x0
	s_cmp_eq_u64 s[0:1], 0
	s_cbranch_scc1 .LBB40_85
; %bb.84:
	s_delay_alu instid0(VALU_DEP_1) | instskip(NEXT) | instid1(VALU_DEP_1)
	v_lshl_add_u64 v[4:5], v[0:1], 3, s[0:1]
	v_lshl_add_u64 v[4:5], v[2:3], 3, v[4:5]
	global_store_b64 v[4:5], v[40:41], off
.LBB40_85:
	s_cmp_eq_u64 s[2:3], 0
	s_cbranch_scc1 .LBB40_87
; %bb.86:
	s_delay_alu instid0(VALU_DEP_1) | instskip(NEXT) | instid1(VALU_DEP_1)
	v_lshl_add_u64 v[0:1], v[0:1], 3, s[2:3]
	v_lshl_add_u64 v[0:1], v[2:3], 3, v[0:1]
	global_store_b64 v[0:1], v[36:37], off
.LBB40_87:
	s_sendmsg sendmsg(MSG_DEALLOC_VGPRS)
	s_endpgm
	.section	.rodata,"a",@progbits
	.p2align	6, 0x0
	.amdhsa_kernel _ZN2at6native12_GLOBAL__N_135GammaBetaBackwardCUDAKernelTemplateIddLj32ELj1ELj8ELb1ELb0ELb0EEEvllPKT_S5_PKT0_S8_PS3_S9_
		.amdhsa_group_segment_fixed_size 0
		.amdhsa_private_segment_fixed_size 0
		.amdhsa_kernarg_size 320
		.amdhsa_user_sgpr_count 2
		.amdhsa_user_sgpr_dispatch_ptr 0
		.amdhsa_user_sgpr_queue_ptr 0
		.amdhsa_user_sgpr_kernarg_segment_ptr 1
		.amdhsa_user_sgpr_dispatch_id 0
		.amdhsa_user_sgpr_kernarg_preload_length 0
		.amdhsa_user_sgpr_kernarg_preload_offset 0
		.amdhsa_user_sgpr_private_segment_size 0
		.amdhsa_wavefront_size32 1
		.amdhsa_uses_dynamic_stack 0
		.amdhsa_enable_private_segment 0
		.amdhsa_system_sgpr_workgroup_id_x 1
		.amdhsa_system_sgpr_workgroup_id_y 1
		.amdhsa_system_sgpr_workgroup_id_z 0
		.amdhsa_system_sgpr_workgroup_info 0
		.amdhsa_system_vgpr_workitem_id 1
		.amdhsa_next_free_vgpr 118
		.amdhsa_next_free_sgpr 36
		.amdhsa_named_barrier_count 0
		.amdhsa_reserve_vcc 1
		.amdhsa_float_round_mode_32 0
		.amdhsa_float_round_mode_16_64 0
		.amdhsa_float_denorm_mode_32 3
		.amdhsa_float_denorm_mode_16_64 3
		.amdhsa_fp16_overflow 0
		.amdhsa_memory_ordered 1
		.amdhsa_forward_progress 1
		.amdhsa_inst_pref_size 53
		.amdhsa_round_robin_scheduling 0
		.amdhsa_exception_fp_ieee_invalid_op 0
		.amdhsa_exception_fp_denorm_src 0
		.amdhsa_exception_fp_ieee_div_zero 0
		.amdhsa_exception_fp_ieee_overflow 0
		.amdhsa_exception_fp_ieee_underflow 0
		.amdhsa_exception_fp_ieee_inexact 0
		.amdhsa_exception_int_div_zero 0
	.end_amdhsa_kernel
	.section	.text._ZN2at6native12_GLOBAL__N_135GammaBetaBackwardCUDAKernelTemplateIddLj32ELj1ELj8ELb1ELb0ELb0EEEvllPKT_S5_PKT0_S8_PS3_S9_,"axG",@progbits,_ZN2at6native12_GLOBAL__N_135GammaBetaBackwardCUDAKernelTemplateIddLj32ELj1ELj8ELb1ELb0ELb0EEEvllPKT_S5_PKT0_S8_PS3_S9_,comdat
.Lfunc_end40:
	.size	_ZN2at6native12_GLOBAL__N_135GammaBetaBackwardCUDAKernelTemplateIddLj32ELj1ELj8ELb1ELb0ELb0EEEvllPKT_S5_PKT0_S8_PS3_S9_, .Lfunc_end40-_ZN2at6native12_GLOBAL__N_135GammaBetaBackwardCUDAKernelTemplateIddLj32ELj1ELj8ELb1ELb0ELb0EEEvllPKT_S5_PKT0_S8_PS3_S9_
                                        ; -- End function
	.set _ZN2at6native12_GLOBAL__N_135GammaBetaBackwardCUDAKernelTemplateIddLj32ELj1ELj8ELb1ELb0ELb0EEEvllPKT_S5_PKT0_S8_PS3_S9_.num_vgpr, 118
	.set _ZN2at6native12_GLOBAL__N_135GammaBetaBackwardCUDAKernelTemplateIddLj32ELj1ELj8ELb1ELb0ELb0EEEvllPKT_S5_PKT0_S8_PS3_S9_.num_agpr, 0
	.set _ZN2at6native12_GLOBAL__N_135GammaBetaBackwardCUDAKernelTemplateIddLj32ELj1ELj8ELb1ELb0ELb0EEEvllPKT_S5_PKT0_S8_PS3_S9_.numbered_sgpr, 36
	.set _ZN2at6native12_GLOBAL__N_135GammaBetaBackwardCUDAKernelTemplateIddLj32ELj1ELj8ELb1ELb0ELb0EEEvllPKT_S5_PKT0_S8_PS3_S9_.num_named_barrier, 0
	.set _ZN2at6native12_GLOBAL__N_135GammaBetaBackwardCUDAKernelTemplateIddLj32ELj1ELj8ELb1ELb0ELb0EEEvllPKT_S5_PKT0_S8_PS3_S9_.private_seg_size, 0
	.set _ZN2at6native12_GLOBAL__N_135GammaBetaBackwardCUDAKernelTemplateIddLj32ELj1ELj8ELb1ELb0ELb0EEEvllPKT_S5_PKT0_S8_PS3_S9_.uses_vcc, 1
	.set _ZN2at6native12_GLOBAL__N_135GammaBetaBackwardCUDAKernelTemplateIddLj32ELj1ELj8ELb1ELb0ELb0EEEvllPKT_S5_PKT0_S8_PS3_S9_.uses_flat_scratch, 0
	.set _ZN2at6native12_GLOBAL__N_135GammaBetaBackwardCUDAKernelTemplateIddLj32ELj1ELj8ELb1ELb0ELb0EEEvllPKT_S5_PKT0_S8_PS3_S9_.has_dyn_sized_stack, 0
	.set _ZN2at6native12_GLOBAL__N_135GammaBetaBackwardCUDAKernelTemplateIddLj32ELj1ELj8ELb1ELb0ELb0EEEvllPKT_S5_PKT0_S8_PS3_S9_.has_recursion, 0
	.set _ZN2at6native12_GLOBAL__N_135GammaBetaBackwardCUDAKernelTemplateIddLj32ELj1ELj8ELb1ELb0ELb0EEEvllPKT_S5_PKT0_S8_PS3_S9_.has_indirect_call, 0
	.section	.AMDGPU.csdata,"",@progbits
; Kernel info:
; codeLenInByte = 6724
; TotalNumSgprs: 38
; NumVgprs: 118
; ScratchSize: 0
; MemoryBound: 1
; FloatMode: 240
; IeeeMode: 1
; LDSByteSize: 0 bytes/workgroup (compile time only)
; SGPRBlocks: 0
; VGPRBlocks: 7
; NumSGPRsForWavesPerEU: 38
; NumVGPRsForWavesPerEU: 118
; NamedBarCnt: 0
; Occupancy: 8
; WaveLimiterHint : 0
; COMPUTE_PGM_RSRC2:SCRATCH_EN: 0
; COMPUTE_PGM_RSRC2:USER_SGPR: 2
; COMPUTE_PGM_RSRC2:TRAP_HANDLER: 0
; COMPUTE_PGM_RSRC2:TGID_X_EN: 1
; COMPUTE_PGM_RSRC2:TGID_Y_EN: 1
; COMPUTE_PGM_RSRC2:TGID_Z_EN: 0
; COMPUTE_PGM_RSRC2:TIDIG_COMP_CNT: 1
	.section	.text._ZN2at6native12_GLOBAL__N_135GammaBetaBackwardCUDAKernelTemplateIddLj32ELj8ELj64ELb0ELb1ELb0EEEvllPKT_S5_PKT0_S8_PS3_S9_,"axG",@progbits,_ZN2at6native12_GLOBAL__N_135GammaBetaBackwardCUDAKernelTemplateIddLj32ELj8ELj64ELb0ELb1ELb0EEEvllPKT_S5_PKT0_S8_PS3_S9_,comdat
	.globl	_ZN2at6native12_GLOBAL__N_135GammaBetaBackwardCUDAKernelTemplateIddLj32ELj8ELj64ELb0ELb1ELb0EEEvllPKT_S5_PKT0_S8_PS3_S9_ ; -- Begin function _ZN2at6native12_GLOBAL__N_135GammaBetaBackwardCUDAKernelTemplateIddLj32ELj8ELj64ELb0ELb1ELb0EEEvllPKT_S5_PKT0_S8_PS3_S9_
	.p2align	8
	.type	_ZN2at6native12_GLOBAL__N_135GammaBetaBackwardCUDAKernelTemplateIddLj32ELj8ELj64ELb0ELb1ELb0EEEvllPKT_S5_PKT0_S8_PS3_S9_,@function
_ZN2at6native12_GLOBAL__N_135GammaBetaBackwardCUDAKernelTemplateIddLj32ELj8ELj64ELb0ELb1ELb0EEEvllPKT_S5_PKT0_S8_PS3_S9_: ; @_ZN2at6native12_GLOBAL__N_135GammaBetaBackwardCUDAKernelTemplateIddLj32ELj8ELj64ELb0ELb1ELb0EEEvllPKT_S5_PKT0_S8_PS3_S9_
; %bb.0:
	s_load_b128 s[12:15], s[0:1], 0x0
	s_bfe_u32 s2, ttmp6, 0x40010
	s_bfe_u32 s4, ttmp6, 0x40004
	s_add_co_i32 s2, s2, 1
	s_getreg_b32 s3, hwreg(HW_REG_IB_STS2, 6, 4)
	s_mul_i32 s2, ttmp7, s2
	s_mov_b32 s17, 0
	s_add_co_i32 s4, s4, s2
	s_cmp_eq_u32 s3, 0
	v_bfe_u32 v17, v0, 10, 10
	s_cselect_b32 s2, ttmp7, s4
	s_delay_alu instid0(SALU_CYCLE_1)
	s_lshl_b32 s16, s2, 6
	s_wait_kmcnt 0x0
	v_cmp_gt_i64_e64 s2, s[12:13], s[16:17]
	s_and_b32 vcc_lo, exec_lo, s2
	s_cbranch_vccnz .LBB41_2
; %bb.1:
	v_bfe_u32 v1, v0, 10, 10
	s_mov_b32 s2, s17
	s_branch .LBB41_3
.LBB41_2:
	s_mov_b32 s2, -1
                                        ; implicit-def: $vgpr1
.LBB41_3:
	v_mov_b64_e32 v[14:15], 0
	v_mov_b64_e32 v[2:3], 0
	v_and_b32_e32 v16, 0x3ff, v0
	s_and_not1_b32 vcc_lo, exec_lo, s2
	s_cbranch_vccnz .LBB41_11
; %bb.4:
	v_dual_mov_b32 v1, 0 :: v_dual_lshlrev_b32 v0, 3, v17
	s_load_b32 s2, s[0:1], 0x4c
	s_bfe_u32 s21, ttmp6, 0x4000c
	s_clause 0x1
	s_load_b32 s18, s[0:1], 0x44
	s_load_b256 s[4:11], s[0:1], 0x10
	s_add_co_i32 s21, s21, 1
	v_add_nc_u64_e32 v[2:3], s[16:17], v[0:1]
	s_and_b32 s20, ttmp6, 15
	s_mul_i32 s21, ttmp9, s21
	v_dual_mov_b32 v19, 12 :: v_dual_mov_b32 v7, v1
	s_add_co_i32 s20, s20, s21
	v_mov_b64_e32 v[14:15], 0
	s_delay_alu instid0(VALU_DEP_3)
	v_mul_u64_e32 v[8:9], s[14:15], v[2:3]
	s_mov_b32 s19, 0
	v_dual_mov_b32 v0, 8 :: v_dual_mov_b32 v18, 4
	v_dual_mov_b32 v20, 16 :: v_dual_mov_b32 v21, 20
	;; [unrolled: 1-line block ×3, first 2 shown]
	s_wait_kmcnt 0x0
	s_and_b32 s2, s2, 0xffff
	s_cmp_eq_u32 s3, 0
	v_mad_u32_u24 v4, v17, s2, v16
	v_mov_b32_e32 v11, v1
	s_cselect_b32 s2, ttmp9, s20
	s_lshl_b32 s18, s18, 6
	v_lshl_add_u32 v10, s2, 5, v16
	v_and_b32_e32 v6, 31, v4
	s_mul_u64 s[22:23], s[14:15], s[18:19]
	s_lshl_b64 s[20:21], s[18:19], 3
	s_lshl_b64 s[22:23], s[22:23], 3
	v_lshlrev_b64_e32 v[10:11], 3, v[10:11]
	v_add_nc_u64_e32 v[4:5], v[2:3], v[6:7]
	v_mov_b64_e32 v[2:3], 0
	v_cmp_gt_u32_e64 s2, 8, v6
	s_lshl_b64 s[14:15], s[14:15], 3
	v_lshlrev_b64_e32 v[6:7], 3, v[4:5]
	v_lshl_add_u64 v[8:9], v[8:9], 3, v[10:11]
	s_branch .LBB41_7
.LBB41_5:                               ;   in Loop: Header=BB41_7 Depth=1
	s_wait_xcnt 0x0
	s_or_b32 exec_lo, exec_lo, s25
.LBB41_6:                               ;   in Loop: Header=BB41_7 Depth=1
	s_delay_alu instid0(SALU_CYCLE_1)
	s_or_b32 exec_lo, exec_lo, s24
	v_add_nc_u64_e32 v[24:25], s[6:7], v[8:9]
	v_add_nc_u64_e32 v[28:29], s[4:5], v[8:9]
	s_wait_loadcnt 0x0
	ds_bpermute_b32 v58, v1, v10
	ds_bpermute_b32 v59, v1, v11
	s_add_nc_u64 s[16:17], s[16:17], s[18:19]
	v_add_nc_u64_e32 v[6:7], s[20:21], v[6:7]
	v_cmp_lt_i64_e64 s24, s[16:17], s[12:13]
	global_load_b64 v[26:27], v[24:25], off
	s_wait_xcnt 0x0
	v_add_nc_u64_e32 v[24:25], s[14:15], v[24:25]
	v_add_nc_u64_e32 v[4:5], s[18:19], v[4:5]
	;; [unrolled: 1-line block ×3, first 2 shown]
	global_load_b64 v[30:31], v[24:25], off
	global_load_b64 v[32:33], v[28:29], off
	s_wait_xcnt 0x1
	v_add_nc_u64_e32 v[24:25], s[14:15], v[24:25]
	s_wait_xcnt 0x0
	v_add_nc_u64_e32 v[28:29], s[14:15], v[28:29]
	s_and_b32 vcc_lo, exec_lo, s24
	global_load_b64 v[34:35], v[24:25], off
	global_load_b64 v[36:37], v[28:29], off
	s_wait_xcnt 0x1
	v_add_nc_u64_e32 v[24:25], s[14:15], v[24:25]
	s_wait_xcnt 0x0
	v_add_nc_u64_e32 v[28:29], s[14:15], v[28:29]
	global_load_b64 v[38:39], v[24:25], off
	global_load_b64 v[40:41], v[28:29], off
	s_wait_xcnt 0x1
	v_add_nc_u64_e32 v[24:25], s[14:15], v[24:25]
	s_wait_xcnt 0x0
	v_add_nc_u64_e32 v[28:29], s[14:15], v[28:29]
	;; [unrolled: 6-line block ×5, first 2 shown]
	global_load_b64 v[54:55], v[24:25], off
	global_load_b64 v[56:57], v[28:29], off
	s_wait_xcnt 0x1
	v_add_nc_u64_e32 v[24:25], s[14:15], v[28:29]
	s_wait_xcnt 0x0
	ds_bpermute_b32 v28, v1, v12
	ds_bpermute_b32 v29, v1, v13
	global_load_b64 v[24:25], v[24:25], off
	s_wait_loadcnt_dscnt 0xf00
	v_add_f64_e64 v[26:27], v[26:27], -v[28:29]
	ds_bpermute_b32 v28, v18, v12
	ds_bpermute_b32 v29, v18, v13
	s_wait_loadcnt 0xd
	v_add_f64_e32 v[14:15], v[14:15], v[32:33]
	s_wait_dscnt 0x0
	v_add_f64_e64 v[28:29], v[30:31], -v[28:29]
	ds_bpermute_b32 v30, v0, v12
	ds_bpermute_b32 v31, v0, v13
	v_mul_f64_e32 v[26:27], v[32:33], v[26:27]
	ds_bpermute_b32 v32, v18, v10
	ds_bpermute_b32 v33, v18, v11
	s_wait_loadcnt 0xb
	v_add_f64_e32 v[14:15], v[14:15], v[36:37]
	s_wait_dscnt 0x2
	v_add_f64_e64 v[30:31], v[34:35], -v[30:31]
	v_mul_f64_e32 v[28:29], v[36:37], v[28:29]
	v_fmac_f64_e32 v[2:3], v[26:27], v[58:59]
	ds_bpermute_b32 v26, v19, v12
	ds_bpermute_b32 v27, v19, v13
	s_wait_loadcnt 0x9
	v_add_f64_e32 v[14:15], v[14:15], v[40:41]
	v_mul_f64_e32 v[30:31], v[40:41], v[30:31]
	s_wait_dscnt 0x0
	v_add_f64_e64 v[26:27], v[38:39], -v[26:27]
	v_fmac_f64_e32 v[2:3], v[28:29], v[32:33]
	ds_bpermute_b32 v28, v20, v12
	ds_bpermute_b32 v29, v20, v13
	;; [unrolled: 1-line block ×4, first 2 shown]
	s_wait_loadcnt 0x7
	v_add_f64_e32 v[14:15], v[14:15], v[44:45]
	s_wait_dscnt 0x2
	v_add_f64_e64 v[28:29], v[42:43], -v[28:29]
	v_mul_f64_e32 v[26:27], v[44:45], v[26:27]
	s_wait_dscnt 0x0
	v_fmac_f64_e32 v[2:3], v[30:31], v[32:33]
	ds_bpermute_b32 v30, v21, v12
	ds_bpermute_b32 v31, v21, v13
	;; [unrolled: 1-line block ×4, first 2 shown]
	s_wait_loadcnt 0x5
	v_add_f64_e32 v[14:15], v[14:15], v[48:49]
	s_wait_dscnt 0x2
	v_add_f64_e64 v[30:31], v[46:47], -v[30:31]
	v_mul_f64_e32 v[28:29], v[48:49], v[28:29]
	s_wait_dscnt 0x0
	v_fmac_f64_e32 v[2:3], v[26:27], v[32:33]
	ds_bpermute_b32 v26, v22, v12
	ds_bpermute_b32 v27, v22, v13
	;; [unrolled: 1-line block ×6, first 2 shown]
	s_wait_loadcnt 0x3
	v_add_f64_e32 v[14:15], v[14:15], v[52:53]
	s_wait_dscnt 0x4
	v_add_f64_e64 v[26:27], v[50:51], -v[26:27]
	v_mul_f64_e32 v[30:31], v[52:53], v[30:31]
	s_wait_loadcnt_dscnt 0x200
	v_add_f64_e64 v[12:13], v[54:55], -v[12:13]
	v_fmac_f64_e32 v[2:3], v[28:29], v[32:33]
	ds_bpermute_b32 v28, v21, v10
	ds_bpermute_b32 v29, v21, v11
	s_wait_loadcnt 0x1
	v_add_f64_e32 v[14:15], v[14:15], v[56:57]
	v_mul_f64_e32 v[26:27], v[56:57], v[26:27]
	s_wait_loadcnt 0x0
	v_mul_f64_e32 v[12:13], v[24:25], v[12:13]
	s_wait_dscnt 0x0
	v_fmac_f64_e32 v[2:3], v[30:31], v[28:29]
	ds_bpermute_b32 v28, v22, v10
	ds_bpermute_b32 v29, v22, v11
	;; [unrolled: 1-line block ×4, first 2 shown]
	v_add_f64_e32 v[14:15], v[14:15], v[24:25]
	s_wait_dscnt 0x2
	v_fmac_f64_e32 v[2:3], v[26:27], v[28:29]
	s_wait_dscnt 0x0
	s_delay_alu instid0(VALU_DEP_1)
	v_fmac_f64_e32 v[2:3], v[12:13], v[10:11]
	s_cbranch_vccz .LBB41_10
.LBB41_7:                               ; =>This Inner Loop Header: Depth=1
	v_mov_b64_e32 v[10:11], 0
	v_mov_b64_e32 v[12:13], 0
	s_and_saveexec_b32 s24, s2
	s_cbranch_execz .LBB41_6
; %bb.8:                                ;   in Loop: Header=BB41_7 Depth=1
	v_mov_b64_e32 v[12:13], 0
	v_mov_b64_e32 v[10:11], 0
	s_mov_b32 s25, exec_lo
	v_cmpx_gt_i64_e64 s[12:13], v[4:5]
	s_cbranch_execz .LBB41_5
; %bb.9:                                ;   in Loop: Header=BB41_7 Depth=1
	v_add_nc_u64_e32 v[24:25], s[8:9], v[6:7]
	v_add_nc_u64_e32 v[26:27], s[10:11], v[6:7]
	global_load_b64 v[12:13], v[24:25], off
	global_load_b64 v[10:11], v[26:27], off
	s_branch .LBB41_5
.LBB41_10:
	v_mov_b32_e32 v1, v17
.LBB41_11:
	s_load_b128 s[4:7], s[0:1], 0x30
	s_delay_alu instid0(VALU_DEP_1) | instskip(SKIP_3) | instid1(VALU_DEP_2)
	v_mad_u32_u24 v0, v1, 33, v16
	v_lshrrev_b32_e32 v4, 5, v16
	s_wait_xcnt 0x0
	s_mov_b32 s0, exec_lo
	v_lshl_add_u32 v5, v0, 3, 0
	s_delay_alu instid0(VALU_DEP_2)
	v_add_nc_u32_e32 v0, v4, v1
	ds_store_b64 v5, v[2:3]
	ds_store_b64 v5, v[14:15] offset:2112
	s_wait_dscnt 0x0
	s_barrier_signal -1
	s_barrier_wait -1
	v_cmpx_gt_u32_e32 32, v0
	s_cbranch_execz .LBB41_43
; %bb.12:
	v_and_b32_e32 v1, 31, v16
                                        ; implicit-def: $vgpr2_vgpr3
                                        ; implicit-def: $vgpr4_vgpr5
	s_delay_alu instid0(VALU_DEP_1)
	v_cmp_gt_u32_e64 s0, 8, v1
	v_mul_u32_u24_e32 v8, 33, v1
	s_and_saveexec_b32 s1, s0
	s_cbranch_execz .LBB41_14
; %bb.13:
	s_delay_alu instid0(VALU_DEP_1) | instskip(NEXT) | instid1(VALU_DEP_1)
	v_add_nc_u32_e32 v1, v0, v8
	v_lshl_add_u32 v1, v1, 3, 0
	ds_load_b64 v[4:5], v1
	ds_load_b64 v[2:3], v1 offset:2112
.LBB41_14:
	s_or_b32 exec_lo, exec_lo, s1
	v_mbcnt_lo_u32_b32 v1, -1, 0
	s_bfe_u32 s1, ttmp6, 0x4000c
	s_and_b32 s2, ttmp6, 15
	s_add_co_i32 s1, s1, 1
	s_delay_alu instid0(SALU_CYCLE_1)
	s_mul_i32 s1, ttmp9, s1
	v_xor_b32_e32 v6, 4, v1
	s_add_co_i32 s2, s2, s1
	s_cmp_eq_u32 s3, 0
	s_mov_b32 s3, 0
	s_cselect_b32 s2, ttmp9, s2
	v_cmp_gt_i32_e32 vcc_lo, 32, v6
	s_lshl_b64 s[2:3], s[2:3], 5
	s_wait_kmcnt 0x0
	s_cmp_lg_u64 s[4:5], 0
	v_cmp_eq_u32_e64 s1, 0, v16
	s_cselect_b32 s9, -1, 0
	v_cndmask_b32_e32 v6, v1, v6, vcc_lo
	s_cmp_lg_u64 s[6:7], 0
	s_cselect_b32 s8, -1, 0
	s_delay_alu instid0(VALU_DEP_1)
	v_lshlrev_b32_e32 v9, 2, v6
	s_wait_dscnt 0x1
	ds_bpermute_b32 v6, v9, v4
	ds_bpermute_b32 v7, v9, v5
	s_wait_dscnt 0x0
	v_dual_add_f64 v[4:5], v[4:5], v[6:7] :: v_dual_bitop2_b32 v6, 2, v1 bitop3:0x14
	ds_bpermute_b32 v10, v9, v2
	ds_bpermute_b32 v11, v9, v3
	v_cmp_gt_i32_e32 vcc_lo, 32, v6
	v_cndmask_b32_e32 v6, v1, v6, vcc_lo
	s_wait_dscnt 0x0
	v_add_f64_e32 v[2:3], v[2:3], v[10:11]
	s_delay_alu instid0(VALU_DEP_2)
	v_lshlrev_b32_e32 v10, 2, v6
	ds_bpermute_b32 v6, v10, v4
	ds_bpermute_b32 v7, v10, v5
	s_wait_dscnt 0x0
	v_add_f64_e32 v[4:5], v[4:5], v[6:7]
	ds_bpermute_b32 v12, v10, v2
	ds_bpermute_b32 v13, v10, v3
	s_wait_dscnt 0x0
	v_add_f64_e32 v[6:7], v[2:3], v[12:13]
	v_xor_b32_e32 v2, 1, v1
	s_delay_alu instid0(VALU_DEP_1) | instskip(SKIP_1) | instid1(VALU_DEP_1)
	v_cmp_gt_i32_e32 vcc_lo, 32, v2
	v_cndmask_b32_e32 v1, v1, v2, vcc_lo
	v_dual_lshlrev_b32 v11, 2, v1 :: v_dual_mov_b32 v1, 0
	ds_bpermute_b32 v2, v11, v4
	ds_bpermute_b32 v3, v11, v5
	;; [unrolled: 1-line block ×4, first 2 shown]
	s_wait_dscnt 0x2
	v_add_f64_e32 v[2:3], v[4:5], v[2:3]
	s_wait_dscnt 0x0
	v_add_f64_e32 v[4:5], v[6:7], v[12:13]
	s_and_saveexec_b32 s10, s1
	s_cbranch_execz .LBB41_19
; %bb.15:
	v_dual_mov_b32 v7, s3 :: v_dual_bitop2_b32 v6, s2, v0 bitop3:0x54
	s_and_not1_b32 vcc_lo, exec_lo, s9
	s_cbranch_vccnz .LBB41_17
; %bb.16:
	s_delay_alu instid0(VALU_DEP_1)
	v_lshl_add_u64 v[12:13], v[6:7], 3, s[4:5]
	global_store_b64 v[12:13], v[2:3], off
.LBB41_17:
	s_and_not1_b32 vcc_lo, exec_lo, s8
	s_cbranch_vccnz .LBB41_19
; %bb.18:
	v_lshl_add_u64 v[6:7], v[6:7], 3, s[6:7]
	global_store_b64 v[6:7], v[4:5], off
.LBB41_19:
	s_wait_xcnt 0x0
	s_or_b32 exec_lo, exec_lo, s10
	v_cmp_gt_u32_e32 vcc_lo, 24, v0
	s_and_b32 exec_lo, exec_lo, vcc_lo
	s_cbranch_execz .LBB41_43
; %bb.20:
	s_and_saveexec_b32 s10, s0
	s_cbranch_execz .LBB41_22
; %bb.21:
	v_add_nc_u32_e32 v2, v0, v8
	s_delay_alu instid0(VALU_DEP_1)
	v_lshl_add_u32 v4, v2, 3, 0
	ds_load_b64 v[2:3], v4 offset:64
	ds_load_b64 v[4:5], v4 offset:2176
.LBB41_22:
	s_or_b32 exec_lo, exec_lo, s10
	s_wait_dscnt 0x1
	ds_bpermute_b32 v6, v9, v2
	ds_bpermute_b32 v7, v9, v3
	s_wait_dscnt 0x2
	ds_bpermute_b32 v12, v9, v4
	ds_bpermute_b32 v13, v9, v5
	s_wait_dscnt 0x2
	v_add_f64_e32 v[2:3], v[2:3], v[6:7]
	s_wait_dscnt 0x0
	v_add_f64_e32 v[4:5], v[4:5], v[12:13]
	ds_bpermute_b32 v6, v10, v2
	ds_bpermute_b32 v7, v10, v3
	;; [unrolled: 1-line block ×4, first 2 shown]
	s_wait_dscnt 0x2
	v_add_f64_e32 v[2:3], v[2:3], v[6:7]
	s_wait_dscnt 0x0
	v_add_f64_e32 v[4:5], v[4:5], v[12:13]
	ds_bpermute_b32 v6, v11, v2
	ds_bpermute_b32 v7, v11, v3
	ds_bpermute_b32 v12, v11, v4
	ds_bpermute_b32 v13, v11, v5
	s_wait_dscnt 0x2
	v_add_f64_e32 v[2:3], v[2:3], v[6:7]
	s_wait_dscnt 0x0
	v_add_f64_e32 v[4:5], v[4:5], v[12:13]
	s_and_saveexec_b32 s10, s1
	s_cbranch_execz .LBB41_27
; %bb.23:
	s_and_not1_b32 vcc_lo, exec_lo, s9
	s_cbranch_vccnz .LBB41_25
; %bb.24:
	v_add_nc_u64_e32 v[6:7], s[2:3], v[0:1]
	s_delay_alu instid0(VALU_DEP_1)
	v_lshl_add_u64 v[6:7], v[6:7], 3, s[4:5]
	global_store_b64 v[6:7], v[2:3], off offset:64
.LBB41_25:
	s_and_not1_b32 vcc_lo, exec_lo, s8
	s_cbranch_vccnz .LBB41_27
; %bb.26:
	s_wait_xcnt 0x0
	v_add_nc_u64_e32 v[6:7], s[2:3], v[0:1]
	s_delay_alu instid0(VALU_DEP_1)
	v_lshl_add_u64 v[6:7], v[6:7], 3, s[6:7]
	global_store_b64 v[6:7], v[4:5], off offset:64
.LBB41_27:
	s_wait_xcnt 0x0
	s_or_b32 exec_lo, exec_lo, s10
	v_cmp_gt_u32_e32 vcc_lo, 16, v0
	s_and_b32 exec_lo, exec_lo, vcc_lo
	s_cbranch_execz .LBB41_43
; %bb.28:
	s_and_saveexec_b32 s10, s0
	s_cbranch_execz .LBB41_30
; %bb.29:
	v_add_nc_u32_e32 v2, v0, v8
	s_delay_alu instid0(VALU_DEP_1)
	v_lshl_add_u32 v4, v2, 3, 0
	ds_load_b64 v[2:3], v4 offset:128
	ds_load_b64 v[4:5], v4 offset:2240
.LBB41_30:
	s_or_b32 exec_lo, exec_lo, s10
	s_wait_dscnt 0x1
	ds_bpermute_b32 v6, v9, v2
	ds_bpermute_b32 v7, v9, v3
	s_wait_dscnt 0x2
	ds_bpermute_b32 v12, v9, v4
	ds_bpermute_b32 v13, v9, v5
	s_wait_dscnt 0x2
	v_add_f64_e32 v[2:3], v[2:3], v[6:7]
	s_wait_dscnt 0x0
	v_add_f64_e32 v[4:5], v[4:5], v[12:13]
	ds_bpermute_b32 v6, v10, v2
	ds_bpermute_b32 v7, v10, v3
	;; [unrolled: 1-line block ×4, first 2 shown]
	s_wait_dscnt 0x2
	v_add_f64_e32 v[2:3], v[2:3], v[6:7]
	s_wait_dscnt 0x0
	v_add_f64_e32 v[4:5], v[4:5], v[12:13]
	ds_bpermute_b32 v6, v11, v2
	ds_bpermute_b32 v7, v11, v3
	ds_bpermute_b32 v12, v11, v4
	ds_bpermute_b32 v13, v11, v5
	s_wait_dscnt 0x2
	v_add_f64_e32 v[2:3], v[2:3], v[6:7]
	s_wait_dscnt 0x0
	v_add_f64_e32 v[4:5], v[4:5], v[12:13]
	s_and_saveexec_b32 s10, s1
	s_cbranch_execz .LBB41_35
; %bb.31:
	s_and_not1_b32 vcc_lo, exec_lo, s9
	s_cbranch_vccnz .LBB41_33
; %bb.32:
	v_add_nc_u64_e32 v[6:7], s[2:3], v[0:1]
	s_delay_alu instid0(VALU_DEP_1)
	v_lshl_add_u64 v[6:7], v[6:7], 3, s[4:5]
	global_store_b64 v[6:7], v[2:3], off offset:128
.LBB41_33:
	s_and_not1_b32 vcc_lo, exec_lo, s8
	s_cbranch_vccnz .LBB41_35
; %bb.34:
	s_wait_xcnt 0x0
	v_add_nc_u64_e32 v[6:7], s[2:3], v[0:1]
	s_delay_alu instid0(VALU_DEP_1)
	v_lshl_add_u64 v[6:7], v[6:7], 3, s[6:7]
	global_store_b64 v[6:7], v[4:5], off offset:128
.LBB41_35:
	s_wait_xcnt 0x0
	s_or_b32 exec_lo, exec_lo, s10
	v_cmp_gt_u32_e32 vcc_lo, 8, v0
	s_and_b32 exec_lo, exec_lo, vcc_lo
	s_cbranch_execz .LBB41_43
; %bb.36:
	s_and_saveexec_b32 s10, s0
	s_cbranch_execz .LBB41_38
; %bb.37:
	v_add_nc_u32_e32 v2, v0, v8
	s_delay_alu instid0(VALU_DEP_1)
	v_lshl_add_u32 v4, v2, 3, 0
	ds_load_b64 v[2:3], v4 offset:192
	ds_load_b64 v[4:5], v4 offset:2304
.LBB41_38:
	s_or_b32 exec_lo, exec_lo, s10
	s_wait_dscnt 0x1
	ds_bpermute_b32 v6, v9, v2
	ds_bpermute_b32 v7, v9, v3
	s_wait_dscnt 0x2
	ds_bpermute_b32 v8, v9, v4
	ds_bpermute_b32 v9, v9, v5
	s_wait_dscnt 0x2
	v_add_f64_e32 v[2:3], v[2:3], v[6:7]
	s_wait_dscnt 0x0
	v_add_f64_e32 v[4:5], v[4:5], v[8:9]
	ds_bpermute_b32 v6, v10, v2
	ds_bpermute_b32 v7, v10, v3
	;; [unrolled: 1-line block ×4, first 2 shown]
	s_wait_dscnt 0x2
	v_add_f64_e32 v[6:7], v[2:3], v[6:7]
	s_wait_dscnt 0x0
	v_add_f64_e32 v[2:3], v[4:5], v[8:9]
	ds_bpermute_b32 v8, v11, v6
	ds_bpermute_b32 v9, v11, v7
	;; [unrolled: 1-line block ×4, first 2 shown]
	s_and_b32 exec_lo, exec_lo, s1
	s_cbranch_execz .LBB41_43
; %bb.39:
	v_add_nc_u64_e32 v[0:1], s[2:3], v[0:1]
	s_and_not1_b32 vcc_lo, exec_lo, s9
	s_cbranch_vccnz .LBB41_41
; %bb.40:
	s_wait_dscnt 0x2
	v_add_f64_e32 v[6:7], v[6:7], v[8:9]
	s_delay_alu instid0(VALU_DEP_2)
	v_lshl_add_u64 v[8:9], v[0:1], 3, s[4:5]
	global_store_b64 v[8:9], v[6:7], off offset:192
.LBB41_41:
	s_and_not1_b32 vcc_lo, exec_lo, s8
	s_cbranch_vccnz .LBB41_43
; %bb.42:
	s_wait_dscnt 0x0
	v_add_f64_e32 v[2:3], v[2:3], v[4:5]
	v_lshl_add_u64 v[0:1], v[0:1], 3, s[6:7]
	global_store_b64 v[0:1], v[2:3], off offset:192
.LBB41_43:
	s_endpgm
	.section	.rodata,"a",@progbits
	.p2align	6, 0x0
	.amdhsa_kernel _ZN2at6native12_GLOBAL__N_135GammaBetaBackwardCUDAKernelTemplateIddLj32ELj8ELj64ELb0ELb1ELb0EEEvllPKT_S5_PKT0_S8_PS3_S9_
		.amdhsa_group_segment_fixed_size 0
		.amdhsa_private_segment_fixed_size 0
		.amdhsa_kernarg_size 320
		.amdhsa_user_sgpr_count 2
		.amdhsa_user_sgpr_dispatch_ptr 0
		.amdhsa_user_sgpr_queue_ptr 0
		.amdhsa_user_sgpr_kernarg_segment_ptr 1
		.amdhsa_user_sgpr_dispatch_id 0
		.amdhsa_user_sgpr_kernarg_preload_length 0
		.amdhsa_user_sgpr_kernarg_preload_offset 0
		.amdhsa_user_sgpr_private_segment_size 0
		.amdhsa_wavefront_size32 1
		.amdhsa_uses_dynamic_stack 0
		.amdhsa_enable_private_segment 0
		.amdhsa_system_sgpr_workgroup_id_x 1
		.amdhsa_system_sgpr_workgroup_id_y 1
		.amdhsa_system_sgpr_workgroup_id_z 0
		.amdhsa_system_sgpr_workgroup_info 0
		.amdhsa_system_vgpr_workitem_id 1
		.amdhsa_next_free_vgpr 60
		.amdhsa_next_free_sgpr 26
		.amdhsa_named_barrier_count 0
		.amdhsa_reserve_vcc 1
		.amdhsa_float_round_mode_32 0
		.amdhsa_float_round_mode_16_64 0
		.amdhsa_float_denorm_mode_32 3
		.amdhsa_float_denorm_mode_16_64 3
		.amdhsa_fp16_overflow 0
		.amdhsa_memory_ordered 1
		.amdhsa_forward_progress 1
		.amdhsa_inst_pref_size 22
		.amdhsa_round_robin_scheduling 0
		.amdhsa_exception_fp_ieee_invalid_op 0
		.amdhsa_exception_fp_denorm_src 0
		.amdhsa_exception_fp_ieee_div_zero 0
		.amdhsa_exception_fp_ieee_overflow 0
		.amdhsa_exception_fp_ieee_underflow 0
		.amdhsa_exception_fp_ieee_inexact 0
		.amdhsa_exception_int_div_zero 0
	.end_amdhsa_kernel
	.section	.text._ZN2at6native12_GLOBAL__N_135GammaBetaBackwardCUDAKernelTemplateIddLj32ELj8ELj64ELb0ELb1ELb0EEEvllPKT_S5_PKT0_S8_PS3_S9_,"axG",@progbits,_ZN2at6native12_GLOBAL__N_135GammaBetaBackwardCUDAKernelTemplateIddLj32ELj8ELj64ELb0ELb1ELb0EEEvllPKT_S5_PKT0_S8_PS3_S9_,comdat
.Lfunc_end41:
	.size	_ZN2at6native12_GLOBAL__N_135GammaBetaBackwardCUDAKernelTemplateIddLj32ELj8ELj64ELb0ELb1ELb0EEEvllPKT_S5_PKT0_S8_PS3_S9_, .Lfunc_end41-_ZN2at6native12_GLOBAL__N_135GammaBetaBackwardCUDAKernelTemplateIddLj32ELj8ELj64ELb0ELb1ELb0EEEvllPKT_S5_PKT0_S8_PS3_S9_
                                        ; -- End function
	.set _ZN2at6native12_GLOBAL__N_135GammaBetaBackwardCUDAKernelTemplateIddLj32ELj8ELj64ELb0ELb1ELb0EEEvllPKT_S5_PKT0_S8_PS3_S9_.num_vgpr, 60
	.set _ZN2at6native12_GLOBAL__N_135GammaBetaBackwardCUDAKernelTemplateIddLj32ELj8ELj64ELb0ELb1ELb0EEEvllPKT_S5_PKT0_S8_PS3_S9_.num_agpr, 0
	.set _ZN2at6native12_GLOBAL__N_135GammaBetaBackwardCUDAKernelTemplateIddLj32ELj8ELj64ELb0ELb1ELb0EEEvllPKT_S5_PKT0_S8_PS3_S9_.numbered_sgpr, 26
	.set _ZN2at6native12_GLOBAL__N_135GammaBetaBackwardCUDAKernelTemplateIddLj32ELj8ELj64ELb0ELb1ELb0EEEvllPKT_S5_PKT0_S8_PS3_S9_.num_named_barrier, 0
	.set _ZN2at6native12_GLOBAL__N_135GammaBetaBackwardCUDAKernelTemplateIddLj32ELj8ELj64ELb0ELb1ELb0EEEvllPKT_S5_PKT0_S8_PS3_S9_.private_seg_size, 0
	.set _ZN2at6native12_GLOBAL__N_135GammaBetaBackwardCUDAKernelTemplateIddLj32ELj8ELj64ELb0ELb1ELb0EEEvllPKT_S5_PKT0_S8_PS3_S9_.uses_vcc, 1
	.set _ZN2at6native12_GLOBAL__N_135GammaBetaBackwardCUDAKernelTemplateIddLj32ELj8ELj64ELb0ELb1ELb0EEEvllPKT_S5_PKT0_S8_PS3_S9_.uses_flat_scratch, 0
	.set _ZN2at6native12_GLOBAL__N_135GammaBetaBackwardCUDAKernelTemplateIddLj32ELj8ELj64ELb0ELb1ELb0EEEvllPKT_S5_PKT0_S8_PS3_S9_.has_dyn_sized_stack, 0
	.set _ZN2at6native12_GLOBAL__N_135GammaBetaBackwardCUDAKernelTemplateIddLj32ELj8ELj64ELb0ELb1ELb0EEEvllPKT_S5_PKT0_S8_PS3_S9_.has_recursion, 0
	.set _ZN2at6native12_GLOBAL__N_135GammaBetaBackwardCUDAKernelTemplateIddLj32ELj8ELj64ELb0ELb1ELb0EEEvllPKT_S5_PKT0_S8_PS3_S9_.has_indirect_call, 0
	.section	.AMDGPU.csdata,"",@progbits
; Kernel info:
; codeLenInByte = 2724
; TotalNumSgprs: 28
; NumVgprs: 60
; ScratchSize: 0
; MemoryBound: 0
; FloatMode: 240
; IeeeMode: 1
; LDSByteSize: 0 bytes/workgroup (compile time only)
; SGPRBlocks: 0
; VGPRBlocks: 3
; NumSGPRsForWavesPerEU: 28
; NumVGPRsForWavesPerEU: 60
; NamedBarCnt: 0
; Occupancy: 16
; WaveLimiterHint : 0
; COMPUTE_PGM_RSRC2:SCRATCH_EN: 0
; COMPUTE_PGM_RSRC2:USER_SGPR: 2
; COMPUTE_PGM_RSRC2:TRAP_HANDLER: 0
; COMPUTE_PGM_RSRC2:TGID_X_EN: 1
; COMPUTE_PGM_RSRC2:TGID_Y_EN: 1
; COMPUTE_PGM_RSRC2:TGID_Z_EN: 0
; COMPUTE_PGM_RSRC2:TIDIG_COMP_CNT: 1
	.section	.text._ZN2at6native12_GLOBAL__N_135GammaBetaBackwardCUDAKernelTemplateIddLj32ELj8ELj64ELb0ELb0ELb0EEEvllPKT_S5_PKT0_S8_PS3_S9_,"axG",@progbits,_ZN2at6native12_GLOBAL__N_135GammaBetaBackwardCUDAKernelTemplateIddLj32ELj8ELj64ELb0ELb0ELb0EEEvllPKT_S5_PKT0_S8_PS3_S9_,comdat
	.globl	_ZN2at6native12_GLOBAL__N_135GammaBetaBackwardCUDAKernelTemplateIddLj32ELj8ELj64ELb0ELb0ELb0EEEvllPKT_S5_PKT0_S8_PS3_S9_ ; -- Begin function _ZN2at6native12_GLOBAL__N_135GammaBetaBackwardCUDAKernelTemplateIddLj32ELj8ELj64ELb0ELb0ELb0EEEvllPKT_S5_PKT0_S8_PS3_S9_
	.p2align	8
	.type	_ZN2at6native12_GLOBAL__N_135GammaBetaBackwardCUDAKernelTemplateIddLj32ELj8ELj64ELb0ELb0ELb0EEEvllPKT_S5_PKT0_S8_PS3_S9_,@function
_ZN2at6native12_GLOBAL__N_135GammaBetaBackwardCUDAKernelTemplateIddLj32ELj8ELj64ELb0ELb0ELb0EEEvllPKT_S5_PKT0_S8_PS3_S9_: ; @_ZN2at6native12_GLOBAL__N_135GammaBetaBackwardCUDAKernelTemplateIddLj32ELj8ELj64ELb0ELb0ELb0EEEvllPKT_S5_PKT0_S8_PS3_S9_
; %bb.0:
	s_load_b256 s[4:11], s[0:1], 0x0
	s_bfe_u32 s3, ttmp6, 0x4000c
	s_bfe_u32 s12, ttmp6, 0x40010
	s_add_co_i32 s3, s3, 1
	s_add_co_i32 s12, s12, 1
	s_and_b32 s2, ttmp6, 15
	s_bfe_u32 s13, ttmp6, 0x40004
	s_mul_i32 s3, ttmp9, s3
	s_mul_i32 s12, ttmp7, s12
	s_getreg_b32 s14, hwreg(HW_REG_IB_STS2, 6, 4)
	s_add_co_i32 s2, s2, s3
	s_add_co_i32 s3, s13, s12
	s_cmp_eq_u32 s14, 0
	s_mov_b32 s19, 0
	s_cselect_b32 s16, ttmp9, s2
	s_cselect_b32 s2, ttmp7, s3
	s_lshl_b32 s3, s16, 5
	s_load_b128 s[12:15], s[0:1], 0x20
	s_or_b32 s18, s3, 31
	s_wait_kmcnt 0x0
	v_cmp_le_i64_e64 s20, s[6:7], s[18:19]
	s_lshl_b32 s18, s2, 6
	s_delay_alu instid0(SALU_CYCLE_1) | instskip(SKIP_2) | instid1(VALU_DEP_1)
	v_cmp_gt_i64_e64 s17, s[4:5], s[18:19]
	s_and_b32 vcc_lo, exec_lo, s20
	v_cndmask_b32_e64 v1, 0, 1, s17
	v_cmp_ne_u32_e64 s2, 1, v1
	s_cbranch_vccz .LBB42_49
; %bb.1:
	v_mov_b64_e32 v[36:37], 0
	v_mov_b64_e32 v[38:39], 0
	s_and_b32 vcc_lo, exec_lo, s2
	s_cbranch_vccnz .LBB42_50
; %bb.2:
	v_bfe_u32 v1, v0, 10, 10
	v_mov_b32_e32 v2, 0
	v_and_b32_e32 v84, 0x3ff, v0
	s_load_b32 s20, s[0:1], 0x44
	s_mov_b32 s21, 0
	s_delay_alu instid0(VALU_DEP_2) | instskip(NEXT) | instid1(VALU_DEP_2)
	v_dual_mov_b32 v41, v2 :: v_dual_lshlrev_b32 v40, 3, v1
	v_dual_mov_b32 v19, v2 :: v_dual_add_nc_u32 v18, s3, v84
	v_mov_b64_e32 v[76:77], 0
	v_mov_b64_e32 v[36:37], 0
	s_delay_alu instid0(VALU_DEP_4)
	v_add_nc_u64_e32 v[4:5], s[18:19], v[40:41]
	s_mov_b32 s35, s21
	v_cmp_gt_i64_e64 s2, s[6:7], v[18:19]
	v_lshlrev_b64_e32 v[42:43], 3, v[18:19]
	s_mov_b64 s[22:23], 0xffffffffffffffc1
	s_mov_b64 s[24:25], 0xffffffffffffffc2
	;; [unrolled: 1-line block ×3, first 2 shown]
	v_mul_u64_e32 v[6:7], s[6:7], v[4:5]
	v_add_nc_u64_e32 v[8:9], 7, v[4:5]
	v_add_nc_u64_e32 v[10:11], 6, v[4:5]
	;; [unrolled: 1-line block ×6, first 2 shown]
	s_wait_kmcnt 0x0
	s_lshl_b32 s34, s20, 6
	v_mul_u64_e32 v[8:9], s[6:7], v[8:9]
	v_mul_u64_e32 v[10:11], s[6:7], v[10:11]
	;; [unrolled: 1-line block ×6, first 2 shown]
	s_mul_u64 s[44:45], s[6:7], s[34:35]
	s_mov_b64 s[28:29], 0xffffffffffffffc4
	s_mov_b64 s[30:31], 0xffffffffffffffc5
	;; [unrolled: 1-line block ×5, first 2 shown]
	s_add_nc_u64 s[42:43], s[0:1], 64
	s_lshl_b64 s[44:45], s[44:45], 3
	s_add_nc_u64 s[46:47], s[18:19], 63
	s_mov_b64 s[48:49], s[18:19]
	v_lshlrev_b64_e32 v[20:21], 3, v[6:7]
	v_add_nc_u64_e32 v[6:7], s[6:7], v[6:7]
	s_delay_alu instid0(VALU_DEP_2)
	v_add_nc_u64_e32 v[44:45], s[8:9], v[20:21]
	v_lshlrev_b64_e32 v[8:9], 3, v[8:9]
	v_lshlrev_b64_e32 v[10:11], 3, v[10:11]
	;; [unrolled: 1-line block ×7, first 2 shown]
	v_add_nc_u64_e32 v[46:47], s[10:11], v[20:21]
	v_add_nc_u64_e32 v[48:49], s[8:9], v[8:9]
	;; [unrolled: 1-line block ×15, first 2 shown]
.LBB42_3:                               ; =>This Inner Loop Header: Depth=1
	v_cmp_ge_i64_e64 s20, s[46:47], s[4:5]
	v_add_nc_u64_e32 v[78:79], s[46:47], v[40:41]
                                        ; implicit-def: $vgpr4_vgpr5_vgpr6_vgpr7_vgpr8_vgpr9_vgpr10_vgpr11_vgpr12_vgpr13_vgpr14_vgpr15_vgpr16_vgpr17_vgpr18_vgpr19
                                        ; implicit-def: $vgpr82_vgpr83
                                        ; implicit-def: $vgpr20_vgpr21_vgpr22_vgpr23_vgpr24_vgpr25_vgpr26_vgpr27_vgpr28_vgpr29_vgpr30_vgpr31_vgpr32_vgpr33_vgpr34_vgpr35
                                        ; implicit-def: $vgpr6
                                        ; implicit-def: $vgpr4_vgpr5
                                        ; implicit-def: $vgpr38_vgpr39
	s_and_b32 vcc_lo, exec_lo, s20
	s_mov_b32 s20, -1
	s_cbranch_vccz .LBB42_25
; %bb.4:                                ;   in Loop: Header=BB42_3 Depth=1
	s_load_b32 s20, s[42:43], 0xc
	v_mov_b64_e32 v[82:83], 0
	v_mov_b64_e32 v[80:81], 0
	s_wait_kmcnt 0x0
	s_and_b32 s20, s20, 0xffff
	s_delay_alu instid0(SALU_CYCLE_1) | instskip(SKIP_1) | instid1(VALU_DEP_1)
	v_mad_u32_u24 v3, v1, s20, v84
	s_mov_b32 s20, exec_lo
	v_and_b32_e32 v4, 31, v3
	s_delay_alu instid0(VALU_DEP_1)
	v_cmpx_gt_u32_e32 8, v4
	s_cbranch_execz .LBB42_8
; %bb.5:                                ;   in Loop: Header=BB42_3 Depth=1
	v_mov_b32_e32 v5, v2
	v_mov_b64_e32 v[80:81], 0
	v_mov_b64_e32 v[82:83], 0
	s_mov_b32 s33, exec_lo
	s_delay_alu instid0(VALU_DEP_3) | instskip(NEXT) | instid1(VALU_DEP_1)
	v_add_nc_u64_e32 v[4:5], v[78:79], v[4:5]
	v_add_nc_u64_e32 v[4:5], s[22:23], v[4:5]
	s_delay_alu instid0(VALU_DEP_1)
	v_cmpx_gt_i64_e64 s[4:5], v[4:5]
	s_cbranch_execz .LBB42_7
; %bb.6:                                ;   in Loop: Header=BB42_3 Depth=1
	v_lshlrev_b64_e32 v[4:5], 3, v[4:5]
	s_delay_alu instid0(VALU_DEP_1)
	v_add_nc_u64_e32 v[6:7], s[12:13], v[4:5]
	v_add_nc_u64_e32 v[4:5], s[14:15], v[4:5]
	global_load_b64 v[80:81], v[6:7], off
	global_load_b64 v[82:83], v[4:5], off
.LBB42_7:                               ;   in Loop: Header=BB42_3 Depth=1
	s_wait_xcnt 0x0
	s_or_b32 exec_lo, exec_lo, s33
.LBB42_8:                               ;   in Loop: Header=BB42_3 Depth=1
	s_delay_alu instid0(SALU_CYCLE_1)
	s_or_b32 exec_lo, exec_lo, s20
	v_add_nc_u64_e32 v[18:19], s[22:23], v[78:79]
	v_dual_mov_b32 v15, v2 :: v_dual_mov_b32 v16, v2
	v_dual_mov_b32 v17, v2 :: v_dual_mov_b32 v3, v2
	;; [unrolled: 1-line block ×7, first 2 shown]
	v_mov_b32_e32 v14, v2
	v_cmp_gt_i64_e32 vcc_lo, s[4:5], v[18:19]
	v_mov_b64_e32 v[34:35], v[16:17]
	v_mov_b64_e32 v[28:29], v[10:11]
	;; [unrolled: 1-line block ×16, first 2 shown]
	s_and_b32 s33, s2, vcc_lo
	s_delay_alu instid0(SALU_CYCLE_1)
	s_and_saveexec_b32 s20, s33
	s_cbranch_execz .LBB42_10
; %bb.9:                                ;   in Loop: Header=BB42_3 Depth=1
	v_add_nc_u64_e32 v[6:7], v[44:45], v[42:43]
	v_add_nc_u64_e32 v[8:9], v[46:47], v[42:43]
	v_dual_mov_b32 v10, v2 :: v_dual_mov_b32 v11, v2
	v_dual_mov_b32 v12, v2 :: v_dual_mov_b32 v13, v2
	;; [unrolled: 1-line block ×3, first 2 shown]
	global_load_b64 v[4:5], v[6:7], off
	global_load_b64 v[20:21], v[8:9], off
	s_wait_xcnt 0x1
	v_dual_mov_b32 v6, v2 :: v_dual_mov_b32 v7, v2
	s_wait_xcnt 0x0
	v_dual_mov_b32 v8, v2 :: v_dual_mov_b32 v9, v2
	v_dual_mov_b32 v16, v2 :: v_dual_mov_b32 v17, v2
	;; [unrolled: 1-line block ×10, first 2 shown]
.LBB42_10:                              ;   in Loop: Header=BB42_3 Depth=1
	s_or_b32 exec_lo, exec_lo, s20
	v_add_nc_u64_e32 v[38:39], s[24:25], v[78:79]
	s_delay_alu instid0(VALU_DEP_1) | instskip(SKIP_1) | instid1(SALU_CYCLE_1)
	v_cmp_gt_i64_e32 vcc_lo, s[4:5], v[38:39]
	s_and_b32 s33, s2, vcc_lo
	s_and_saveexec_b32 s20, s33
	s_cbranch_execz .LBB42_12
; %bb.11:                               ;   in Loop: Header=BB42_3 Depth=1
	v_add_nc_u64_e32 v[38:39], v[72:73], v[42:43]
	v_add_nc_u64_e32 v[86:87], v[74:75], v[42:43]
	global_load_b64 v[6:7], v[38:39], off
	global_load_b64 v[22:23], v[86:87], off
.LBB42_12:                              ;   in Loop: Header=BB42_3 Depth=1
	s_wait_xcnt 0x0
	s_or_b32 exec_lo, exec_lo, s20
	v_add_nc_u64_e32 v[38:39], s[26:27], v[78:79]
	s_delay_alu instid0(VALU_DEP_1) | instskip(SKIP_1) | instid1(SALU_CYCLE_1)
	v_cmp_gt_i64_e32 vcc_lo, s[4:5], v[38:39]
	s_and_b32 s33, s2, vcc_lo
	s_and_saveexec_b32 s20, s33
	s_cbranch_execz .LBB42_14
; %bb.13:                               ;   in Loop: Header=BB42_3 Depth=1
	v_add_nc_u64_e32 v[38:39], v[68:69], v[42:43]
	v_add_nc_u64_e32 v[86:87], v[70:71], v[42:43]
	global_load_b64 v[8:9], v[38:39], off
	global_load_b64 v[24:25], v[86:87], off
.LBB42_14:                              ;   in Loop: Header=BB42_3 Depth=1
	s_wait_xcnt 0x0
	;; [unrolled: 14-line block ×7, first 2 shown]
	s_or_b32 exec_lo, exec_lo, s20
	s_wait_loadcnt 0x1
	ds_bpermute_b32 v38, v2, v80
	ds_bpermute_b32 v39, v2, v81
	s_wait_loadcnt 0x0
	ds_bpermute_b32 v86, v2, v82
	ds_bpermute_b32 v87, v2, v83
	s_mov_b32 s20, 0
	s_wait_dscnt 0x2
	v_add_f64_e64 v[20:21], v[20:21], -v[38:39]
	ds_bpermute_b32 v38, v2, v80 offset:4
	ds_bpermute_b32 v39, v2, v81 offset:4
	s_wait_dscnt 0x0
	v_add_f64_e64 v[22:23], v[22:23], -v[38:39]
	ds_bpermute_b32 v38, v2, v80 offset:8
	ds_bpermute_b32 v39, v2, v81 offset:8
	v_mul_f64_e32 v[20:21], v[4:5], v[20:21]
	v_add_f64_e32 v[4:5], v[36:37], v[4:5]
	s_wait_dscnt 0x0
	v_add_f64_e64 v[24:25], v[24:25], -v[38:39]
	v_mul_f64_e32 v[22:23], v[6:7], v[22:23]
	s_delay_alu instid0(VALU_DEP_4)
	v_fma_f64 v[38:39], v[20:21], v[86:87], v[76:77]
	ds_bpermute_b32 v20, v2, v80 offset:12
	ds_bpermute_b32 v21, v2, v81 offset:12
	;; [unrolled: 1-line block ×4, first 2 shown]
	v_add_f64_e32 v[4:5], v[6:7], v[4:5]
	ds_bpermute_b32 v6, v2, v80 offset:16
	ds_bpermute_b32 v7, v2, v81 offset:16
	v_mul_f64_e32 v[24:25], v[8:9], v[24:25]
	s_wait_dscnt 0x4
	v_add_f64_e64 v[20:21], v[26:27], -v[20:21]
	s_wait_dscnt 0x0
	v_add_f64_e64 v[6:7], v[28:29], -v[6:7]
	v_fmac_f64_e32 v[38:39], v[22:23], v[86:87]
	ds_bpermute_b32 v22, v2, v82 offset:8
	ds_bpermute_b32 v23, v2, v83 offset:8
	v_add_f64_e32 v[4:5], v[8:9], v[4:5]
	ds_bpermute_b32 v8, v2, v80 offset:20
	ds_bpermute_b32 v9, v2, v81 offset:20
	v_mul_f64_e32 v[20:21], v[10:11], v[20:21]
	s_wait_dscnt 0x0
	v_add_f64_e64 v[8:9], v[30:31], -v[8:9]
	v_mul_f64_e32 v[6:7], v[12:13], v[6:7]
	v_fmac_f64_e32 v[38:39], v[24:25], v[22:23]
	ds_bpermute_b32 v22, v2, v82 offset:12
	ds_bpermute_b32 v23, v2, v83 offset:12
	v_add_f64_e32 v[4:5], v[10:11], v[4:5]
	ds_bpermute_b32 v10, v2, v80 offset:24
	ds_bpermute_b32 v11, v2, v81 offset:24
	s_wait_dscnt 0x0
	v_add_f64_e64 v[10:11], v[32:33], -v[10:11]
	v_mul_f64_e32 v[8:9], v[14:15], v[8:9]
	v_fmac_f64_e32 v[38:39], v[20:21], v[22:23]
	ds_bpermute_b32 v20, v2, v82 offset:16
	ds_bpermute_b32 v21, v2, v83 offset:16
	v_add_f64_e32 v[4:5], v[12:13], v[4:5]
	v_mul_f64_e32 v[10:11], v[16:17], v[10:11]
	s_wait_dscnt 0x0
	v_fmac_f64_e32 v[38:39], v[6:7], v[20:21]
	ds_bpermute_b32 v6, v2, v82 offset:20
	ds_bpermute_b32 v7, v2, v83 offset:20
	v_add_f64_e32 v[4:5], v[14:15], v[4:5]
	s_wait_dscnt 0x0
	v_fmac_f64_e32 v[38:39], v[8:9], v[6:7]
	ds_bpermute_b32 v6, v2, v82 offset:24
	ds_bpermute_b32 v7, v2, v83 offset:24
	;; [unrolled: 1-line block ×4, first 2 shown]
	v_add_f64_e32 v[4:5], v[16:17], v[4:5]
	s_wait_dscnt 0x2
	v_fmac_f64_e32 v[38:39], v[10:11], v[6:7]
	ds_bpermute_b32 v6, v2, v80 offset:28
	ds_bpermute_b32 v7, v2, v81 offset:28
.LBB42_25:                              ;   in Loop: Header=BB42_3 Depth=1
	s_and_b32 vcc_lo, exec_lo, s20
	s_cbranch_vccz .LBB42_40
; %bb.26:                               ;   in Loop: Header=BB42_3 Depth=1
	s_load_b32 s20, s[42:43], 0x0
	v_mov_b64_e32 v[80:81], 0
	v_mov_b64_e32 v[38:39], 0
	s_wait_kmcnt 0x0
	s_cmp_lt_u32 s16, s20
	s_cselect_b32 s20, 12, 18
	s_delay_alu instid0(SALU_CYCLE_1) | instskip(SKIP_4) | instid1(VALU_DEP_1)
	s_add_nc_u64 s[50:51], s[42:43], s[20:21]
	s_load_u16 s20, s[50:51], 0x0
	s_wait_kmcnt 0x0
	v_mad_u32_u24 v3, v1, s20, v84
	s_mov_b32 s20, exec_lo
	v_and_b32_e32 v4, 31, v3
	s_delay_alu instid0(VALU_DEP_1)
	v_cmpx_gt_u32_e32 8, v4
	s_cbranch_execz .LBB42_30
; %bb.27:                               ;   in Loop: Header=BB42_3 Depth=1
	v_mov_b32_e32 v5, v2
	v_mov_b64_e32 v[38:39], 0
	v_mov_b64_e32 v[80:81], 0
	s_mov_b32 s33, exec_lo
	s_delay_alu instid0(VALU_DEP_3) | instskip(NEXT) | instid1(VALU_DEP_1)
	v_add_nc_u64_e32 v[4:5], v[78:79], v[4:5]
	v_add_nc_u64_e32 v[4:5], s[22:23], v[4:5]
	s_delay_alu instid0(VALU_DEP_1)
	v_cmpx_gt_i64_e64 s[4:5], v[4:5]
	s_cbranch_execz .LBB42_29
; %bb.28:                               ;   in Loop: Header=BB42_3 Depth=1
	v_lshlrev_b64_e32 v[4:5], 3, v[4:5]
	s_wait_dscnt 0x0
	s_delay_alu instid0(VALU_DEP_1)
	v_add_nc_u64_e32 v[6:7], s[12:13], v[4:5]
	v_add_nc_u64_e32 v[4:5], s[14:15], v[4:5]
	global_load_b64 v[38:39], v[6:7], off
	global_load_b64 v[80:81], v[4:5], off
.LBB42_29:                              ;   in Loop: Header=BB42_3 Depth=1
	s_wait_xcnt 0x0
	s_or_b32 exec_lo, exec_lo, s33
.LBB42_30:                              ;   in Loop: Header=BB42_3 Depth=1
	s_delay_alu instid0(SALU_CYCLE_1)
	s_or_b32 exec_lo, exec_lo, s20
	v_dual_mov_b32 v15, v2 :: v_dual_mov_b32 v16, v2
	v_dual_mov_b32 v17, v2 :: v_dual_mov_b32 v3, v2
	;; [unrolled: 1-line block ×3, first 2 shown]
	s_wait_dscnt 0x0
	v_dual_mov_b32 v6, v2 :: v_dual_mov_b32 v7, v2
	v_dual_mov_b32 v8, v2 :: v_dual_mov_b32 v9, v2
	;; [unrolled: 1-line block ×4, first 2 shown]
	v_mov_b32_e32 v14, v2
	v_mov_b64_e32 v[34:35], v[16:17]
	s_delay_alu instid0(VALU_DEP_4)
	v_mov_b64_e32 v[28:29], v[10:11]
	v_mov_b64_e32 v[26:27], v[8:9]
	;; [unrolled: 1-line block ×15, first 2 shown]
	s_and_saveexec_b32 s20, s2
	s_cbranch_execnz .LBB42_42
; %bb.31:                               ;   in Loop: Header=BB42_3 Depth=1
	s_or_b32 exec_lo, exec_lo, s20
	s_and_saveexec_b32 s20, s2
	s_cbranch_execnz .LBB42_43
.LBB42_32:                              ;   in Loop: Header=BB42_3 Depth=1
	s_or_b32 exec_lo, exec_lo, s20
	s_and_saveexec_b32 s20, s2
	s_cbranch_execnz .LBB42_44
.LBB42_33:                              ;   in Loop: Header=BB42_3 Depth=1
	s_or_b32 exec_lo, exec_lo, s20
	s_and_saveexec_b32 s20, s2
	s_cbranch_execnz .LBB42_45
.LBB42_34:                              ;   in Loop: Header=BB42_3 Depth=1
	s_or_b32 exec_lo, exec_lo, s20
	s_and_saveexec_b32 s20, s2
	s_cbranch_execnz .LBB42_46
.LBB42_35:                              ;   in Loop: Header=BB42_3 Depth=1
	s_or_b32 exec_lo, exec_lo, s20
	s_and_saveexec_b32 s20, s2
	s_cbranch_execnz .LBB42_47
.LBB42_36:                              ;   in Loop: Header=BB42_3 Depth=1
	s_or_b32 exec_lo, exec_lo, s20
	s_and_saveexec_b32 s20, s2
	s_cbranch_execnz .LBB42_48
.LBB42_37:                              ;   in Loop: Header=BB42_3 Depth=1
	s_or_b32 exec_lo, exec_lo, s20
	s_and_saveexec_b32 s20, s2
	s_cbranch_execz .LBB42_39
.LBB42_38:                              ;   in Loop: Header=BB42_3 Depth=1
	v_add_nc_u64_e32 v[78:79], v[48:49], v[42:43]
	v_add_nc_u64_e32 v[82:83], v[50:51], v[42:43]
	global_load_b64 v[18:19], v[78:79], off
	global_load_b64 v[34:35], v[82:83], off
.LBB42_39:                              ;   in Loop: Header=BB42_3 Depth=1
	s_wait_xcnt 0x0
	s_or_b32 exec_lo, exec_lo, s20
	s_wait_loadcnt 0x1
	ds_bpermute_b32 v78, v2, v38
	ds_bpermute_b32 v79, v2, v39
	s_wait_loadcnt 0x0
	ds_bpermute_b32 v82, v2, v80
	ds_bpermute_b32 v83, v2, v81
	s_wait_dscnt 0x2
	v_add_f64_e64 v[20:21], v[20:21], -v[78:79]
	ds_bpermute_b32 v78, v2, v38 offset:4
	ds_bpermute_b32 v79, v2, v39 offset:4
	s_wait_dscnt 0x0
	v_add_f64_e64 v[22:23], v[22:23], -v[78:79]
	ds_bpermute_b32 v78, v2, v38 offset:8
	ds_bpermute_b32 v79, v2, v39 offset:8
	v_mul_f64_e32 v[20:21], v[4:5], v[20:21]
	v_add_f64_e32 v[4:5], v[36:37], v[4:5]
	ds_bpermute_b32 v36, v2, v80 offset:4
	ds_bpermute_b32 v37, v2, v81 offset:4
	s_wait_dscnt 0x2
	v_add_f64_e64 v[24:25], v[24:25], -v[78:79]
	v_mul_f64_e32 v[22:23], v[6:7], v[22:23]
	v_fmac_f64_e32 v[76:77], v[20:21], v[82:83]
	ds_bpermute_b32 v20, v2, v38 offset:12
	ds_bpermute_b32 v21, v2, v39 offset:12
	v_add_f64_e32 v[4:5], v[6:7], v[4:5]
	ds_bpermute_b32 v6, v2, v38 offset:16
	ds_bpermute_b32 v7, v2, v39 offset:16
	ds_bpermute_b32 v82, v2, v80 offset:28
	ds_bpermute_b32 v83, v2, v81 offset:28
	v_mul_f64_e32 v[24:25], v[8:9], v[24:25]
	s_wait_dscnt 0x4
	v_add_f64_e64 v[20:21], v[26:27], -v[20:21]
	s_wait_dscnt 0x2
	v_add_f64_e64 v[6:7], v[28:29], -v[6:7]
	v_fmac_f64_e32 v[76:77], v[22:23], v[36:37]
	ds_bpermute_b32 v22, v2, v80 offset:8
	ds_bpermute_b32 v23, v2, v81 offset:8
	v_add_f64_e32 v[4:5], v[8:9], v[4:5]
	ds_bpermute_b32 v8, v2, v38 offset:20
	ds_bpermute_b32 v9, v2, v39 offset:20
	v_mul_f64_e32 v[20:21], v[10:11], v[20:21]
	s_wait_dscnt 0x0
	v_add_f64_e64 v[8:9], v[30:31], -v[8:9]
	v_mul_f64_e32 v[6:7], v[12:13], v[6:7]
	v_fmac_f64_e32 v[76:77], v[24:25], v[22:23]
	ds_bpermute_b32 v22, v2, v80 offset:12
	ds_bpermute_b32 v23, v2, v81 offset:12
	v_add_f64_e32 v[4:5], v[10:11], v[4:5]
	ds_bpermute_b32 v10, v2, v80 offset:16
	ds_bpermute_b32 v11, v2, v81 offset:16
	v_mul_f64_e32 v[8:9], v[14:15], v[8:9]
	s_wait_dscnt 0x2
	v_fmac_f64_e32 v[76:77], v[20:21], v[22:23]
	ds_bpermute_b32 v20, v2, v38 offset:24
	ds_bpermute_b32 v21, v2, v39 offset:24
	v_add_f64_e32 v[4:5], v[12:13], v[4:5]
	s_wait_dscnt 0x2
	v_fmac_f64_e32 v[76:77], v[6:7], v[10:11]
	s_wait_dscnt 0x0
	v_add_f64_e64 v[6:7], v[32:33], -v[20:21]
	ds_bpermute_b32 v10, v2, v80 offset:20
	ds_bpermute_b32 v11, v2, v81 offset:20
	v_add_f64_e32 v[4:5], v[14:15], v[4:5]
	s_wait_dscnt 0x0
	v_fmac_f64_e32 v[76:77], v[8:9], v[10:11]
	v_mul_f64_e32 v[6:7], v[16:17], v[6:7]
	ds_bpermute_b32 v8, v2, v80 offset:24
	ds_bpermute_b32 v9, v2, v81 offset:24
	v_add_f64_e32 v[4:5], v[16:17], v[4:5]
	s_wait_dscnt 0x0
	v_fmac_f64_e32 v[76:77], v[6:7], v[8:9]
	ds_bpermute_b32 v6, v2, v38 offset:28
	ds_bpermute_b32 v7, v2, v39 offset:28
	v_mov_b64_e32 v[38:39], v[76:77]
.LBB42_40:                              ;   in Loop: Header=BB42_3 Depth=1
	s_wait_dscnt 0x0
	v_add_f64_e64 v[6:7], v[34:35], -v[6:7]
	v_add_f64_e32 v[36:37], v[4:5], v[18:19]
	s_add_nc_u64 s[48:49], s[48:49], s[34:35]
	v_add_nc_u64_e32 v[44:45], s[44:45], v[44:45]
	v_cmp_lt_i64_e64 s20, s[48:49], s[4:5]
	v_add_nc_u64_e32 v[46:47], s[44:45], v[46:47]
	v_add_nc_u64_e32 v[48:49], s[44:45], v[48:49]
	;; [unrolled: 1-line block ×15, first 2 shown]
	s_and_b32 vcc_lo, exec_lo, s20
	s_add_nc_u64 s[46:47], s[46:47], s[34:35]
	v_mul_f64_e32 v[6:7], v[18:19], v[6:7]
	s_delay_alu instid0(VALU_DEP_1)
	v_fmac_f64_e32 v[38:39], v[6:7], v[82:83]
	s_cbranch_vccz .LBB42_50
; %bb.41:                               ;   in Loop: Header=BB42_3 Depth=1
	s_delay_alu instid0(VALU_DEP_1)
	v_mov_b64_e32 v[76:77], v[38:39]
	s_branch .LBB42_3
.LBB42_42:                              ;   in Loop: Header=BB42_3 Depth=1
	v_add_nc_u64_e32 v[6:7], v[44:45], v[42:43]
	v_add_nc_u64_e32 v[8:9], v[46:47], v[42:43]
	v_dual_mov_b32 v10, v2 :: v_dual_mov_b32 v11, v2
	v_dual_mov_b32 v12, v2 :: v_dual_mov_b32 v13, v2
	;; [unrolled: 1-line block ×3, first 2 shown]
	global_load_b64 v[4:5], v[6:7], off
	global_load_b64 v[20:21], v[8:9], off
	s_wait_xcnt 0x1
	v_dual_mov_b32 v6, v2 :: v_dual_mov_b32 v7, v2
	s_wait_xcnt 0x0
	v_dual_mov_b32 v8, v2 :: v_dual_mov_b32 v9, v2
	v_dual_mov_b32 v16, v2 :: v_dual_mov_b32 v17, v2
	;; [unrolled: 1-line block ×10, first 2 shown]
	s_or_b32 exec_lo, exec_lo, s20
	s_and_saveexec_b32 s20, s2
	s_cbranch_execz .LBB42_32
.LBB42_43:                              ;   in Loop: Header=BB42_3 Depth=1
	v_add_nc_u64_e32 v[78:79], v[72:73], v[42:43]
	v_add_nc_u64_e32 v[82:83], v[74:75], v[42:43]
	global_load_b64 v[6:7], v[78:79], off
	global_load_b64 v[22:23], v[82:83], off
	s_wait_xcnt 0x0
	s_or_b32 exec_lo, exec_lo, s20
	s_and_saveexec_b32 s20, s2
	s_cbranch_execz .LBB42_33
.LBB42_44:                              ;   in Loop: Header=BB42_3 Depth=1
	v_add_nc_u64_e32 v[78:79], v[68:69], v[42:43]
	v_add_nc_u64_e32 v[82:83], v[70:71], v[42:43]
	global_load_b64 v[8:9], v[78:79], off
	global_load_b64 v[24:25], v[82:83], off
	s_wait_xcnt 0x0
	s_or_b32 exec_lo, exec_lo, s20
	s_and_saveexec_b32 s20, s2
	s_cbranch_execz .LBB42_34
.LBB42_45:                              ;   in Loop: Header=BB42_3 Depth=1
	v_add_nc_u64_e32 v[78:79], v[64:65], v[42:43]
	v_add_nc_u64_e32 v[82:83], v[66:67], v[42:43]
	global_load_b64 v[10:11], v[78:79], off
	global_load_b64 v[26:27], v[82:83], off
	s_wait_xcnt 0x0
	s_or_b32 exec_lo, exec_lo, s20
	s_and_saveexec_b32 s20, s2
	s_cbranch_execz .LBB42_35
.LBB42_46:                              ;   in Loop: Header=BB42_3 Depth=1
	v_add_nc_u64_e32 v[78:79], v[60:61], v[42:43]
	v_add_nc_u64_e32 v[82:83], v[62:63], v[42:43]
	global_load_b64 v[12:13], v[78:79], off
	global_load_b64 v[28:29], v[82:83], off
	s_wait_xcnt 0x0
	s_or_b32 exec_lo, exec_lo, s20
	s_and_saveexec_b32 s20, s2
	s_cbranch_execz .LBB42_36
.LBB42_47:                              ;   in Loop: Header=BB42_3 Depth=1
	v_add_nc_u64_e32 v[78:79], v[56:57], v[42:43]
	v_add_nc_u64_e32 v[82:83], v[58:59], v[42:43]
	global_load_b64 v[14:15], v[78:79], off
	global_load_b64 v[30:31], v[82:83], off
	s_wait_xcnt 0x0
	s_or_b32 exec_lo, exec_lo, s20
	s_and_saveexec_b32 s20, s2
	s_cbranch_execz .LBB42_37
.LBB42_48:                              ;   in Loop: Header=BB42_3 Depth=1
	v_add_nc_u64_e32 v[78:79], v[52:53], v[42:43]
	v_add_nc_u64_e32 v[82:83], v[54:55], v[42:43]
	global_load_b64 v[16:17], v[78:79], off
	global_load_b64 v[32:33], v[82:83], off
	s_wait_xcnt 0x0
	s_or_b32 exec_lo, exec_lo, s20
	s_and_saveexec_b32 s20, s2
	s_cbranch_execnz .LBB42_38
	s_branch .LBB42_39
.LBB42_49:
                                        ; implicit-def: $vgpr36_vgpr37
                                        ; implicit-def: $vgpr38_vgpr39
	s_branch .LBB42_51
.LBB42_50:
	s_cbranch_execnz .LBB42_82
.LBB42_51:
	v_mov_b64_e32 v[36:37], 0
	v_mov_b64_e32 v[38:39], 0
	s_and_not1_b32 vcc_lo, exec_lo, s17
	s_cbranch_vccnz .LBB42_82
; %bb.52:
	v_bfe_u32 v1, v0, 10, 10
	v_mov_b32_e32 v2, 0
	v_and_b32_e32 v110, 0x3ff, v0
	s_load_b32 s2, s[0:1], 0x44
	v_mov_b64_e32 v[38:39], 0
	s_delay_alu instid0(VALU_DEP_3) | instskip(SKIP_3) | instid1(VALU_DEP_3)
	v_dual_mov_b32 v5, v2 :: v_dual_lshlrev_b32 v4, 6, v1
	v_dual_mov_b32 v41, v2 :: v_dual_lshlrev_b32 v40, 3, v1
	v_mov_b64_e32 v[36:37], 0
	s_mov_b64 s[22:23], 0xffffffffffffffc3
	v_lshl_add_u64 v[4:5], s[18:19], 3, v[4:5]
	s_mov_b64 s[24:25], 0xffffffffffffffc4
	s_mov_b64 s[26:27], 0xffffffffffffffc5
	;; [unrolled: 1-line block ×4, first 2 shown]
	v_add_nc_u64_e32 v[6:7], 8, v[4:5]
	v_add_nc_u64_e32 v[10:11], 16, v[4:5]
	;; [unrolled: 1-line block ×7, first 2 shown]
	v_mad_nc_u64_u32 v[42:43], s6, v6, s[8:9]
	v_mul_lo_u32 v3, s6, v7
	v_mul_lo_u32 v20, s7, v6
	v_mad_nc_u64_u32 v[52:53], s6, v6, s[10:11]
	v_mad_nc_u64_u32 v[46:47], s6, v12, s[8:9]
	v_mul_lo_u32 v26, s6, v13
	v_mad_nc_u64_u32 v[62:63], s6, v4, s[8:9]
	v_mul_lo_u32 v32, s7, v4
	v_mad_nc_u64_u32 v[68:69], s6, v4, s[10:11]
	v_add_nc_u32_e32 v4, s3, v110
	v_add_nc_u64_e32 v[8:9], s[18:19], v[40:41]
	v_mul_lo_u32 v27, s7, v12
	v_mad_nc_u64_u32 v[56:57], s6, v12, s[10:11]
	v_add3_u32 v43, v20, v43, v3
	v_add3_u32 v53, v20, v53, v3
	v_mad_nc_u64_u32 v[44:45], s6, v10, s[8:9]
	v_mul_lo_u32 v24, s6, v11
	v_add_nc_u64_e32 v[6:7], 7, v[8:9]
	v_add_nc_u64_e32 v[12:13], 6, v[8:9]
	;; [unrolled: 1-line block ×3, first 2 shown]
	v_mul_lo_u32 v25, s7, v10
	v_mad_nc_u64_u32 v[48:49], s6, v14, s[8:9]
	v_mul_lo_u32 v28, s6, v15
	v_mul_lo_u32 v29, s7, v14
	v_mul_u64_e32 v[6:7], s[6:7], v[6:7]
	v_mad_nc_u64_u32 v[54:55], s6, v10, s[10:11]
	v_mul_u64_e32 v[10:11], s[6:7], v[8:9]
	v_add_nc_u64_e32 v[22:23], 4, v[8:9]
	v_mad_nc_u64_u32 v[60:61], s6, v14, s[10:11]
	v_mul_u64_e32 v[12:13], s[6:7], v[12:13]
	v_add_nc_u64_e32 v[14:15], 3, v[8:9]
	v_add_nc_u64_e32 v[8:9], 2, v[8:9]
	v_mul_u64_e32 v[20:21], s[6:7], v[20:21]
	v_mad_nc_u64_u32 v[50:51], s6, v16, s[8:9]
	v_mul_u64_e32 v[22:23], s[6:7], v[22:23]
	v_mul_lo_u32 v17, s6, v17
	v_mul_lo_u32 v30, s7, v16
	v_mul_u64_e32 v[14:15], s[6:7], v[14:15]
	v_mul_u64_e32 v[8:9], s[6:7], v[8:9]
	v_mad_nc_u64_u32 v[64:65], s6, v16, s[10:11]
	v_mul_lo_u32 v3, s6, v5
	v_mov_b32_e32 v5, v2
	v_mad_nc_u64_u32 v[58:59], s6, v18, s[8:9]
	v_mul_lo_u32 v19, s6, v19
	v_mul_lo_u32 v31, s7, v18
	v_mad_nc_u64_u32 v[66:67], s6, v18, s[10:11]
	v_lshlrev_b64_e32 v[70:71], 3, v[4:5]
	v_add3_u32 v51, v30, v51, v17
	s_mov_b32 s3, 0
	s_wait_kmcnt 0x0
	s_lshl_b32 s20, s2, 6
	v_add3_u32 v65, v30, v65, v17
	s_mov_b32 s21, s3
	v_add3_u32 v45, v25, v45, v24
	v_add3_u32 v47, v27, v47, v26
	;; [unrolled: 1-line block ×4, first 2 shown]
	v_lshlrev_b64_e32 v[6:7], 3, v[6:7]
	v_add3_u32 v49, v29, v49, v28
	v_lshlrev_b64_e32 v[16:17], 3, v[10:11]
	v_add_nc_u64_e32 v[10:11], s[6:7], v[10:11]
	v_add3_u32 v61, v29, v61, v28
	v_lshlrev_b64_e32 v[4:5], 3, v[12:13]
	v_add3_u32 v59, v31, v59, v19
	v_add_nc_u64_e32 v[76:77], s[8:9], v[6:7]
	v_add_nc_u64_e32 v[78:79], s[10:11], v[6:7]
	v_lshlrev_b64_e32 v[6:7], 3, v[20:21]
	v_lshlrev_b64_e32 v[12:13], 3, v[22:23]
	v_add_nc_u64_e32 v[72:73], s[8:9], v[16:17]
	v_add_nc_u64_e32 v[80:81], s[8:9], v[4:5]
	;; [unrolled: 1-line block ×3, first 2 shown]
	v_lshlrev_b64_e32 v[4:5], 3, v[14:15]
	v_lshlrev_b64_e32 v[8:9], 3, v[8:9]
	v_add_nc_u64_e32 v[84:85], s[8:9], v[6:7]
	v_add_nc_u64_e32 v[86:87], s[10:11], v[6:7]
	v_lshlrev_b64_e32 v[6:7], 3, v[10:11]
	v_add_nc_u64_e32 v[74:75], s[10:11], v[16:17]
	v_add_nc_u64_e32 v[88:89], s[8:9], v[12:13]
	;; [unrolled: 1-line block ×9, first 2 shown]
	v_add3_u32 v63, v32, v63, v3
	v_add3_u32 v67, v31, v67, v19
	v_add3_u32 v69, v32, v69, v3
	s_mul_u64 s[38:39], s[6:7], s[20:21]
	s_mov_b64 s[8:9], 0xffffffffffffffc1
	s_mov_b64 s[10:11], 0xffffffffffffffc2
	s_mov_b64 s[34:35], 0xffffffffffffffc8
	s_add_nc_u64 s[36:37], s[0:1], 64
	s_lshl_b64 s[38:39], s[38:39], 3
	s_add_nc_u64 s[40:41], s[18:19], 63
	s_branch .LBB42_56
.LBB42_53:                              ;   in Loop: Header=BB42_56 Depth=1
	s_wait_xcnt 0x0
	s_or_b32 exec_lo, exec_lo, s17
.LBB42_54:                              ;   in Loop: Header=BB42_56 Depth=1
	s_delay_alu instid0(SALU_CYCLE_1)
	s_or_b32 exec_lo, exec_lo, s2
	v_add_nc_u64_e32 v[8:9], v[74:75], v[70:71]
	v_add_nc_u64_e32 v[10:11], v[52:53], v[70:71]
	;; [unrolled: 1-line block ×4, first 2 shown]
	global_load_b64 v[8:9], v[8:9], off
	global_load_b64 v[14:15], v[10:11], off
	global_load_b64 v[16:17], v[12:13], off
	s_wait_xcnt 0x1
	v_add_nc_u64_e32 v[10:11], v[54:55], v[70:71]
	s_wait_xcnt 0x0
	v_add_nc_u64_e32 v[12:13], v[42:43], v[70:71]
	global_load_b64 v[20:21], v[10:11], off
	global_load_b64 v[22:23], v[12:13], off
	s_wait_xcnt 0x1
	v_add_nc_u64_e32 v[10:11], v[56:57], v[70:71]
	s_wait_xcnt 0x0
	v_add_nc_u64_e32 v[12:13], v[44:45], v[70:71]
	global_load_b64 v[24:25], v[10:11], off
	global_load_b64 v[26:27], v[12:13], off
	;; [unrolled: 6-line block ×5, first 2 shown]
	global_load_b64 v[108:109], v[18:19], off
	s_wait_xcnt 0x2
	v_add_nc_u64_e32 v[10:11], v[58:59], v[70:71]
	s_wait_xcnt 0x1
	v_add_nc_u64_e32 v[12:13], v[62:63], v[70:71]
	global_load_b64 v[112:113], v[10:11], off
	global_load_b64 v[18:19], v[12:13], off
	s_wait_loadcnt 0x11
	s_wait_xcnt 0x1
	ds_bpermute_b32 v10, v2, v6
	ds_bpermute_b32 v11, v2, v7
	s_wait_xcnt 0x0
	ds_bpermute_b32 v12, v2, v6 offset:8
	ds_bpermute_b32 v13, v2, v7 offset:8
	s_wait_loadcnt_dscnt 0xf02
	v_add_f64_e64 v[8:9], v[8:9], -v[10:11]
	ds_bpermute_b32 v10, v2, v6 offset:4
	ds_bpermute_b32 v11, v2, v7 offset:4
	s_wait_loadcnt_dscnt 0xc02
	v_add_f64_e64 v[12:13], v[20:21], -v[12:13]
	s_wait_dscnt 0x0
	v_add_f64_e64 v[10:11], v[14:15], -v[10:11]
	ds_bpermute_b32 v14, v2, v4
	ds_bpermute_b32 v15, v2, v5
	v_mul_f64_e32 v[8:9], v[16:17], v[8:9]
	s_wait_loadcnt 0x9
	v_mul_f64_e32 v[12:13], v[26:27], v[12:13]
	v_mul_f64_e32 v[10:11], v[22:23], v[10:11]
	s_wait_dscnt 0x0
	s_delay_alu instid0(VALU_DEP_3)
	v_fmac_f64_e32 v[38:39], v[8:9], v[14:15]
	v_add_f64_e32 v[8:9], v[36:37], v[16:17]
	ds_bpermute_b32 v14, v2, v6 offset:12
	ds_bpermute_b32 v15, v2, v7 offset:12
	;; [unrolled: 1-line block ×4, first 2 shown]
	s_wait_dscnt 0x2
	v_add_f64_e64 v[14:15], v[24:25], -v[14:15]
	s_wait_dscnt 0x0
	v_fmac_f64_e32 v[38:39], v[10:11], v[16:17]
	v_add_f64_e32 v[8:9], v[8:9], v[22:23]
	ds_bpermute_b32 v10, v2, v6 offset:16
	ds_bpermute_b32 v11, v2, v7 offset:16
	;; [unrolled: 1-line block ×4, first 2 shown]
	s_wait_loadcnt_dscnt 0x802
	v_add_f64_e64 v[10:11], v[28:29], -v[10:11]
	s_wait_loadcnt 0x7
	v_mul_f64_e32 v[14:15], v[30:31], v[14:15]
	s_wait_dscnt 0x0
	v_fmac_f64_e32 v[38:39], v[12:13], v[16:17]
	v_add_f64_e32 v[8:9], v[8:9], v[26:27]
	ds_bpermute_b32 v12, v2, v6 offset:20
	ds_bpermute_b32 v13, v2, v7 offset:20
	;; [unrolled: 1-line block ×4, first 2 shown]
	s_wait_loadcnt_dscnt 0x602
	v_add_f64_e64 v[12:13], v[32:33], -v[12:13]
	s_wait_loadcnt 0x5
	v_mul_f64_e32 v[10:11], v[34:35], v[10:11]
	s_wait_dscnt 0x0
	v_fmac_f64_e32 v[38:39], v[14:15], v[16:17]
	v_add_f64_e32 v[8:9], v[8:9], v[30:31]
	ds_bpermute_b32 v14, v2, v6 offset:24
	ds_bpermute_b32 v16, v2, v4 offset:16
	;; [unrolled: 1-line block ×6, first 2 shown]
	s_wait_loadcnt 0x4
	v_mul_f64_e32 v[12:13], v[104:105], v[12:13]
	s_wait_loadcnt_dscnt 0x200
	v_add_f64_e64 v[6:7], v[108:109], -v[6:7]
	v_fmac_f64_e32 v[38:39], v[10:11], v[16:17]
	v_add_f64_e64 v[10:11], v[106:107], -v[14:15]
	v_add_f64_e32 v[8:9], v[8:9], v[34:35]
	ds_bpermute_b32 v14, v2, v4 offset:20
	ds_bpermute_b32 v15, v2, v5 offset:20
	s_wait_dscnt 0x0
	v_fmac_f64_e32 v[38:39], v[12:13], v[14:15]
	s_wait_loadcnt 0x1
	v_mul_f64_e32 v[10:11], v[112:113], v[10:11]
	v_add_f64_e32 v[8:9], v[8:9], v[104:105]
	s_wait_loadcnt 0x0
	v_mul_f64_e32 v[12:13], v[18:19], v[6:7]
	ds_bpermute_b32 v6, v2, v4 offset:24
	ds_bpermute_b32 v7, v2, v5 offset:24
	;; [unrolled: 1-line block ×4, first 2 shown]
	s_wait_dscnt 0x2
	v_fmac_f64_e32 v[38:39], v[10:11], v[6:7]
	v_add_f64_e32 v[6:7], v[8:9], v[112:113]
	s_wait_dscnt 0x0
	v_mul_f64_e32 v[8:9], v[12:13], v[4:5]
	s_delay_alu instid0(VALU_DEP_3)
	v_mov_b64_e32 v[4:5], v[38:39]
.LBB42_55:                              ;   in Loop: Header=BB42_56 Depth=1
	s_delay_alu instid0(VALU_DEP_1) | instskip(NEXT) | instid1(VALU_DEP_4)
	v_add_f64_e32 v[38:39], v[4:5], v[8:9]
	v_add_f64_e32 v[36:37], v[6:7], v[18:19]
	s_add_nc_u64 s[18:19], s[18:19], s[20:21]
	v_add_nc_u64_e32 v[72:73], s[38:39], v[72:73]
	v_cmp_ge_i64_e64 s2, s[18:19], s[4:5]
	v_add_nc_u64_e32 v[74:75], s[38:39], v[74:75]
	v_add_nc_u64_e32 v[42:43], s[38:39], v[42:43]
	;; [unrolled: 1-line block ×29, first 2 shown]
	s_and_b32 vcc_lo, exec_lo, s2
	s_add_nc_u64 s[40:41], s[40:41], s[20:21]
	s_cbranch_vccnz .LBB42_82
.LBB42_56:                              ; =>This Inner Loop Header: Depth=1
	v_cmp_ge_i64_e64 s2, s[40:41], s[4:5]
	v_add_nc_u64_e32 v[104:105], s[40:41], v[40:41]
                                        ; implicit-def: $vgpr18_vgpr19
                                        ; implicit-def: $vgpr8_vgpr9
                                        ; implicit-def: $vgpr6_vgpr7
                                        ; implicit-def: $vgpr4_vgpr5
	s_and_b32 vcc_lo, exec_lo, s2
	s_mov_b32 s2, -1
	s_cbranch_vccz .LBB42_78
; %bb.57:                               ;   in Loop: Header=BB42_56 Depth=1
	s_load_b32 s2, s[36:37], 0xc
	v_mov_b64_e32 v[106:107], 0
	v_mov_b64_e32 v[108:109], 0
	s_wait_kmcnt 0x0
	s_and_b32 s2, s2, 0xffff
	s_delay_alu instid0(SALU_CYCLE_1) | instskip(SKIP_1) | instid1(VALU_DEP_1)
	v_mad_u32_u24 v3, v1, s2, v110
	s_mov_b32 s2, exec_lo
	v_and_b32_e32 v4, 31, v3
	s_delay_alu instid0(VALU_DEP_1)
	v_cmpx_gt_u32_e32 8, v4
	s_cbranch_execz .LBB42_61
; %bb.58:                               ;   in Loop: Header=BB42_56 Depth=1
	v_mov_b32_e32 v5, v2
	v_mov_b64_e32 v[108:109], 0
	v_mov_b64_e32 v[106:107], 0
	s_mov_b32 s17, exec_lo
	s_delay_alu instid0(VALU_DEP_3) | instskip(NEXT) | instid1(VALU_DEP_1)
	v_add_nc_u64_e32 v[4:5], v[104:105], v[4:5]
	v_add_nc_u64_e32 v[4:5], s[8:9], v[4:5]
	s_delay_alu instid0(VALU_DEP_1)
	v_cmpx_gt_i64_e64 s[4:5], v[4:5]
	s_cbranch_execz .LBB42_60
; %bb.59:                               ;   in Loop: Header=BB42_56 Depth=1
	v_lshlrev_b64_e32 v[4:5], 3, v[4:5]
	s_delay_alu instid0(VALU_DEP_1)
	v_add_nc_u64_e32 v[6:7], s[12:13], v[4:5]
	v_add_nc_u64_e32 v[4:5], s[14:15], v[4:5]
	global_load_b64 v[108:109], v[6:7], off
	global_load_b64 v[106:107], v[4:5], off
.LBB42_60:                              ;   in Loop: Header=BB42_56 Depth=1
	s_wait_xcnt 0x0
	s_or_b32 exec_lo, exec_lo, s17
.LBB42_61:                              ;   in Loop: Header=BB42_56 Depth=1
	s_delay_alu instid0(SALU_CYCLE_1)
	s_or_b32 exec_lo, exec_lo, s2
	v_add_nc_u64_e32 v[18:19], s[8:9], v[104:105]
	v_dual_mov_b32 v15, v2 :: v_dual_mov_b32 v16, v2
	v_dual_mov_b32 v17, v2 :: v_dual_mov_b32 v3, v2
	v_dual_mov_b32 v4, v2 :: v_dual_mov_b32 v5, v2
	v_dual_mov_b32 v6, v2 :: v_dual_mov_b32 v7, v2
	v_dual_mov_b32 v8, v2 :: v_dual_mov_b32 v9, v2
	v_dual_mov_b32 v10, v2 :: v_dual_mov_b32 v11, v2
	v_dual_mov_b32 v12, v2 :: v_dual_mov_b32 v13, v2
	v_mov_b32_e32 v14, v2
	v_mov_b64_e32 v[34:35], v[16:17]
	v_cmp_gt_i64_e32 vcc_lo, s[4:5], v[18:19]
	v_mov_b64_e32 v[28:29], v[10:11]
	v_mov_b64_e32 v[30:31], v[12:13]
	;; [unrolled: 1-line block ×15, first 2 shown]
	s_and_saveexec_b32 s2, vcc_lo
	s_cbranch_execz .LBB42_63
; %bb.62:                               ;   in Loop: Header=BB42_56 Depth=1
	v_add_nc_u64_e32 v[6:7], v[72:73], v[70:71]
	v_add_nc_u64_e32 v[8:9], v[74:75], v[70:71]
	v_dual_mov_b32 v10, v2 :: v_dual_mov_b32 v11, v2
	v_dual_mov_b32 v12, v2 :: v_dual_mov_b32 v13, v2
	;; [unrolled: 1-line block ×3, first 2 shown]
	global_load_b64 v[4:5], v[6:7], off
	global_load_b64 v[20:21], v[8:9], off
	s_wait_xcnt 0x1
	v_dual_mov_b32 v6, v2 :: v_dual_mov_b32 v7, v2
	s_wait_xcnt 0x0
	v_dual_mov_b32 v8, v2 :: v_dual_mov_b32 v9, v2
	v_dual_mov_b32 v16, v2 :: v_dual_mov_b32 v17, v2
	;; [unrolled: 1-line block ×10, first 2 shown]
.LBB42_63:                              ;   in Loop: Header=BB42_56 Depth=1
	s_or_b32 exec_lo, exec_lo, s2
	v_add_nc_u64_e32 v[112:113], s[10:11], v[104:105]
	s_mov_b32 s2, exec_lo
	s_delay_alu instid0(VALU_DEP_1)
	v_cmpx_gt_i64_e64 s[4:5], v[112:113]
	s_cbranch_execz .LBB42_65
; %bb.64:                               ;   in Loop: Header=BB42_56 Depth=1
	v_add_nc_u64_e32 v[112:113], v[100:101], v[70:71]
	v_add_nc_u64_e32 v[114:115], v[102:103], v[70:71]
	global_load_b64 v[6:7], v[112:113], off
	global_load_b64 v[22:23], v[114:115], off
.LBB42_65:                              ;   in Loop: Header=BB42_56 Depth=1
	s_wait_xcnt 0x0
	s_or_b32 exec_lo, exec_lo, s2
	v_add_nc_u64_e32 v[112:113], s[22:23], v[104:105]
	s_mov_b32 s2, exec_lo
	s_delay_alu instid0(VALU_DEP_1)
	v_cmpx_gt_i64_e64 s[4:5], v[112:113]
	s_cbranch_execz .LBB42_67
; %bb.66:                               ;   in Loop: Header=BB42_56 Depth=1
	v_add_nc_u64_e32 v[112:113], v[96:97], v[70:71]
	v_add_nc_u64_e32 v[114:115], v[98:99], v[70:71]
	global_load_b64 v[8:9], v[112:113], off
	global_load_b64 v[24:25], v[114:115], off
.LBB42_67:                              ;   in Loop: Header=BB42_56 Depth=1
	s_wait_xcnt 0x0
	;; [unrolled: 13-line block ×7, first 2 shown]
	s_or_b32 exec_lo, exec_lo, s2
	s_wait_loadcnt 0x1
	ds_bpermute_b32 v112, v2, v108
	ds_bpermute_b32 v113, v2, v109
	s_wait_loadcnt 0x0
	ds_bpermute_b32 v114, v2, v106
	ds_bpermute_b32 v115, v2, v107
	v_add_f64_e32 v[116:117], v[36:37], v[4:5]
	s_mov_b32 s2, 0
	s_wait_dscnt 0x2
	v_add_f64_e64 v[20:21], v[20:21], -v[112:113]
	ds_bpermute_b32 v112, v2, v108 offset:4
	ds_bpermute_b32 v113, v2, v109 offset:4
	s_wait_dscnt 0x0
	v_add_f64_e64 v[22:23], v[22:23], -v[112:113]
	ds_bpermute_b32 v112, v2, v108 offset:8
	ds_bpermute_b32 v113, v2, v109 offset:8
	v_mul_f64_e32 v[20:21], v[4:5], v[20:21]
	s_wait_dscnt 0x0
	v_add_f64_e64 v[24:25], v[24:25], -v[112:113]
	ds_bpermute_b32 v112, v2, v106 offset:4
	ds_bpermute_b32 v113, v2, v107 offset:4
	v_mul_f64_e32 v[22:23], v[6:7], v[22:23]
	v_add_f64_e32 v[6:7], v[6:7], v[116:117]
	v_fma_f64 v[4:5], v[20:21], v[114:115], v[38:39]
	ds_bpermute_b32 v20, v2, v108 offset:12
	ds_bpermute_b32 v21, v2, v109 offset:12
	v_mul_f64_e32 v[24:25], v[8:9], v[24:25]
	s_wait_dscnt 0x0
	v_add_f64_e64 v[20:21], v[26:27], -v[20:21]
	ds_bpermute_b32 v26, v2, v106 offset:8
	ds_bpermute_b32 v27, v2, v107 offset:8
	v_add_f64_e32 v[6:7], v[8:9], v[6:7]
	ds_bpermute_b32 v8, v2, v108 offset:20
	ds_bpermute_b32 v9, v2, v109 offset:20
	v_fmac_f64_e32 v[4:5], v[22:23], v[112:113]
	ds_bpermute_b32 v22, v2, v108 offset:16
	ds_bpermute_b32 v23, v2, v109 offset:16
	s_wait_dscnt 0x2
	v_add_f64_e64 v[8:9], v[30:31], -v[8:9]
	s_wait_dscnt 0x0
	v_add_f64_e64 v[22:23], v[28:29], -v[22:23]
	v_mul_f64_e32 v[20:21], v[10:11], v[20:21]
	v_add_f64_e32 v[6:7], v[10:11], v[6:7]
	ds_bpermute_b32 v10, v2, v108 offset:24
	ds_bpermute_b32 v11, v2, v109 offset:24
	v_fmac_f64_e32 v[4:5], v[24:25], v[26:27]
	ds_bpermute_b32 v24, v2, v106 offset:12
	ds_bpermute_b32 v25, v2, v107 offset:12
	s_wait_dscnt 0x2
	v_add_f64_e64 v[10:11], v[32:33], -v[10:11]
	v_mul_f64_e32 v[8:9], v[14:15], v[8:9]
	v_mul_f64_e32 v[22:23], v[12:13], v[22:23]
	v_add_f64_e32 v[6:7], v[12:13], v[6:7]
	s_wait_dscnt 0x0
	v_fmac_f64_e32 v[4:5], v[20:21], v[24:25]
	ds_bpermute_b32 v20, v2, v106 offset:16
	ds_bpermute_b32 v21, v2, v107 offset:16
	;; [unrolled: 1-line block ×4, first 2 shown]
	v_mul_f64_e32 v[10:11], v[16:17], v[10:11]
	s_wait_dscnt 0x0
	v_add_f64_e64 v[12:13], v[34:35], -v[24:25]
	v_add_f64_e32 v[6:7], v[14:15], v[6:7]
	ds_bpermute_b32 v14, v2, v106 offset:28
	ds_bpermute_b32 v15, v2, v107 offset:28
	v_fmac_f64_e32 v[4:5], v[22:23], v[20:21]
	ds_bpermute_b32 v20, v2, v106 offset:20
	ds_bpermute_b32 v21, v2, v107 offset:20
	v_add_f64_e32 v[6:7], v[16:17], v[6:7]
	s_wait_dscnt 0x0
	v_fmac_f64_e32 v[4:5], v[8:9], v[20:21]
	v_mul_f64_e32 v[8:9], v[18:19], v[12:13]
	ds_bpermute_b32 v12, v2, v106 offset:24
	ds_bpermute_b32 v13, v2, v107 offset:24
	s_wait_dscnt 0x0
	v_fmac_f64_e32 v[4:5], v[10:11], v[12:13]
	v_mul_f64_e32 v[8:9], v[8:9], v[14:15]
.LBB42_78:                              ;   in Loop: Header=BB42_56 Depth=1
	s_and_b32 vcc_lo, exec_lo, s2
	s_cbranch_vccz .LBB42_55
; %bb.79:                               ;   in Loop: Header=BB42_56 Depth=1
	s_load_b32 s2, s[36:37], 0x0
	v_mov_b64_e32 v[4:5], 0
	v_mov_b64_e32 v[6:7], 0
	s_wait_kmcnt 0x0
	s_cmp_lt_u32 s16, s2
	s_cselect_b32 s2, 12, 18
	s_delay_alu instid0(SALU_CYCLE_1) | instskip(SKIP_4) | instid1(VALU_DEP_1)
	s_add_nc_u64 s[42:43], s[36:37], s[2:3]
	s_load_u16 s2, s[42:43], 0x0
	s_wait_kmcnt 0x0
	v_mad_u32_u24 v3, v1, s2, v110
	s_mov_b32 s2, exec_lo
	v_and_b32_e32 v8, 31, v3
	s_delay_alu instid0(VALU_DEP_1)
	v_cmpx_gt_u32_e32 8, v8
	s_cbranch_execz .LBB42_54
; %bb.80:                               ;   in Loop: Header=BB42_56 Depth=1
	v_mov_b32_e32 v9, v2
	v_mov_b64_e32 v[6:7], 0
	s_mov_b32 s17, exec_lo
	s_delay_alu instid0(VALU_DEP_2) | instskip(NEXT) | instid1(VALU_DEP_1)
	v_add_nc_u64_e32 v[4:5], v[104:105], v[8:9]
	v_add_nc_u64_e32 v[8:9], s[8:9], v[4:5]
	v_mov_b64_e32 v[4:5], 0
	s_delay_alu instid0(VALU_DEP_2)
	v_cmpx_gt_i64_e64 s[4:5], v[8:9]
	s_cbranch_execz .LBB42_53
; %bb.81:                               ;   in Loop: Header=BB42_56 Depth=1
	v_lshlrev_b64_e32 v[4:5], 3, v[8:9]
	s_delay_alu instid0(VALU_DEP_1)
	v_add_nc_u64_e32 v[8:9], s[12:13], v[4:5]
	v_add_nc_u64_e32 v[10:11], s[14:15], v[4:5]
	global_load_b64 v[6:7], v[8:9], off
	global_load_b64 v[4:5], v[10:11], off
	s_branch .LBB42_53
.LBB42_82:
	v_and_b32_e32 v1, 0x3ff, v0
	v_bfe_u32 v2, v0, 10, 10
	v_bfe_u32 v0, v0, 5, 5
	s_mov_b32 s2, exec_lo
	s_delay_alu instid0(VALU_DEP_2) | instskip(NEXT) | instid1(VALU_DEP_2)
	v_mad_u32_u24 v3, v2, 33, v1
	v_add_nc_u32_e32 v0, v0, v2
	s_delay_alu instid0(VALU_DEP_2)
	v_lshl_add_u32 v2, v3, 3, 0
	ds_store_b64 v2, v[38:39]
	ds_store_b64 v2, v[36:37] offset:2112
	s_wait_dscnt 0x0
	s_barrier_signal -1
	s_barrier_wait -1
	v_cmpx_gt_u32_e32 32, v0
	s_cbranch_execz .LBB42_114
; %bb.83:
	s_load_b128 s[8:11], s[0:1], 0x30
	v_and_b32_e32 v2, 31, v1
                                        ; implicit-def: $vgpr4_vgpr5
	s_wait_xcnt 0x0
	s_delay_alu instid0(VALU_DEP_1)
	v_cmp_gt_u32_e64 s0, 8, v2
	v_mul_u32_u24_e32 v8, 33, v2
                                        ; implicit-def: $vgpr2_vgpr3
	s_and_saveexec_b32 s1, s0
	s_cbranch_execz .LBB42_85
; %bb.84:
	s_delay_alu instid0(VALU_DEP_1) | instskip(NEXT) | instid1(VALU_DEP_1)
	v_add_nc_u32_e32 v2, v0, v8
	v_lshl_add_u32 v2, v2, 3, 0
	ds_load_b64 v[4:5], v2
	ds_load_b64 v[2:3], v2 offset:2112
.LBB42_85:
	s_or_b32 exec_lo, exec_lo, s1
	v_mbcnt_lo_u32_b32 v14, -1, 0
	s_mov_b32 s17, 0
	v_cmp_eq_u32_e64 s1, 0, v1
	s_lshl_b64 s[2:3], s[16:17], 5
	s_wait_kmcnt 0x0
	s_cmp_lg_u64 s[8:9], 0
	v_xor_b32_e32 v6, 4, v14
	s_cselect_b32 s5, -1, 0
	s_cmp_lg_u64 s[10:11], 0
	v_mov_b32_e32 v1, 0
	s_cselect_b32 s4, -1, 0
	v_cmp_gt_i32_e32 vcc_lo, 32, v6
	v_cndmask_b32_e32 v6, v14, v6, vcc_lo
	s_delay_alu instid0(VALU_DEP_1)
	v_lshlrev_b32_e32 v9, 2, v6
	s_wait_dscnt 0x1
	ds_bpermute_b32 v6, v9, v4
	ds_bpermute_b32 v7, v9, v5
	s_wait_dscnt 0x0
	v_add_f64_e32 v[4:5], v[4:5], v[6:7]
	v_xor_b32_e32 v6, 2, v14
	s_delay_alu instid0(VALU_DEP_1)
	v_cmp_gt_i32_e32 vcc_lo, 32, v6
	v_cndmask_b32_e32 v6, v14, v6, vcc_lo
	ds_bpermute_b32 v10, v9, v2
	ds_bpermute_b32 v11, v9, v3
	s_wait_dscnt 0x0
	v_add_f64_e32 v[2:3], v[2:3], v[10:11]
	v_lshlrev_b32_e32 v10, 2, v6
	ds_bpermute_b32 v6, v10, v4
	ds_bpermute_b32 v7, v10, v5
	s_wait_dscnt 0x0
	v_add_f64_e32 v[4:5], v[4:5], v[6:7]
	ds_bpermute_b32 v12, v10, v2
	ds_bpermute_b32 v13, v10, v3
	s_wait_dscnt 0x0
	v_dual_add_f64 v[6:7], v[2:3], v[12:13] :: v_dual_bitop2_b32 v2, 1, v14 bitop3:0x14
	s_delay_alu instid0(VALU_DEP_1) | instskip(SKIP_1) | instid1(VALU_DEP_1)
	v_cmp_gt_i32_e32 vcc_lo, 32, v2
	v_cndmask_b32_e32 v2, v14, v2, vcc_lo
	v_lshlrev_b32_e32 v11, 2, v2
	ds_bpermute_b32 v2, v11, v4
	ds_bpermute_b32 v3, v11, v5
	;; [unrolled: 1-line block ×4, first 2 shown]
	s_wait_dscnt 0x2
	v_add_f64_e32 v[2:3], v[4:5], v[2:3]
	s_wait_dscnt 0x0
	v_add_f64_e32 v[4:5], v[6:7], v[12:13]
	v_dual_mov_b32 v7, s3 :: v_dual_bitop2_b32 v6, s2, v0 bitop3:0x54
	s_delay_alu instid0(VALU_DEP_1) | instskip(SKIP_1) | instid1(SALU_CYCLE_1)
	v_cmp_gt_i64_e32 vcc_lo, s[6:7], v[6:7]
	s_and_b32 s13, s1, vcc_lo
	s_and_saveexec_b32 s12, s13
	s_cbranch_execz .LBB42_90
; %bb.86:
	s_and_not1_b32 vcc_lo, exec_lo, s5
	s_cbranch_vccnz .LBB42_88
; %bb.87:
	v_lshl_add_u64 v[12:13], v[6:7], 3, s[8:9]
	global_store_b64 v[12:13], v[2:3], off
.LBB42_88:
	s_and_not1_b32 vcc_lo, exec_lo, s4
	s_cbranch_vccnz .LBB42_90
; %bb.89:
	v_lshl_add_u64 v[6:7], v[6:7], 3, s[10:11]
	global_store_b64 v[6:7], v[4:5], off
.LBB42_90:
	s_wait_xcnt 0x0
	s_or_b32 exec_lo, exec_lo, s12
	v_cmp_gt_u32_e32 vcc_lo, 24, v0
	s_and_b32 exec_lo, exec_lo, vcc_lo
	s_cbranch_execz .LBB42_114
; %bb.91:
	s_and_saveexec_b32 s12, s0
	s_cbranch_execz .LBB42_93
; %bb.92:
	v_add_nc_u32_e32 v2, v0, v8
	s_delay_alu instid0(VALU_DEP_1)
	v_lshl_add_u32 v4, v2, 3, 0
	ds_load_b64 v[2:3], v4 offset:64
	ds_load_b64 v[4:5], v4 offset:2176
.LBB42_93:
	s_or_b32 exec_lo, exec_lo, s12
	s_wait_dscnt 0x1
	ds_bpermute_b32 v6, v9, v2
	ds_bpermute_b32 v7, v9, v3
	s_wait_dscnt 0x2
	ds_bpermute_b32 v12, v9, v4
	ds_bpermute_b32 v13, v9, v5
	s_wait_dscnt 0x2
	v_add_f64_e32 v[2:3], v[2:3], v[6:7]
	s_wait_dscnt 0x0
	v_add_f64_e32 v[4:5], v[4:5], v[12:13]
	ds_bpermute_b32 v6, v10, v2
	ds_bpermute_b32 v7, v10, v3
	s_wait_dscnt 0x0
	v_add_f64_e32 v[2:3], v[2:3], v[6:7]
	ds_bpermute_b32 v6, v11, v2
	ds_bpermute_b32 v7, v11, v3
	s_wait_dscnt 0x0
	v_dual_add_f64 v[2:3], v[2:3], v[6:7] :: v_dual_mov_b32 v7, 0
	ds_bpermute_b32 v12, v10, v4
	ds_bpermute_b32 v13, v10, v5
	v_add_nc_u32_e32 v6, 8, v0
	s_delay_alu instid0(VALU_DEP_1) | instskip(NEXT) | instid1(VALU_DEP_1)
	v_add_nc_u64_e32 v[6:7], s[2:3], v[6:7]
	v_cmp_gt_i64_e32 vcc_lo, s[6:7], v[6:7]
	s_wait_dscnt 0x0
	v_add_f64_e32 v[4:5], v[4:5], v[12:13]
	s_and_b32 s13, s1, vcc_lo
	ds_bpermute_b32 v12, v11, v4
	ds_bpermute_b32 v13, v11, v5
	s_wait_dscnt 0x0
	v_add_f64_e32 v[4:5], v[4:5], v[12:13]
	s_and_saveexec_b32 s12, s13
	s_cbranch_execz .LBB42_98
; %bb.94:
	s_and_not1_b32 vcc_lo, exec_lo, s5
	s_cbranch_vccnz .LBB42_96
; %bb.95:
	v_add_nc_u64_e32 v[6:7], s[2:3], v[0:1]
	s_delay_alu instid0(VALU_DEP_1)
	v_lshl_add_u64 v[6:7], v[6:7], 3, s[8:9]
	global_store_b64 v[6:7], v[2:3], off offset:64
.LBB42_96:
	s_and_not1_b32 vcc_lo, exec_lo, s4
	s_cbranch_vccnz .LBB42_98
; %bb.97:
	s_wait_xcnt 0x0
	v_add_nc_u64_e32 v[6:7], s[2:3], v[0:1]
	s_delay_alu instid0(VALU_DEP_1)
	v_lshl_add_u64 v[6:7], v[6:7], 3, s[10:11]
	global_store_b64 v[6:7], v[4:5], off offset:64
.LBB42_98:
	s_wait_xcnt 0x0
	s_or_b32 exec_lo, exec_lo, s12
	v_cmp_gt_u32_e32 vcc_lo, 16, v0
	s_and_b32 exec_lo, exec_lo, vcc_lo
	s_cbranch_execz .LBB42_114
; %bb.99:
	s_and_saveexec_b32 s12, s0
	s_cbranch_execz .LBB42_101
; %bb.100:
	v_add_nc_u32_e32 v2, v0, v8
	s_delay_alu instid0(VALU_DEP_1)
	v_lshl_add_u32 v4, v2, 3, 0
	ds_load_b64 v[2:3], v4 offset:128
	ds_load_b64 v[4:5], v4 offset:2240
.LBB42_101:
	s_or_b32 exec_lo, exec_lo, s12
	s_wait_dscnt 0x1
	ds_bpermute_b32 v6, v9, v2
	ds_bpermute_b32 v7, v9, v3
	s_wait_dscnt 0x2
	ds_bpermute_b32 v12, v9, v4
	ds_bpermute_b32 v13, v9, v5
	s_wait_dscnt 0x2
	v_add_f64_e32 v[2:3], v[2:3], v[6:7]
	ds_bpermute_b32 v6, v10, v2
	ds_bpermute_b32 v7, v10, v3
	s_wait_dscnt 0x0
	v_add_f64_e32 v[2:3], v[2:3], v[6:7]
	ds_bpermute_b32 v6, v11, v2
	ds_bpermute_b32 v7, v11, v3
	s_wait_dscnt 0x0
	v_dual_add_f64 v[2:3], v[2:3], v[6:7] :: v_dual_add_nc_u32 v6, 16, v0
	v_dual_add_f64 v[4:5], v[4:5], v[12:13] :: v_dual_mov_b32 v7, s3
	s_delay_alu instid0(VALU_DEP_2) | instskip(NEXT) | instid1(VALU_DEP_1)
	v_or_b32_e32 v6, s2, v6
	v_cmp_gt_i64_e32 vcc_lo, s[6:7], v[6:7]
	s_and_b32 s13, s1, vcc_lo
	ds_bpermute_b32 v12, v10, v4
	ds_bpermute_b32 v13, v10, v5
	s_wait_dscnt 0x0
	v_add_f64_e32 v[4:5], v[4:5], v[12:13]
	ds_bpermute_b32 v12, v11, v4
	ds_bpermute_b32 v13, v11, v5
	s_wait_dscnt 0x0
	v_add_f64_e32 v[4:5], v[4:5], v[12:13]
	s_and_saveexec_b32 s12, s13
	s_cbranch_execz .LBB42_106
; %bb.102:
	s_and_not1_b32 vcc_lo, exec_lo, s5
	s_cbranch_vccnz .LBB42_104
; %bb.103:
	v_add_nc_u64_e32 v[6:7], s[2:3], v[0:1]
	s_delay_alu instid0(VALU_DEP_1)
	v_lshl_add_u64 v[6:7], v[6:7], 3, s[8:9]
	global_store_b64 v[6:7], v[2:3], off offset:128
.LBB42_104:
	s_and_not1_b32 vcc_lo, exec_lo, s4
	s_cbranch_vccnz .LBB42_106
; %bb.105:
	s_wait_xcnt 0x0
	v_add_nc_u64_e32 v[6:7], s[2:3], v[0:1]
	s_delay_alu instid0(VALU_DEP_1)
	v_lshl_add_u64 v[6:7], v[6:7], 3, s[10:11]
	global_store_b64 v[6:7], v[4:5], off offset:128
.LBB42_106:
	s_wait_xcnt 0x0
	s_or_b32 exec_lo, exec_lo, s12
	v_cmp_gt_u32_e32 vcc_lo, 8, v0
	s_and_b32 exec_lo, exec_lo, vcc_lo
	s_cbranch_execz .LBB42_114
; %bb.107:
	s_and_saveexec_b32 s12, s0
	s_cbranch_execz .LBB42_109
; %bb.108:
	v_add_nc_u32_e32 v2, v0, v8
	s_delay_alu instid0(VALU_DEP_1)
	v_lshl_add_u32 v4, v2, 3, 0
	ds_load_b64 v[2:3], v4 offset:192
	ds_load_b64 v[4:5], v4 offset:2304
.LBB42_109:
	s_or_b32 exec_lo, exec_lo, s12
	s_wait_dscnt 0x1
	ds_bpermute_b32 v6, v9, v2
	ds_bpermute_b32 v7, v9, v3
	s_wait_dscnt 0x2
	ds_bpermute_b32 v8, v9, v4
	ds_bpermute_b32 v9, v9, v5
	s_wait_dscnt 0x2
	v_add_f64_e32 v[2:3], v[2:3], v[6:7]
	s_wait_dscnt 0x0
	v_add_f64_e32 v[4:5], v[4:5], v[8:9]
	ds_bpermute_b32 v6, v10, v2
	ds_bpermute_b32 v7, v10, v3
	;; [unrolled: 1-line block ×4, first 2 shown]
	v_add_nc_u32_e32 v10, 24, v0
	s_delay_alu instid0(VALU_DEP_1)
	v_or_b32_e32 v10, s2, v10
	s_wait_dscnt 0x2
	v_add_f64_e32 v[6:7], v[2:3], v[6:7]
	s_wait_dscnt 0x0
	v_add_f64_e32 v[2:3], v[4:5], v[8:9]
	ds_bpermute_b32 v8, v11, v6
	ds_bpermute_b32 v9, v11, v7
	;; [unrolled: 1-line block ×4, first 2 shown]
	v_mov_b32_e32 v11, s3
	s_delay_alu instid0(VALU_DEP_1) | instskip(SKIP_1) | instid1(SALU_CYCLE_1)
	v_cmp_gt_i64_e32 vcc_lo, s[6:7], v[10:11]
	s_and_b32 s0, s1, vcc_lo
	s_and_b32 exec_lo, exec_lo, s0
	s_cbranch_execz .LBB42_114
; %bb.110:
	v_add_nc_u64_e32 v[0:1], s[2:3], v[0:1]
	s_and_not1_b32 vcc_lo, exec_lo, s5
	s_cbranch_vccnz .LBB42_112
; %bb.111:
	s_wait_dscnt 0x2
	v_add_f64_e32 v[6:7], v[6:7], v[8:9]
	s_delay_alu instid0(VALU_DEP_2)
	v_lshl_add_u64 v[8:9], v[0:1], 3, s[8:9]
	global_store_b64 v[8:9], v[6:7], off offset:192
.LBB42_112:
	s_and_not1_b32 vcc_lo, exec_lo, s4
	s_cbranch_vccnz .LBB42_114
; %bb.113:
	s_wait_dscnt 0x0
	v_add_f64_e32 v[2:3], v[2:3], v[4:5]
	v_lshl_add_u64 v[0:1], v[0:1], 3, s[10:11]
	global_store_b64 v[0:1], v[2:3], off offset:192
.LBB42_114:
	s_sendmsg sendmsg(MSG_DEALLOC_VGPRS)
	s_endpgm
	.section	.rodata,"a",@progbits
	.p2align	6, 0x0
	.amdhsa_kernel _ZN2at6native12_GLOBAL__N_135GammaBetaBackwardCUDAKernelTemplateIddLj32ELj8ELj64ELb0ELb0ELb0EEEvllPKT_S5_PKT0_S8_PS3_S9_
		.amdhsa_group_segment_fixed_size 0
		.amdhsa_private_segment_fixed_size 0
		.amdhsa_kernarg_size 320
		.amdhsa_user_sgpr_count 2
		.amdhsa_user_sgpr_dispatch_ptr 0
		.amdhsa_user_sgpr_queue_ptr 0
		.amdhsa_user_sgpr_kernarg_segment_ptr 1
		.amdhsa_user_sgpr_dispatch_id 0
		.amdhsa_user_sgpr_kernarg_preload_length 0
		.amdhsa_user_sgpr_kernarg_preload_offset 0
		.amdhsa_user_sgpr_private_segment_size 0
		.amdhsa_wavefront_size32 1
		.amdhsa_uses_dynamic_stack 0
		.amdhsa_enable_private_segment 0
		.amdhsa_system_sgpr_workgroup_id_x 1
		.amdhsa_system_sgpr_workgroup_id_y 1
		.amdhsa_system_sgpr_workgroup_id_z 0
		.amdhsa_system_sgpr_workgroup_info 0
		.amdhsa_system_vgpr_workitem_id 1
		.amdhsa_next_free_vgpr 118
		.amdhsa_next_free_sgpr 52
		.amdhsa_named_barrier_count 0
		.amdhsa_reserve_vcc 1
		.amdhsa_float_round_mode_32 0
		.amdhsa_float_round_mode_16_64 0
		.amdhsa_float_denorm_mode_32 3
		.amdhsa_float_denorm_mode_16_64 3
		.amdhsa_fp16_overflow 0
		.amdhsa_memory_ordered 1
		.amdhsa_forward_progress 1
		.amdhsa_inst_pref_size 64
		.amdhsa_round_robin_scheduling 0
		.amdhsa_exception_fp_ieee_invalid_op 0
		.amdhsa_exception_fp_denorm_src 0
		.amdhsa_exception_fp_ieee_div_zero 0
		.amdhsa_exception_fp_ieee_overflow 0
		.amdhsa_exception_fp_ieee_underflow 0
		.amdhsa_exception_fp_ieee_inexact 0
		.amdhsa_exception_int_div_zero 0
	.end_amdhsa_kernel
	.section	.text._ZN2at6native12_GLOBAL__N_135GammaBetaBackwardCUDAKernelTemplateIddLj32ELj8ELj64ELb0ELb0ELb0EEEvllPKT_S5_PKT0_S8_PS3_S9_,"axG",@progbits,_ZN2at6native12_GLOBAL__N_135GammaBetaBackwardCUDAKernelTemplateIddLj32ELj8ELj64ELb0ELb0ELb0EEEvllPKT_S5_PKT0_S8_PS3_S9_,comdat
.Lfunc_end42:
	.size	_ZN2at6native12_GLOBAL__N_135GammaBetaBackwardCUDAKernelTemplateIddLj32ELj8ELj64ELb0ELb0ELb0EEEvllPKT_S5_PKT0_S8_PS3_S9_, .Lfunc_end42-_ZN2at6native12_GLOBAL__N_135GammaBetaBackwardCUDAKernelTemplateIddLj32ELj8ELj64ELb0ELb0ELb0EEEvllPKT_S5_PKT0_S8_PS3_S9_
                                        ; -- End function
	.set _ZN2at6native12_GLOBAL__N_135GammaBetaBackwardCUDAKernelTemplateIddLj32ELj8ELj64ELb0ELb0ELb0EEEvllPKT_S5_PKT0_S8_PS3_S9_.num_vgpr, 118
	.set _ZN2at6native12_GLOBAL__N_135GammaBetaBackwardCUDAKernelTemplateIddLj32ELj8ELj64ELb0ELb0ELb0EEEvllPKT_S5_PKT0_S8_PS3_S9_.num_agpr, 0
	.set _ZN2at6native12_GLOBAL__N_135GammaBetaBackwardCUDAKernelTemplateIddLj32ELj8ELj64ELb0ELb0ELb0EEEvllPKT_S5_PKT0_S8_PS3_S9_.numbered_sgpr, 52
	.set _ZN2at6native12_GLOBAL__N_135GammaBetaBackwardCUDAKernelTemplateIddLj32ELj8ELj64ELb0ELb0ELb0EEEvllPKT_S5_PKT0_S8_PS3_S9_.num_named_barrier, 0
	.set _ZN2at6native12_GLOBAL__N_135GammaBetaBackwardCUDAKernelTemplateIddLj32ELj8ELj64ELb0ELb0ELb0EEEvllPKT_S5_PKT0_S8_PS3_S9_.private_seg_size, 0
	.set _ZN2at6native12_GLOBAL__N_135GammaBetaBackwardCUDAKernelTemplateIddLj32ELj8ELj64ELb0ELb0ELb0EEEvllPKT_S5_PKT0_S8_PS3_S9_.uses_vcc, 1
	.set _ZN2at6native12_GLOBAL__N_135GammaBetaBackwardCUDAKernelTemplateIddLj32ELj8ELj64ELb0ELb0ELb0EEEvllPKT_S5_PKT0_S8_PS3_S9_.uses_flat_scratch, 0
	.set _ZN2at6native12_GLOBAL__N_135GammaBetaBackwardCUDAKernelTemplateIddLj32ELj8ELj64ELb0ELb0ELb0EEEvllPKT_S5_PKT0_S8_PS3_S9_.has_dyn_sized_stack, 0
	.set _ZN2at6native12_GLOBAL__N_135GammaBetaBackwardCUDAKernelTemplateIddLj32ELj8ELj64ELb0ELb0ELb0EEEvllPKT_S5_PKT0_S8_PS3_S9_.has_recursion, 0
	.set _ZN2at6native12_GLOBAL__N_135GammaBetaBackwardCUDAKernelTemplateIddLj32ELj8ELj64ELb0ELb0ELb0EEEvllPKT_S5_PKT0_S8_PS3_S9_.has_indirect_call, 0
	.section	.AMDGPU.csdata,"",@progbits
; Kernel info:
; codeLenInByte = 8168
; TotalNumSgprs: 54
; NumVgprs: 118
; ScratchSize: 0
; MemoryBound: 1
; FloatMode: 240
; IeeeMode: 1
; LDSByteSize: 0 bytes/workgroup (compile time only)
; SGPRBlocks: 0
; VGPRBlocks: 7
; NumSGPRsForWavesPerEU: 54
; NumVGPRsForWavesPerEU: 118
; NamedBarCnt: 0
; Occupancy: 8
; WaveLimiterHint : 0
; COMPUTE_PGM_RSRC2:SCRATCH_EN: 0
; COMPUTE_PGM_RSRC2:USER_SGPR: 2
; COMPUTE_PGM_RSRC2:TRAP_HANDLER: 0
; COMPUTE_PGM_RSRC2:TGID_X_EN: 1
; COMPUTE_PGM_RSRC2:TGID_Y_EN: 1
; COMPUTE_PGM_RSRC2:TGID_Z_EN: 0
; COMPUTE_PGM_RSRC2:TIDIG_COMP_CNT: 1
	.section	.text._ZN2at6native12_GLOBAL__N_135GammaBetaBackwardCUDAKernelTemplateIddLj32ELj16ELj128ELb0ELb1ELb0EEEvllPKT_S5_PKT0_S8_PS3_S9_,"axG",@progbits,_ZN2at6native12_GLOBAL__N_135GammaBetaBackwardCUDAKernelTemplateIddLj32ELj16ELj128ELb0ELb1ELb0EEEvllPKT_S5_PKT0_S8_PS3_S9_,comdat
	.globl	_ZN2at6native12_GLOBAL__N_135GammaBetaBackwardCUDAKernelTemplateIddLj32ELj16ELj128ELb0ELb1ELb0EEEvllPKT_S5_PKT0_S8_PS3_S9_ ; -- Begin function _ZN2at6native12_GLOBAL__N_135GammaBetaBackwardCUDAKernelTemplateIddLj32ELj16ELj128ELb0ELb1ELb0EEEvllPKT_S5_PKT0_S8_PS3_S9_
	.p2align	8
	.type	_ZN2at6native12_GLOBAL__N_135GammaBetaBackwardCUDAKernelTemplateIddLj32ELj16ELj128ELb0ELb1ELb0EEEvllPKT_S5_PKT0_S8_PS3_S9_,@function
_ZN2at6native12_GLOBAL__N_135GammaBetaBackwardCUDAKernelTemplateIddLj32ELj16ELj128ELb0ELb1ELb0EEEvllPKT_S5_PKT0_S8_PS3_S9_: ; @_ZN2at6native12_GLOBAL__N_135GammaBetaBackwardCUDAKernelTemplateIddLj32ELj16ELj128ELb0ELb1ELb0EEEvllPKT_S5_PKT0_S8_PS3_S9_
; %bb.0:
	s_load_b128 s[12:15], s[0:1], 0x0
	s_bfe_u32 s2, ttmp6, 0x40010
	s_bfe_u32 s4, ttmp6, 0x40004
	s_add_co_i32 s2, s2, 1
	s_getreg_b32 s3, hwreg(HW_REG_IB_STS2, 6, 4)
	s_mul_i32 s2, ttmp7, s2
	s_mov_b32 s17, 0
	s_add_co_i32 s4, s4, s2
	s_cmp_eq_u32 s3, 0
	v_bfe_u32 v17, v0, 10, 10
	s_cselect_b32 s2, ttmp7, s4
	s_delay_alu instid0(SALU_CYCLE_1)
	s_lshl_b32 s16, s2, 7
	s_wait_kmcnt 0x0
	v_cmp_gt_i64_e64 s2, s[12:13], s[16:17]
	s_and_b32 vcc_lo, exec_lo, s2
	s_cbranch_vccnz .LBB43_2
; %bb.1:
	v_bfe_u32 v1, v0, 10, 10
	s_mov_b32 s2, s17
	s_branch .LBB43_3
.LBB43_2:
	s_mov_b32 s2, -1
                                        ; implicit-def: $vgpr1
.LBB43_3:
	v_mov_b64_e32 v[14:15], 0
	v_mov_b64_e32 v[2:3], 0
	v_and_b32_e32 v16, 0x3ff, v0
	s_and_not1_b32 vcc_lo, exec_lo, s2
	s_cbranch_vccnz .LBB43_11
; %bb.4:
	v_dual_mov_b32 v1, 0 :: v_dual_lshlrev_b32 v0, 3, v17
	s_load_b32 s2, s[0:1], 0x4c
	s_bfe_u32 s21, ttmp6, 0x4000c
	s_clause 0x1
	s_load_b32 s18, s[0:1], 0x44
	s_load_b256 s[4:11], s[0:1], 0x10
	s_add_co_i32 s21, s21, 1
	v_add_nc_u64_e32 v[2:3], s[16:17], v[0:1]
	s_and_b32 s20, ttmp6, 15
	s_mul_i32 s21, ttmp9, s21
	v_dual_mov_b32 v19, 12 :: v_dual_mov_b32 v7, v1
	s_add_co_i32 s20, s20, s21
	v_mov_b64_e32 v[14:15], 0
	s_delay_alu instid0(VALU_DEP_3)
	v_mul_u64_e32 v[8:9], s[14:15], v[2:3]
	s_mov_b32 s19, 0
	v_dual_mov_b32 v0, 8 :: v_dual_mov_b32 v18, 4
	v_dual_mov_b32 v20, 16 :: v_dual_mov_b32 v21, 20
	;; [unrolled: 1-line block ×3, first 2 shown]
	s_wait_kmcnt 0x0
	s_and_b32 s2, s2, 0xffff
	s_cmp_eq_u32 s3, 0
	v_mad_u32_u24 v4, v17, s2, v16
	v_mov_b32_e32 v11, v1
	s_cselect_b32 s2, ttmp9, s20
	s_lshl_b32 s18, s18, 7
	v_lshl_add_u32 v10, s2, 5, v16
	v_and_b32_e32 v6, 31, v4
	s_mul_u64 s[22:23], s[14:15], s[18:19]
	s_lshl_b64 s[20:21], s[18:19], 3
	s_lshl_b64 s[22:23], s[22:23], 3
	v_lshlrev_b64_e32 v[10:11], 3, v[10:11]
	v_add_nc_u64_e32 v[4:5], v[2:3], v[6:7]
	v_mov_b64_e32 v[2:3], 0
	v_cmp_gt_u32_e64 s2, 8, v6
	s_lshl_b64 s[14:15], s[14:15], 3
	v_lshlrev_b64_e32 v[6:7], 3, v[4:5]
	v_lshl_add_u64 v[8:9], v[8:9], 3, v[10:11]
	s_branch .LBB43_7
.LBB43_5:                               ;   in Loop: Header=BB43_7 Depth=1
	s_wait_xcnt 0x0
	s_or_b32 exec_lo, exec_lo, s25
.LBB43_6:                               ;   in Loop: Header=BB43_7 Depth=1
	s_delay_alu instid0(SALU_CYCLE_1)
	s_or_b32 exec_lo, exec_lo, s24
	v_add_nc_u64_e32 v[24:25], s[6:7], v[8:9]
	v_add_nc_u64_e32 v[28:29], s[4:5], v[8:9]
	s_wait_loadcnt 0x0
	ds_bpermute_b32 v58, v1, v10
	ds_bpermute_b32 v59, v1, v11
	s_add_nc_u64 s[16:17], s[16:17], s[18:19]
	v_add_nc_u64_e32 v[6:7], s[20:21], v[6:7]
	v_cmp_lt_i64_e64 s24, s[16:17], s[12:13]
	global_load_b64 v[26:27], v[24:25], off
	s_wait_xcnt 0x0
	v_add_nc_u64_e32 v[24:25], s[14:15], v[24:25]
	v_add_nc_u64_e32 v[4:5], s[18:19], v[4:5]
	;; [unrolled: 1-line block ×3, first 2 shown]
	global_load_b64 v[30:31], v[24:25], off
	global_load_b64 v[32:33], v[28:29], off
	s_wait_xcnt 0x1
	v_add_nc_u64_e32 v[24:25], s[14:15], v[24:25]
	s_wait_xcnt 0x0
	v_add_nc_u64_e32 v[28:29], s[14:15], v[28:29]
	s_and_b32 vcc_lo, exec_lo, s24
	global_load_b64 v[34:35], v[24:25], off
	global_load_b64 v[36:37], v[28:29], off
	s_wait_xcnt 0x1
	v_add_nc_u64_e32 v[24:25], s[14:15], v[24:25]
	s_wait_xcnt 0x0
	v_add_nc_u64_e32 v[28:29], s[14:15], v[28:29]
	global_load_b64 v[38:39], v[24:25], off
	global_load_b64 v[40:41], v[28:29], off
	s_wait_xcnt 0x1
	v_add_nc_u64_e32 v[24:25], s[14:15], v[24:25]
	s_wait_xcnt 0x0
	v_add_nc_u64_e32 v[28:29], s[14:15], v[28:29]
	;; [unrolled: 6-line block ×5, first 2 shown]
	global_load_b64 v[54:55], v[24:25], off
	global_load_b64 v[56:57], v[28:29], off
	s_wait_xcnt 0x1
	v_add_nc_u64_e32 v[24:25], s[14:15], v[28:29]
	s_wait_xcnt 0x0
	ds_bpermute_b32 v28, v1, v12
	ds_bpermute_b32 v29, v1, v13
	global_load_b64 v[24:25], v[24:25], off
	s_wait_loadcnt_dscnt 0xf00
	v_add_f64_e64 v[26:27], v[26:27], -v[28:29]
	ds_bpermute_b32 v28, v18, v12
	ds_bpermute_b32 v29, v18, v13
	s_wait_loadcnt 0xd
	v_add_f64_e32 v[14:15], v[14:15], v[32:33]
	s_wait_dscnt 0x0
	v_add_f64_e64 v[28:29], v[30:31], -v[28:29]
	ds_bpermute_b32 v30, v0, v12
	ds_bpermute_b32 v31, v0, v13
	v_mul_f64_e32 v[26:27], v[32:33], v[26:27]
	ds_bpermute_b32 v32, v18, v10
	ds_bpermute_b32 v33, v18, v11
	s_wait_loadcnt 0xb
	v_add_f64_e32 v[14:15], v[14:15], v[36:37]
	s_wait_dscnt 0x2
	v_add_f64_e64 v[30:31], v[34:35], -v[30:31]
	v_mul_f64_e32 v[28:29], v[36:37], v[28:29]
	v_fmac_f64_e32 v[2:3], v[26:27], v[58:59]
	ds_bpermute_b32 v26, v19, v12
	ds_bpermute_b32 v27, v19, v13
	s_wait_loadcnt 0x9
	v_add_f64_e32 v[14:15], v[14:15], v[40:41]
	v_mul_f64_e32 v[30:31], v[40:41], v[30:31]
	s_wait_dscnt 0x0
	v_add_f64_e64 v[26:27], v[38:39], -v[26:27]
	v_fmac_f64_e32 v[2:3], v[28:29], v[32:33]
	ds_bpermute_b32 v28, v20, v12
	ds_bpermute_b32 v29, v20, v13
	;; [unrolled: 1-line block ×4, first 2 shown]
	s_wait_loadcnt 0x7
	v_add_f64_e32 v[14:15], v[14:15], v[44:45]
	s_wait_dscnt 0x2
	v_add_f64_e64 v[28:29], v[42:43], -v[28:29]
	v_mul_f64_e32 v[26:27], v[44:45], v[26:27]
	s_wait_dscnt 0x0
	v_fmac_f64_e32 v[2:3], v[30:31], v[32:33]
	ds_bpermute_b32 v30, v21, v12
	ds_bpermute_b32 v31, v21, v13
	;; [unrolled: 1-line block ×4, first 2 shown]
	s_wait_loadcnt 0x5
	v_add_f64_e32 v[14:15], v[14:15], v[48:49]
	s_wait_dscnt 0x2
	v_add_f64_e64 v[30:31], v[46:47], -v[30:31]
	v_mul_f64_e32 v[28:29], v[48:49], v[28:29]
	s_wait_dscnt 0x0
	v_fmac_f64_e32 v[2:3], v[26:27], v[32:33]
	ds_bpermute_b32 v26, v22, v12
	ds_bpermute_b32 v27, v22, v13
	;; [unrolled: 1-line block ×6, first 2 shown]
	s_wait_loadcnt 0x3
	v_add_f64_e32 v[14:15], v[14:15], v[52:53]
	s_wait_dscnt 0x4
	v_add_f64_e64 v[26:27], v[50:51], -v[26:27]
	v_mul_f64_e32 v[30:31], v[52:53], v[30:31]
	s_wait_loadcnt_dscnt 0x200
	v_add_f64_e64 v[12:13], v[54:55], -v[12:13]
	v_fmac_f64_e32 v[2:3], v[28:29], v[32:33]
	ds_bpermute_b32 v28, v21, v10
	ds_bpermute_b32 v29, v21, v11
	s_wait_loadcnt 0x1
	v_add_f64_e32 v[14:15], v[14:15], v[56:57]
	v_mul_f64_e32 v[26:27], v[56:57], v[26:27]
	s_wait_loadcnt 0x0
	v_mul_f64_e32 v[12:13], v[24:25], v[12:13]
	s_wait_dscnt 0x0
	v_fmac_f64_e32 v[2:3], v[30:31], v[28:29]
	ds_bpermute_b32 v28, v22, v10
	ds_bpermute_b32 v29, v22, v11
	;; [unrolled: 1-line block ×4, first 2 shown]
	v_add_f64_e32 v[14:15], v[14:15], v[24:25]
	s_wait_dscnt 0x2
	v_fmac_f64_e32 v[2:3], v[26:27], v[28:29]
	s_wait_dscnt 0x0
	s_delay_alu instid0(VALU_DEP_1)
	v_fmac_f64_e32 v[2:3], v[12:13], v[10:11]
	s_cbranch_vccz .LBB43_10
.LBB43_7:                               ; =>This Inner Loop Header: Depth=1
	v_mov_b64_e32 v[10:11], 0
	v_mov_b64_e32 v[12:13], 0
	s_and_saveexec_b32 s24, s2
	s_cbranch_execz .LBB43_6
; %bb.8:                                ;   in Loop: Header=BB43_7 Depth=1
	v_mov_b64_e32 v[12:13], 0
	v_mov_b64_e32 v[10:11], 0
	s_mov_b32 s25, exec_lo
	v_cmpx_gt_i64_e64 s[12:13], v[4:5]
	s_cbranch_execz .LBB43_5
; %bb.9:                                ;   in Loop: Header=BB43_7 Depth=1
	v_add_nc_u64_e32 v[24:25], s[8:9], v[6:7]
	v_add_nc_u64_e32 v[26:27], s[10:11], v[6:7]
	global_load_b64 v[12:13], v[24:25], off
	global_load_b64 v[10:11], v[26:27], off
	s_branch .LBB43_5
.LBB43_10:
	v_mov_b32_e32 v1, v17
.LBB43_11:
	s_load_b128 s[4:7], s[0:1], 0x30
	s_delay_alu instid0(VALU_DEP_1) | instskip(SKIP_3) | instid1(VALU_DEP_2)
	v_mad_u32_u24 v0, v1, 33, v16
	v_lshrrev_b32_e32 v4, 5, v16
	s_wait_xcnt 0x0
	s_mov_b32 s0, exec_lo
	v_lshl_add_u32 v5, v0, 3, 0
	s_delay_alu instid0(VALU_DEP_2)
	v_add_nc_u32_e32 v0, v4, v1
	ds_store_b64 v5, v[2:3]
	ds_store_b64 v5, v[14:15] offset:4224
	s_wait_dscnt 0x0
	s_barrier_signal -1
	s_barrier_wait -1
	v_cmpx_gt_u32_e32 32, v0
	s_cbranch_execz .LBB43_27
; %bb.12:
	v_and_b32_e32 v1, 31, v16
                                        ; implicit-def: $vgpr2_vgpr3
                                        ; implicit-def: $vgpr4_vgpr5
	s_delay_alu instid0(VALU_DEP_1)
	v_cmp_gt_u32_e64 s0, 16, v1
	v_mul_u32_u24_e32 v8, 33, v1
	s_and_saveexec_b32 s1, s0
	s_cbranch_execz .LBB43_14
; %bb.13:
	s_delay_alu instid0(VALU_DEP_1) | instskip(NEXT) | instid1(VALU_DEP_1)
	v_add_nc_u32_e32 v1, v0, v8
	v_lshl_add_u32 v1, v1, 3, 0
	ds_load_b64 v[4:5], v1
	ds_load_b64 v[2:3], v1 offset:4224
.LBB43_14:
	s_or_b32 exec_lo, exec_lo, s1
	v_mbcnt_lo_u32_b32 v1, -1, 0
	s_bfe_u32 s1, ttmp6, 0x4000c
	s_and_b32 s2, ttmp6, 15
	s_add_co_i32 s1, s1, 1
	s_delay_alu instid0(SALU_CYCLE_1)
	s_mul_i32 s1, ttmp9, s1
	v_xor_b32_e32 v6, 8, v1
	s_add_co_i32 s2, s2, s1
	s_cmp_eq_u32 s3, 0
	s_mov_b32 s3, 0
	s_cselect_b32 s2, ttmp9, s2
	v_cmp_gt_i32_e32 vcc_lo, 32, v6
	s_lshl_b64 s[2:3], s[2:3], 5
	s_wait_kmcnt 0x0
	s_cmp_lg_u64 s[4:5], 0
	v_cmp_eq_u32_e64 s1, 0, v16
	s_cselect_b32 s9, -1, 0
	v_cndmask_b32_e32 v6, v1, v6, vcc_lo
	s_cmp_lg_u64 s[6:7], 0
	s_cselect_b32 s8, -1, 0
	s_delay_alu instid0(VALU_DEP_1)
	v_lshlrev_b32_e32 v9, 2, v6
	s_wait_dscnt 0x1
	ds_bpermute_b32 v6, v9, v4
	ds_bpermute_b32 v7, v9, v5
	s_wait_dscnt 0x0
	v_dual_add_f64 v[4:5], v[4:5], v[6:7] :: v_dual_bitop2_b32 v6, 4, v1 bitop3:0x14
	ds_bpermute_b32 v10, v9, v2
	ds_bpermute_b32 v11, v9, v3
	v_cmp_gt_i32_e32 vcc_lo, 32, v6
	v_cndmask_b32_e32 v6, v1, v6, vcc_lo
	s_wait_dscnt 0x0
	v_add_f64_e32 v[2:3], v[2:3], v[10:11]
	s_delay_alu instid0(VALU_DEP_2) | instskip(SKIP_4) | instid1(VALU_DEP_1)
	v_lshlrev_b32_e32 v10, 2, v6
	ds_bpermute_b32 v6, v10, v4
	ds_bpermute_b32 v7, v10, v5
	s_wait_dscnt 0x0
	v_dual_add_f64 v[4:5], v[4:5], v[6:7] :: v_dual_bitop2_b32 v6, 2, v1 bitop3:0x14
	v_cmp_gt_i32_e32 vcc_lo, 32, v6
	v_cndmask_b32_e32 v6, v1, v6, vcc_lo
	ds_bpermute_b32 v12, v10, v2
	ds_bpermute_b32 v13, v10, v3
	s_wait_dscnt 0x0
	v_dual_add_f64 v[2:3], v[2:3], v[12:13] :: v_dual_lshlrev_b32 v11, 2, v6
	ds_bpermute_b32 v6, v11, v4
	ds_bpermute_b32 v7, v11, v5
	s_wait_dscnt 0x0
	v_add_f64_e32 v[4:5], v[4:5], v[6:7]
	ds_bpermute_b32 v12, v11, v2
	ds_bpermute_b32 v13, v11, v3
	s_wait_dscnt 0x0
	v_add_f64_e32 v[6:7], v[2:3], v[12:13]
	v_xor_b32_e32 v2, 1, v1
	s_delay_alu instid0(VALU_DEP_1) | instskip(SKIP_1) | instid1(VALU_DEP_1)
	v_cmp_gt_i32_e32 vcc_lo, 32, v2
	v_cndmask_b32_e32 v1, v1, v2, vcc_lo
	v_dual_mov_b32 v1, 0 :: v_dual_lshlrev_b32 v12, 2, v1
	ds_bpermute_b32 v2, v12, v4
	ds_bpermute_b32 v3, v12, v5
	;; [unrolled: 1-line block ×4, first 2 shown]
	s_wait_dscnt 0x2
	v_add_f64_e32 v[2:3], v[4:5], v[2:3]
	s_wait_dscnt 0x0
	v_add_f64_e32 v[4:5], v[6:7], v[14:15]
	s_and_saveexec_b32 s10, s1
	s_cbranch_execz .LBB43_19
; %bb.15:
	v_dual_mov_b32 v7, s3 :: v_dual_bitop2_b32 v6, s2, v0 bitop3:0x54
	s_and_not1_b32 vcc_lo, exec_lo, s9
	s_cbranch_vccnz .LBB43_17
; %bb.16:
	s_delay_alu instid0(VALU_DEP_1)
	v_lshl_add_u64 v[14:15], v[6:7], 3, s[4:5]
	global_store_b64 v[14:15], v[2:3], off
.LBB43_17:
	s_and_not1_b32 vcc_lo, exec_lo, s8
	s_cbranch_vccnz .LBB43_19
; %bb.18:
	v_lshl_add_u64 v[6:7], v[6:7], 3, s[6:7]
	global_store_b64 v[6:7], v[4:5], off
.LBB43_19:
	s_wait_xcnt 0x0
	s_or_b32 exec_lo, exec_lo, s10
	v_cmp_gt_u32_e32 vcc_lo, 16, v0
	s_and_b32 exec_lo, exec_lo, vcc_lo
	s_cbranch_execz .LBB43_27
; %bb.20:
	s_and_saveexec_b32 s10, s0
	s_cbranch_execz .LBB43_22
; %bb.21:
	v_add_nc_u32_e32 v2, v0, v8
	s_delay_alu instid0(VALU_DEP_1)
	v_lshl_add_u32 v4, v2, 3, 0
	ds_load_b64 v[2:3], v4 offset:128
	ds_load_b64 v[4:5], v4 offset:4352
.LBB43_22:
	s_or_b32 exec_lo, exec_lo, s10
	s_wait_dscnt 0x1
	ds_bpermute_b32 v6, v9, v2
	ds_bpermute_b32 v7, v9, v3
	s_wait_dscnt 0x2
	ds_bpermute_b32 v8, v9, v4
	ds_bpermute_b32 v9, v9, v5
	s_wait_dscnt 0x2
	v_add_f64_e32 v[2:3], v[2:3], v[6:7]
	s_wait_dscnt 0x0
	v_add_f64_e32 v[4:5], v[4:5], v[8:9]
	ds_bpermute_b32 v6, v10, v2
	ds_bpermute_b32 v7, v10, v3
	ds_bpermute_b32 v8, v10, v4
	ds_bpermute_b32 v9, v10, v5
	s_wait_dscnt 0x2
	v_add_f64_e32 v[2:3], v[2:3], v[6:7]
	s_wait_dscnt 0x0
	v_add_f64_e32 v[4:5], v[4:5], v[8:9]
	ds_bpermute_b32 v6, v11, v2
	ds_bpermute_b32 v7, v11, v3
	;; [unrolled: 8-line block ×3, first 2 shown]
	ds_bpermute_b32 v4, v12, v2
	ds_bpermute_b32 v5, v12, v3
	s_and_b32 exec_lo, exec_lo, s1
	s_cbranch_execz .LBB43_27
; %bb.23:
	v_add_nc_u64_e32 v[0:1], s[2:3], v[0:1]
	s_and_not1_b32 vcc_lo, exec_lo, s9
	s_cbranch_vccnz .LBB43_25
; %bb.24:
	s_wait_dscnt 0x2
	v_add_f64_e32 v[6:7], v[6:7], v[8:9]
	s_delay_alu instid0(VALU_DEP_2)
	v_lshl_add_u64 v[8:9], v[0:1], 3, s[4:5]
	global_store_b64 v[8:9], v[6:7], off offset:128
.LBB43_25:
	s_and_not1_b32 vcc_lo, exec_lo, s8
	s_cbranch_vccnz .LBB43_27
; %bb.26:
	s_wait_dscnt 0x0
	v_add_f64_e32 v[2:3], v[2:3], v[4:5]
	v_lshl_add_u64 v[0:1], v[0:1], 3, s[6:7]
	global_store_b64 v[0:1], v[2:3], off offset:128
.LBB43_27:
	s_endpgm
	.section	.rodata,"a",@progbits
	.p2align	6, 0x0
	.amdhsa_kernel _ZN2at6native12_GLOBAL__N_135GammaBetaBackwardCUDAKernelTemplateIddLj32ELj16ELj128ELb0ELb1ELb0EEEvllPKT_S5_PKT0_S8_PS3_S9_
		.amdhsa_group_segment_fixed_size 0
		.amdhsa_private_segment_fixed_size 0
		.amdhsa_kernarg_size 320
		.amdhsa_user_sgpr_count 2
		.amdhsa_user_sgpr_dispatch_ptr 0
		.amdhsa_user_sgpr_queue_ptr 0
		.amdhsa_user_sgpr_kernarg_segment_ptr 1
		.amdhsa_user_sgpr_dispatch_id 0
		.amdhsa_user_sgpr_kernarg_preload_length 0
		.amdhsa_user_sgpr_kernarg_preload_offset 0
		.amdhsa_user_sgpr_private_segment_size 0
		.amdhsa_wavefront_size32 1
		.amdhsa_uses_dynamic_stack 0
		.amdhsa_enable_private_segment 0
		.amdhsa_system_sgpr_workgroup_id_x 1
		.amdhsa_system_sgpr_workgroup_id_y 1
		.amdhsa_system_sgpr_workgroup_id_z 0
		.amdhsa_system_sgpr_workgroup_info 0
		.amdhsa_system_vgpr_workitem_id 1
		.amdhsa_next_free_vgpr 60
		.amdhsa_next_free_sgpr 26
		.amdhsa_named_barrier_count 0
		.amdhsa_reserve_vcc 1
		.amdhsa_float_round_mode_32 0
		.amdhsa_float_round_mode_16_64 0
		.amdhsa_float_denorm_mode_32 3
		.amdhsa_float_denorm_mode_16_64 3
		.amdhsa_fp16_overflow 0
		.amdhsa_memory_ordered 1
		.amdhsa_forward_progress 1
		.amdhsa_inst_pref_size 18
		.amdhsa_round_robin_scheduling 0
		.amdhsa_exception_fp_ieee_invalid_op 0
		.amdhsa_exception_fp_denorm_src 0
		.amdhsa_exception_fp_ieee_div_zero 0
		.amdhsa_exception_fp_ieee_overflow 0
		.amdhsa_exception_fp_ieee_underflow 0
		.amdhsa_exception_fp_ieee_inexact 0
		.amdhsa_exception_int_div_zero 0
	.end_amdhsa_kernel
	.section	.text._ZN2at6native12_GLOBAL__N_135GammaBetaBackwardCUDAKernelTemplateIddLj32ELj16ELj128ELb0ELb1ELb0EEEvllPKT_S5_PKT0_S8_PS3_S9_,"axG",@progbits,_ZN2at6native12_GLOBAL__N_135GammaBetaBackwardCUDAKernelTemplateIddLj32ELj16ELj128ELb0ELb1ELb0EEEvllPKT_S5_PKT0_S8_PS3_S9_,comdat
.Lfunc_end43:
	.size	_ZN2at6native12_GLOBAL__N_135GammaBetaBackwardCUDAKernelTemplateIddLj32ELj16ELj128ELb0ELb1ELb0EEEvllPKT_S5_PKT0_S8_PS3_S9_, .Lfunc_end43-_ZN2at6native12_GLOBAL__N_135GammaBetaBackwardCUDAKernelTemplateIddLj32ELj16ELj128ELb0ELb1ELb0EEEvllPKT_S5_PKT0_S8_PS3_S9_
                                        ; -- End function
	.set _ZN2at6native12_GLOBAL__N_135GammaBetaBackwardCUDAKernelTemplateIddLj32ELj16ELj128ELb0ELb1ELb0EEEvllPKT_S5_PKT0_S8_PS3_S9_.num_vgpr, 60
	.set _ZN2at6native12_GLOBAL__N_135GammaBetaBackwardCUDAKernelTemplateIddLj32ELj16ELj128ELb0ELb1ELb0EEEvllPKT_S5_PKT0_S8_PS3_S9_.num_agpr, 0
	.set _ZN2at6native12_GLOBAL__N_135GammaBetaBackwardCUDAKernelTemplateIddLj32ELj16ELj128ELb0ELb1ELb0EEEvllPKT_S5_PKT0_S8_PS3_S9_.numbered_sgpr, 26
	.set _ZN2at6native12_GLOBAL__N_135GammaBetaBackwardCUDAKernelTemplateIddLj32ELj16ELj128ELb0ELb1ELb0EEEvllPKT_S5_PKT0_S8_PS3_S9_.num_named_barrier, 0
	.set _ZN2at6native12_GLOBAL__N_135GammaBetaBackwardCUDAKernelTemplateIddLj32ELj16ELj128ELb0ELb1ELb0EEEvllPKT_S5_PKT0_S8_PS3_S9_.private_seg_size, 0
	.set _ZN2at6native12_GLOBAL__N_135GammaBetaBackwardCUDAKernelTemplateIddLj32ELj16ELj128ELb0ELb1ELb0EEEvllPKT_S5_PKT0_S8_PS3_S9_.uses_vcc, 1
	.set _ZN2at6native12_GLOBAL__N_135GammaBetaBackwardCUDAKernelTemplateIddLj32ELj16ELj128ELb0ELb1ELb0EEEvllPKT_S5_PKT0_S8_PS3_S9_.uses_flat_scratch, 0
	.set _ZN2at6native12_GLOBAL__N_135GammaBetaBackwardCUDAKernelTemplateIddLj32ELj16ELj128ELb0ELb1ELb0EEEvllPKT_S5_PKT0_S8_PS3_S9_.has_dyn_sized_stack, 0
	.set _ZN2at6native12_GLOBAL__N_135GammaBetaBackwardCUDAKernelTemplateIddLj32ELj16ELj128ELb0ELb1ELb0EEEvllPKT_S5_PKT0_S8_PS3_S9_.has_recursion, 0
	.set _ZN2at6native12_GLOBAL__N_135GammaBetaBackwardCUDAKernelTemplateIddLj32ELj16ELj128ELb0ELb1ELb0EEEvllPKT_S5_PKT0_S8_PS3_S9_.has_indirect_call, 0
	.section	.AMDGPU.csdata,"",@progbits
; Kernel info:
; codeLenInByte = 2240
; TotalNumSgprs: 28
; NumVgprs: 60
; ScratchSize: 0
; MemoryBound: 0
; FloatMode: 240
; IeeeMode: 1
; LDSByteSize: 0 bytes/workgroup (compile time only)
; SGPRBlocks: 0
; VGPRBlocks: 3
; NumSGPRsForWavesPerEU: 28
; NumVGPRsForWavesPerEU: 60
; NamedBarCnt: 0
; Occupancy: 16
; WaveLimiterHint : 0
; COMPUTE_PGM_RSRC2:SCRATCH_EN: 0
; COMPUTE_PGM_RSRC2:USER_SGPR: 2
; COMPUTE_PGM_RSRC2:TRAP_HANDLER: 0
; COMPUTE_PGM_RSRC2:TGID_X_EN: 1
; COMPUTE_PGM_RSRC2:TGID_Y_EN: 1
; COMPUTE_PGM_RSRC2:TGID_Z_EN: 0
; COMPUTE_PGM_RSRC2:TIDIG_COMP_CNT: 1
	.section	.text._ZN2at6native12_GLOBAL__N_135GammaBetaBackwardCUDAKernelTemplateIddLj32ELj16ELj128ELb0ELb0ELb0EEEvllPKT_S5_PKT0_S8_PS3_S9_,"axG",@progbits,_ZN2at6native12_GLOBAL__N_135GammaBetaBackwardCUDAKernelTemplateIddLj32ELj16ELj128ELb0ELb0ELb0EEEvllPKT_S5_PKT0_S8_PS3_S9_,comdat
	.globl	_ZN2at6native12_GLOBAL__N_135GammaBetaBackwardCUDAKernelTemplateIddLj32ELj16ELj128ELb0ELb0ELb0EEEvllPKT_S5_PKT0_S8_PS3_S9_ ; -- Begin function _ZN2at6native12_GLOBAL__N_135GammaBetaBackwardCUDAKernelTemplateIddLj32ELj16ELj128ELb0ELb0ELb0EEEvllPKT_S5_PKT0_S8_PS3_S9_
	.p2align	8
	.type	_ZN2at6native12_GLOBAL__N_135GammaBetaBackwardCUDAKernelTemplateIddLj32ELj16ELj128ELb0ELb0ELb0EEEvllPKT_S5_PKT0_S8_PS3_S9_,@function
_ZN2at6native12_GLOBAL__N_135GammaBetaBackwardCUDAKernelTemplateIddLj32ELj16ELj128ELb0ELb0ELb0EEEvllPKT_S5_PKT0_S8_PS3_S9_: ; @_ZN2at6native12_GLOBAL__N_135GammaBetaBackwardCUDAKernelTemplateIddLj32ELj16ELj128ELb0ELb0ELb0EEEvllPKT_S5_PKT0_S8_PS3_S9_
; %bb.0:
	s_load_b256 s[4:11], s[0:1], 0x0
	s_bfe_u32 s3, ttmp6, 0x4000c
	s_bfe_u32 s12, ttmp6, 0x40010
	s_add_co_i32 s3, s3, 1
	s_add_co_i32 s12, s12, 1
	s_and_b32 s2, ttmp6, 15
	s_bfe_u32 s13, ttmp6, 0x40004
	s_mul_i32 s3, ttmp9, s3
	s_mul_i32 s12, ttmp7, s12
	s_getreg_b32 s14, hwreg(HW_REG_IB_STS2, 6, 4)
	s_add_co_i32 s2, s2, s3
	s_add_co_i32 s3, s13, s12
	s_cmp_eq_u32 s14, 0
	s_mov_b32 s19, 0
	s_cselect_b32 s16, ttmp9, s2
	s_cselect_b32 s2, ttmp7, s3
	s_lshl_b32 s3, s16, 5
	s_load_b128 s[12:15], s[0:1], 0x20
	s_or_b32 s18, s3, 31
	s_wait_kmcnt 0x0
	v_cmp_le_i64_e64 s20, s[6:7], s[18:19]
	s_lshl_b32 s18, s2, 7
	s_delay_alu instid0(SALU_CYCLE_1) | instskip(SKIP_2) | instid1(VALU_DEP_1)
	v_cmp_gt_i64_e64 s17, s[4:5], s[18:19]
	s_and_b32 vcc_lo, exec_lo, s20
	v_cndmask_b32_e64 v1, 0, 1, s17
	v_cmp_ne_u32_e64 s2, 1, v1
	s_cbranch_vccz .LBB44_49
; %bb.1:
	v_mov_b64_e32 v[36:37], 0
	v_mov_b64_e32 v[38:39], 0
	s_and_b32 vcc_lo, exec_lo, s2
	s_cbranch_vccnz .LBB44_50
; %bb.2:
	v_bfe_u32 v1, v0, 10, 10
	v_mov_b32_e32 v2, 0
	v_and_b32_e32 v84, 0x3ff, v0
	s_load_b32 s20, s[0:1], 0x44
	s_mov_b32 s21, 0
	s_delay_alu instid0(VALU_DEP_2) | instskip(NEXT) | instid1(VALU_DEP_2)
	v_dual_mov_b32 v41, v2 :: v_dual_lshlrev_b32 v40, 3, v1
	v_dual_mov_b32 v19, v2 :: v_dual_add_nc_u32 v18, s3, v84
	v_mov_b64_e32 v[76:77], 0
	v_mov_b64_e32 v[36:37], 0
	s_delay_alu instid0(VALU_DEP_4)
	v_add_nc_u64_e32 v[4:5], s[18:19], v[40:41]
	s_mov_b32 s35, s21
	v_cmp_gt_i64_e64 s2, s[6:7], v[18:19]
	v_lshlrev_b64_e32 v[42:43], 3, v[18:19]
	s_mov_b64 s[22:23], 0xffffffffffffff81
	s_mov_b64 s[24:25], 0xffffffffffffff82
	;; [unrolled: 1-line block ×3, first 2 shown]
	v_mul_u64_e32 v[6:7], s[6:7], v[4:5]
	v_add_nc_u64_e32 v[8:9], 7, v[4:5]
	v_add_nc_u64_e32 v[10:11], 6, v[4:5]
	;; [unrolled: 1-line block ×6, first 2 shown]
	s_wait_kmcnt 0x0
	s_lshl_b32 s34, s20, 7
	v_mul_u64_e32 v[8:9], s[6:7], v[8:9]
	v_mul_u64_e32 v[10:11], s[6:7], v[10:11]
	v_mul_u64_e32 v[12:13], s[6:7], v[12:13]
	v_mul_u64_e32 v[14:15], s[6:7], v[14:15]
	v_mul_u64_e32 v[16:17], s[6:7], v[16:17]
	v_mul_u64_e32 v[4:5], s[6:7], v[4:5]
	s_mul_u64 s[44:45], s[6:7], s[34:35]
	s_mov_b64 s[28:29], 0xffffffffffffff84
	s_mov_b64 s[30:31], 0xffffffffffffff85
	;; [unrolled: 1-line block ×5, first 2 shown]
	s_add_nc_u64 s[42:43], s[0:1], 64
	s_lshl_b64 s[44:45], s[44:45], 3
	s_add_nc_u64 s[46:47], s[18:19], 0x7f
	s_mov_b64 s[48:49], s[18:19]
	v_lshlrev_b64_e32 v[20:21], 3, v[6:7]
	v_add_nc_u64_e32 v[6:7], s[6:7], v[6:7]
	s_delay_alu instid0(VALU_DEP_2)
	v_add_nc_u64_e32 v[44:45], s[8:9], v[20:21]
	v_lshlrev_b64_e32 v[8:9], 3, v[8:9]
	v_lshlrev_b64_e32 v[10:11], 3, v[10:11]
	;; [unrolled: 1-line block ×7, first 2 shown]
	v_add_nc_u64_e32 v[46:47], s[10:11], v[20:21]
	v_add_nc_u64_e32 v[48:49], s[8:9], v[8:9]
	;; [unrolled: 1-line block ×15, first 2 shown]
.LBB44_3:                               ; =>This Inner Loop Header: Depth=1
	v_cmp_ge_i64_e64 s20, s[46:47], s[4:5]
	v_add_nc_u64_e32 v[78:79], s[46:47], v[40:41]
                                        ; implicit-def: $vgpr4_vgpr5_vgpr6_vgpr7_vgpr8_vgpr9_vgpr10_vgpr11_vgpr12_vgpr13_vgpr14_vgpr15_vgpr16_vgpr17_vgpr18_vgpr19
                                        ; implicit-def: $vgpr82_vgpr83
                                        ; implicit-def: $vgpr20_vgpr21_vgpr22_vgpr23_vgpr24_vgpr25_vgpr26_vgpr27_vgpr28_vgpr29_vgpr30_vgpr31_vgpr32_vgpr33_vgpr34_vgpr35
                                        ; implicit-def: $vgpr6
                                        ; implicit-def: $vgpr4_vgpr5
                                        ; implicit-def: $vgpr38_vgpr39
	s_and_b32 vcc_lo, exec_lo, s20
	s_mov_b32 s20, -1
	s_cbranch_vccz .LBB44_25
; %bb.4:                                ;   in Loop: Header=BB44_3 Depth=1
	s_load_b32 s20, s[42:43], 0xc
	v_mov_b64_e32 v[82:83], 0
	v_mov_b64_e32 v[80:81], 0
	s_wait_kmcnt 0x0
	s_and_b32 s20, s20, 0xffff
	s_delay_alu instid0(SALU_CYCLE_1) | instskip(SKIP_1) | instid1(VALU_DEP_1)
	v_mad_u32_u24 v3, v1, s20, v84
	s_mov_b32 s20, exec_lo
	v_and_b32_e32 v4, 31, v3
	s_delay_alu instid0(VALU_DEP_1)
	v_cmpx_gt_u32_e32 8, v4
	s_cbranch_execz .LBB44_8
; %bb.5:                                ;   in Loop: Header=BB44_3 Depth=1
	v_mov_b32_e32 v5, v2
	v_mov_b64_e32 v[80:81], 0
	v_mov_b64_e32 v[82:83], 0
	s_mov_b32 s33, exec_lo
	s_delay_alu instid0(VALU_DEP_3) | instskip(NEXT) | instid1(VALU_DEP_1)
	v_add_nc_u64_e32 v[4:5], v[78:79], v[4:5]
	v_add_nc_u64_e32 v[4:5], s[22:23], v[4:5]
	s_delay_alu instid0(VALU_DEP_1)
	v_cmpx_gt_i64_e64 s[4:5], v[4:5]
	s_cbranch_execz .LBB44_7
; %bb.6:                                ;   in Loop: Header=BB44_3 Depth=1
	v_lshlrev_b64_e32 v[4:5], 3, v[4:5]
	s_delay_alu instid0(VALU_DEP_1)
	v_add_nc_u64_e32 v[6:7], s[12:13], v[4:5]
	v_add_nc_u64_e32 v[4:5], s[14:15], v[4:5]
	global_load_b64 v[80:81], v[6:7], off
	global_load_b64 v[82:83], v[4:5], off
.LBB44_7:                               ;   in Loop: Header=BB44_3 Depth=1
	s_wait_xcnt 0x0
	s_or_b32 exec_lo, exec_lo, s33
.LBB44_8:                               ;   in Loop: Header=BB44_3 Depth=1
	s_delay_alu instid0(SALU_CYCLE_1)
	s_or_b32 exec_lo, exec_lo, s20
	v_add_nc_u64_e32 v[18:19], s[22:23], v[78:79]
	v_dual_mov_b32 v15, v2 :: v_dual_mov_b32 v16, v2
	v_dual_mov_b32 v17, v2 :: v_dual_mov_b32 v3, v2
	;; [unrolled: 1-line block ×7, first 2 shown]
	v_mov_b32_e32 v14, v2
	v_cmp_gt_i64_e32 vcc_lo, s[4:5], v[18:19]
	v_mov_b64_e32 v[34:35], v[16:17]
	v_mov_b64_e32 v[28:29], v[10:11]
	;; [unrolled: 1-line block ×16, first 2 shown]
	s_and_b32 s33, s2, vcc_lo
	s_delay_alu instid0(SALU_CYCLE_1)
	s_and_saveexec_b32 s20, s33
	s_cbranch_execz .LBB44_10
; %bb.9:                                ;   in Loop: Header=BB44_3 Depth=1
	v_add_nc_u64_e32 v[6:7], v[44:45], v[42:43]
	v_add_nc_u64_e32 v[8:9], v[46:47], v[42:43]
	v_dual_mov_b32 v10, v2 :: v_dual_mov_b32 v11, v2
	v_dual_mov_b32 v12, v2 :: v_dual_mov_b32 v13, v2
	;; [unrolled: 1-line block ×3, first 2 shown]
	global_load_b64 v[4:5], v[6:7], off
	global_load_b64 v[20:21], v[8:9], off
	s_wait_xcnt 0x1
	v_dual_mov_b32 v6, v2 :: v_dual_mov_b32 v7, v2
	s_wait_xcnt 0x0
	v_dual_mov_b32 v8, v2 :: v_dual_mov_b32 v9, v2
	v_dual_mov_b32 v16, v2 :: v_dual_mov_b32 v17, v2
	;; [unrolled: 1-line block ×10, first 2 shown]
.LBB44_10:                              ;   in Loop: Header=BB44_3 Depth=1
	s_or_b32 exec_lo, exec_lo, s20
	v_add_nc_u64_e32 v[38:39], s[24:25], v[78:79]
	s_delay_alu instid0(VALU_DEP_1) | instskip(SKIP_1) | instid1(SALU_CYCLE_1)
	v_cmp_gt_i64_e32 vcc_lo, s[4:5], v[38:39]
	s_and_b32 s33, s2, vcc_lo
	s_and_saveexec_b32 s20, s33
	s_cbranch_execz .LBB44_12
; %bb.11:                               ;   in Loop: Header=BB44_3 Depth=1
	v_add_nc_u64_e32 v[38:39], v[72:73], v[42:43]
	v_add_nc_u64_e32 v[86:87], v[74:75], v[42:43]
	global_load_b64 v[6:7], v[38:39], off
	global_load_b64 v[22:23], v[86:87], off
.LBB44_12:                              ;   in Loop: Header=BB44_3 Depth=1
	s_wait_xcnt 0x0
	s_or_b32 exec_lo, exec_lo, s20
	v_add_nc_u64_e32 v[38:39], s[26:27], v[78:79]
	s_delay_alu instid0(VALU_DEP_1) | instskip(SKIP_1) | instid1(SALU_CYCLE_1)
	v_cmp_gt_i64_e32 vcc_lo, s[4:5], v[38:39]
	s_and_b32 s33, s2, vcc_lo
	s_and_saveexec_b32 s20, s33
	s_cbranch_execz .LBB44_14
; %bb.13:                               ;   in Loop: Header=BB44_3 Depth=1
	v_add_nc_u64_e32 v[38:39], v[68:69], v[42:43]
	v_add_nc_u64_e32 v[86:87], v[70:71], v[42:43]
	global_load_b64 v[8:9], v[38:39], off
	global_load_b64 v[24:25], v[86:87], off
.LBB44_14:                              ;   in Loop: Header=BB44_3 Depth=1
	s_wait_xcnt 0x0
	s_or_b32 exec_lo, exec_lo, s20
	v_add_nc_u64_e32 v[38:39], s[28:29], v[78:79]
	s_delay_alu instid0(VALU_DEP_1) | instskip(SKIP_1) | instid1(SALU_CYCLE_1)
	v_cmp_gt_i64_e32 vcc_lo, s[4:5], v[38:39]
	s_and_b32 s33, s2, vcc_lo
	s_and_saveexec_b32 s20, s33
	s_cbranch_execz .LBB44_16
; %bb.15:                               ;   in Loop: Header=BB44_3 Depth=1
	v_add_nc_u64_e32 v[38:39], v[64:65], v[42:43]
	v_add_nc_u64_e32 v[86:87], v[66:67], v[42:43]
	global_load_b64 v[10:11], v[38:39], off
	global_load_b64 v[26:27], v[86:87], off
.LBB44_16:                              ;   in Loop: Header=BB44_3 Depth=1
	s_wait_xcnt 0x0
	s_or_b32 exec_lo, exec_lo, s20
	v_add_nc_u64_e32 v[38:39], s[30:31], v[78:79]
	s_delay_alu instid0(VALU_DEP_1) | instskip(SKIP_1) | instid1(SALU_CYCLE_1)
	v_cmp_gt_i64_e32 vcc_lo, s[4:5], v[38:39]
	s_and_b32 s33, s2, vcc_lo
	s_and_saveexec_b32 s20, s33
	s_cbranch_execz .LBB44_18
; %bb.17:                               ;   in Loop: Header=BB44_3 Depth=1
	v_add_nc_u64_e32 v[38:39], v[60:61], v[42:43]
	v_add_nc_u64_e32 v[86:87], v[62:63], v[42:43]
	global_load_b64 v[12:13], v[38:39], off
	global_load_b64 v[28:29], v[86:87], off
.LBB44_18:                              ;   in Loop: Header=BB44_3 Depth=1
	s_wait_xcnt 0x0
	s_or_b32 exec_lo, exec_lo, s20
	v_add_nc_u64_e32 v[38:39], s[36:37], v[78:79]
	s_delay_alu instid0(VALU_DEP_1) | instskip(SKIP_1) | instid1(SALU_CYCLE_1)
	v_cmp_gt_i64_e32 vcc_lo, s[4:5], v[38:39]
	s_and_b32 s33, s2, vcc_lo
	s_and_saveexec_b32 s20, s33
	s_cbranch_execz .LBB44_20
; %bb.19:                               ;   in Loop: Header=BB44_3 Depth=1
	v_add_nc_u64_e32 v[38:39], v[56:57], v[42:43]
	v_add_nc_u64_e32 v[86:87], v[58:59], v[42:43]
	global_load_b64 v[14:15], v[38:39], off
	global_load_b64 v[30:31], v[86:87], off
.LBB44_20:                              ;   in Loop: Header=BB44_3 Depth=1
	s_wait_xcnt 0x0
	s_or_b32 exec_lo, exec_lo, s20
	v_add_nc_u64_e32 v[38:39], s[38:39], v[78:79]
	s_delay_alu instid0(VALU_DEP_1) | instskip(SKIP_1) | instid1(SALU_CYCLE_1)
	v_cmp_gt_i64_e32 vcc_lo, s[4:5], v[38:39]
	s_and_b32 s33, s2, vcc_lo
	s_and_saveexec_b32 s20, s33
	s_cbranch_execz .LBB44_22
; %bb.21:                               ;   in Loop: Header=BB44_3 Depth=1
	v_add_nc_u64_e32 v[38:39], v[52:53], v[42:43]
	v_add_nc_u64_e32 v[86:87], v[54:55], v[42:43]
	global_load_b64 v[16:17], v[38:39], off
	global_load_b64 v[32:33], v[86:87], off
.LBB44_22:                              ;   in Loop: Header=BB44_3 Depth=1
	s_wait_xcnt 0x0
	s_or_b32 exec_lo, exec_lo, s20
	v_add_nc_u64_e32 v[38:39], s[40:41], v[78:79]
	s_delay_alu instid0(VALU_DEP_1) | instskip(SKIP_1) | instid1(SALU_CYCLE_1)
	v_cmp_gt_i64_e32 vcc_lo, s[4:5], v[38:39]
	s_and_b32 s33, s2, vcc_lo
	s_and_saveexec_b32 s20, s33
	s_cbranch_execz .LBB44_24
; %bb.23:                               ;   in Loop: Header=BB44_3 Depth=1
	v_add_nc_u64_e32 v[38:39], v[48:49], v[42:43]
	v_add_nc_u64_e32 v[86:87], v[50:51], v[42:43]
	global_load_b64 v[18:19], v[38:39], off
	global_load_b64 v[34:35], v[86:87], off
.LBB44_24:                              ;   in Loop: Header=BB44_3 Depth=1
	s_wait_xcnt 0x0
	s_or_b32 exec_lo, exec_lo, s20
	s_wait_loadcnt 0x1
	ds_bpermute_b32 v38, v2, v80
	ds_bpermute_b32 v39, v2, v81
	s_wait_loadcnt 0x0
	ds_bpermute_b32 v86, v2, v82
	ds_bpermute_b32 v87, v2, v83
	s_mov_b32 s20, 0
	s_wait_dscnt 0x2
	v_add_f64_e64 v[20:21], v[20:21], -v[38:39]
	ds_bpermute_b32 v38, v2, v80 offset:4
	ds_bpermute_b32 v39, v2, v81 offset:4
	s_wait_dscnt 0x0
	v_add_f64_e64 v[22:23], v[22:23], -v[38:39]
	ds_bpermute_b32 v38, v2, v80 offset:8
	ds_bpermute_b32 v39, v2, v81 offset:8
	v_mul_f64_e32 v[20:21], v[4:5], v[20:21]
	v_add_f64_e32 v[4:5], v[36:37], v[4:5]
	s_wait_dscnt 0x0
	v_add_f64_e64 v[24:25], v[24:25], -v[38:39]
	v_mul_f64_e32 v[22:23], v[6:7], v[22:23]
	s_delay_alu instid0(VALU_DEP_4)
	v_fma_f64 v[38:39], v[20:21], v[86:87], v[76:77]
	ds_bpermute_b32 v20, v2, v80 offset:12
	ds_bpermute_b32 v21, v2, v81 offset:12
	;; [unrolled: 1-line block ×4, first 2 shown]
	v_add_f64_e32 v[4:5], v[6:7], v[4:5]
	ds_bpermute_b32 v6, v2, v80 offset:16
	ds_bpermute_b32 v7, v2, v81 offset:16
	v_mul_f64_e32 v[24:25], v[8:9], v[24:25]
	s_wait_dscnt 0x4
	v_add_f64_e64 v[20:21], v[26:27], -v[20:21]
	s_wait_dscnt 0x0
	v_add_f64_e64 v[6:7], v[28:29], -v[6:7]
	v_fmac_f64_e32 v[38:39], v[22:23], v[86:87]
	ds_bpermute_b32 v22, v2, v82 offset:8
	ds_bpermute_b32 v23, v2, v83 offset:8
	v_add_f64_e32 v[4:5], v[8:9], v[4:5]
	ds_bpermute_b32 v8, v2, v80 offset:20
	ds_bpermute_b32 v9, v2, v81 offset:20
	v_mul_f64_e32 v[20:21], v[10:11], v[20:21]
	s_wait_dscnt 0x0
	v_add_f64_e64 v[8:9], v[30:31], -v[8:9]
	v_mul_f64_e32 v[6:7], v[12:13], v[6:7]
	v_fmac_f64_e32 v[38:39], v[24:25], v[22:23]
	ds_bpermute_b32 v22, v2, v82 offset:12
	ds_bpermute_b32 v23, v2, v83 offset:12
	v_add_f64_e32 v[4:5], v[10:11], v[4:5]
	ds_bpermute_b32 v10, v2, v80 offset:24
	ds_bpermute_b32 v11, v2, v81 offset:24
	s_wait_dscnt 0x0
	v_add_f64_e64 v[10:11], v[32:33], -v[10:11]
	v_mul_f64_e32 v[8:9], v[14:15], v[8:9]
	v_fmac_f64_e32 v[38:39], v[20:21], v[22:23]
	ds_bpermute_b32 v20, v2, v82 offset:16
	ds_bpermute_b32 v21, v2, v83 offset:16
	v_add_f64_e32 v[4:5], v[12:13], v[4:5]
	v_mul_f64_e32 v[10:11], v[16:17], v[10:11]
	s_wait_dscnt 0x0
	v_fmac_f64_e32 v[38:39], v[6:7], v[20:21]
	ds_bpermute_b32 v6, v2, v82 offset:20
	ds_bpermute_b32 v7, v2, v83 offset:20
	v_add_f64_e32 v[4:5], v[14:15], v[4:5]
	s_wait_dscnt 0x0
	v_fmac_f64_e32 v[38:39], v[8:9], v[6:7]
	ds_bpermute_b32 v6, v2, v82 offset:24
	ds_bpermute_b32 v7, v2, v83 offset:24
	;; [unrolled: 1-line block ×4, first 2 shown]
	v_add_f64_e32 v[4:5], v[16:17], v[4:5]
	s_wait_dscnt 0x2
	v_fmac_f64_e32 v[38:39], v[10:11], v[6:7]
	ds_bpermute_b32 v6, v2, v80 offset:28
	ds_bpermute_b32 v7, v2, v81 offset:28
.LBB44_25:                              ;   in Loop: Header=BB44_3 Depth=1
	s_and_b32 vcc_lo, exec_lo, s20
	s_cbranch_vccz .LBB44_40
; %bb.26:                               ;   in Loop: Header=BB44_3 Depth=1
	s_load_b32 s20, s[42:43], 0x0
	v_mov_b64_e32 v[80:81], 0
	v_mov_b64_e32 v[38:39], 0
	s_wait_kmcnt 0x0
	s_cmp_lt_u32 s16, s20
	s_cselect_b32 s20, 12, 18
	s_delay_alu instid0(SALU_CYCLE_1) | instskip(SKIP_4) | instid1(VALU_DEP_1)
	s_add_nc_u64 s[50:51], s[42:43], s[20:21]
	s_load_u16 s20, s[50:51], 0x0
	s_wait_kmcnt 0x0
	v_mad_u32_u24 v3, v1, s20, v84
	s_mov_b32 s20, exec_lo
	v_and_b32_e32 v4, 31, v3
	s_delay_alu instid0(VALU_DEP_1)
	v_cmpx_gt_u32_e32 8, v4
	s_cbranch_execz .LBB44_30
; %bb.27:                               ;   in Loop: Header=BB44_3 Depth=1
	v_mov_b32_e32 v5, v2
	v_mov_b64_e32 v[38:39], 0
	v_mov_b64_e32 v[80:81], 0
	s_mov_b32 s33, exec_lo
	s_delay_alu instid0(VALU_DEP_3) | instskip(NEXT) | instid1(VALU_DEP_1)
	v_add_nc_u64_e32 v[4:5], v[78:79], v[4:5]
	v_add_nc_u64_e32 v[4:5], s[22:23], v[4:5]
	s_delay_alu instid0(VALU_DEP_1)
	v_cmpx_gt_i64_e64 s[4:5], v[4:5]
	s_cbranch_execz .LBB44_29
; %bb.28:                               ;   in Loop: Header=BB44_3 Depth=1
	v_lshlrev_b64_e32 v[4:5], 3, v[4:5]
	s_wait_dscnt 0x0
	s_delay_alu instid0(VALU_DEP_1)
	v_add_nc_u64_e32 v[6:7], s[12:13], v[4:5]
	v_add_nc_u64_e32 v[4:5], s[14:15], v[4:5]
	global_load_b64 v[38:39], v[6:7], off
	global_load_b64 v[80:81], v[4:5], off
.LBB44_29:                              ;   in Loop: Header=BB44_3 Depth=1
	s_wait_xcnt 0x0
	s_or_b32 exec_lo, exec_lo, s33
.LBB44_30:                              ;   in Loop: Header=BB44_3 Depth=1
	s_delay_alu instid0(SALU_CYCLE_1)
	s_or_b32 exec_lo, exec_lo, s20
	v_dual_mov_b32 v15, v2 :: v_dual_mov_b32 v16, v2
	v_dual_mov_b32 v17, v2 :: v_dual_mov_b32 v3, v2
	v_dual_mov_b32 v4, v2 :: v_dual_mov_b32 v5, v2
	s_wait_dscnt 0x0
	v_dual_mov_b32 v6, v2 :: v_dual_mov_b32 v7, v2
	v_dual_mov_b32 v8, v2 :: v_dual_mov_b32 v9, v2
	;; [unrolled: 1-line block ×4, first 2 shown]
	v_mov_b32_e32 v14, v2
	v_mov_b64_e32 v[34:35], v[16:17]
	s_delay_alu instid0(VALU_DEP_4)
	v_mov_b64_e32 v[28:29], v[10:11]
	v_mov_b64_e32 v[26:27], v[8:9]
	;; [unrolled: 1-line block ×15, first 2 shown]
	s_and_saveexec_b32 s20, s2
	s_cbranch_execnz .LBB44_42
; %bb.31:                               ;   in Loop: Header=BB44_3 Depth=1
	s_or_b32 exec_lo, exec_lo, s20
	s_and_saveexec_b32 s20, s2
	s_cbranch_execnz .LBB44_43
.LBB44_32:                              ;   in Loop: Header=BB44_3 Depth=1
	s_or_b32 exec_lo, exec_lo, s20
	s_and_saveexec_b32 s20, s2
	s_cbranch_execnz .LBB44_44
.LBB44_33:                              ;   in Loop: Header=BB44_3 Depth=1
	s_or_b32 exec_lo, exec_lo, s20
	s_and_saveexec_b32 s20, s2
	s_cbranch_execnz .LBB44_45
.LBB44_34:                              ;   in Loop: Header=BB44_3 Depth=1
	s_or_b32 exec_lo, exec_lo, s20
	s_and_saveexec_b32 s20, s2
	s_cbranch_execnz .LBB44_46
.LBB44_35:                              ;   in Loop: Header=BB44_3 Depth=1
	s_or_b32 exec_lo, exec_lo, s20
	s_and_saveexec_b32 s20, s2
	s_cbranch_execnz .LBB44_47
.LBB44_36:                              ;   in Loop: Header=BB44_3 Depth=1
	s_or_b32 exec_lo, exec_lo, s20
	s_and_saveexec_b32 s20, s2
	s_cbranch_execnz .LBB44_48
.LBB44_37:                              ;   in Loop: Header=BB44_3 Depth=1
	s_or_b32 exec_lo, exec_lo, s20
	s_and_saveexec_b32 s20, s2
	s_cbranch_execz .LBB44_39
.LBB44_38:                              ;   in Loop: Header=BB44_3 Depth=1
	v_add_nc_u64_e32 v[78:79], v[48:49], v[42:43]
	v_add_nc_u64_e32 v[82:83], v[50:51], v[42:43]
	global_load_b64 v[18:19], v[78:79], off
	global_load_b64 v[34:35], v[82:83], off
.LBB44_39:                              ;   in Loop: Header=BB44_3 Depth=1
	s_wait_xcnt 0x0
	s_or_b32 exec_lo, exec_lo, s20
	s_wait_loadcnt 0x1
	ds_bpermute_b32 v78, v2, v38
	ds_bpermute_b32 v79, v2, v39
	s_wait_loadcnt 0x0
	ds_bpermute_b32 v82, v2, v80
	ds_bpermute_b32 v83, v2, v81
	s_wait_dscnt 0x2
	v_add_f64_e64 v[20:21], v[20:21], -v[78:79]
	ds_bpermute_b32 v78, v2, v38 offset:4
	ds_bpermute_b32 v79, v2, v39 offset:4
	s_wait_dscnt 0x0
	v_add_f64_e64 v[22:23], v[22:23], -v[78:79]
	ds_bpermute_b32 v78, v2, v38 offset:8
	ds_bpermute_b32 v79, v2, v39 offset:8
	v_mul_f64_e32 v[20:21], v[4:5], v[20:21]
	v_add_f64_e32 v[4:5], v[36:37], v[4:5]
	ds_bpermute_b32 v36, v2, v80 offset:4
	ds_bpermute_b32 v37, v2, v81 offset:4
	s_wait_dscnt 0x2
	v_add_f64_e64 v[24:25], v[24:25], -v[78:79]
	v_mul_f64_e32 v[22:23], v[6:7], v[22:23]
	v_fmac_f64_e32 v[76:77], v[20:21], v[82:83]
	ds_bpermute_b32 v20, v2, v38 offset:12
	ds_bpermute_b32 v21, v2, v39 offset:12
	v_add_f64_e32 v[4:5], v[6:7], v[4:5]
	ds_bpermute_b32 v6, v2, v38 offset:16
	ds_bpermute_b32 v7, v2, v39 offset:16
	;; [unrolled: 1-line block ×4, first 2 shown]
	v_mul_f64_e32 v[24:25], v[8:9], v[24:25]
	s_wait_dscnt 0x4
	v_add_f64_e64 v[20:21], v[26:27], -v[20:21]
	s_wait_dscnt 0x2
	v_add_f64_e64 v[6:7], v[28:29], -v[6:7]
	v_fmac_f64_e32 v[76:77], v[22:23], v[36:37]
	ds_bpermute_b32 v22, v2, v80 offset:8
	ds_bpermute_b32 v23, v2, v81 offset:8
	v_add_f64_e32 v[4:5], v[8:9], v[4:5]
	ds_bpermute_b32 v8, v2, v38 offset:20
	ds_bpermute_b32 v9, v2, v39 offset:20
	v_mul_f64_e32 v[20:21], v[10:11], v[20:21]
	s_wait_dscnt 0x0
	v_add_f64_e64 v[8:9], v[30:31], -v[8:9]
	v_mul_f64_e32 v[6:7], v[12:13], v[6:7]
	v_fmac_f64_e32 v[76:77], v[24:25], v[22:23]
	ds_bpermute_b32 v22, v2, v80 offset:12
	ds_bpermute_b32 v23, v2, v81 offset:12
	v_add_f64_e32 v[4:5], v[10:11], v[4:5]
	ds_bpermute_b32 v10, v2, v80 offset:16
	ds_bpermute_b32 v11, v2, v81 offset:16
	v_mul_f64_e32 v[8:9], v[14:15], v[8:9]
	s_wait_dscnt 0x2
	v_fmac_f64_e32 v[76:77], v[20:21], v[22:23]
	ds_bpermute_b32 v20, v2, v38 offset:24
	ds_bpermute_b32 v21, v2, v39 offset:24
	v_add_f64_e32 v[4:5], v[12:13], v[4:5]
	s_wait_dscnt 0x2
	v_fmac_f64_e32 v[76:77], v[6:7], v[10:11]
	s_wait_dscnt 0x0
	v_add_f64_e64 v[6:7], v[32:33], -v[20:21]
	ds_bpermute_b32 v10, v2, v80 offset:20
	ds_bpermute_b32 v11, v2, v81 offset:20
	v_add_f64_e32 v[4:5], v[14:15], v[4:5]
	s_wait_dscnt 0x0
	v_fmac_f64_e32 v[76:77], v[8:9], v[10:11]
	v_mul_f64_e32 v[6:7], v[16:17], v[6:7]
	ds_bpermute_b32 v8, v2, v80 offset:24
	ds_bpermute_b32 v9, v2, v81 offset:24
	v_add_f64_e32 v[4:5], v[16:17], v[4:5]
	s_wait_dscnt 0x0
	v_fmac_f64_e32 v[76:77], v[6:7], v[8:9]
	ds_bpermute_b32 v6, v2, v38 offset:28
	ds_bpermute_b32 v7, v2, v39 offset:28
	v_mov_b64_e32 v[38:39], v[76:77]
.LBB44_40:                              ;   in Loop: Header=BB44_3 Depth=1
	s_wait_dscnt 0x0
	v_add_f64_e64 v[6:7], v[34:35], -v[6:7]
	v_add_f64_e32 v[36:37], v[4:5], v[18:19]
	s_add_nc_u64 s[48:49], s[48:49], s[34:35]
	v_add_nc_u64_e32 v[44:45], s[44:45], v[44:45]
	v_cmp_lt_i64_e64 s20, s[48:49], s[4:5]
	v_add_nc_u64_e32 v[46:47], s[44:45], v[46:47]
	v_add_nc_u64_e32 v[48:49], s[44:45], v[48:49]
	;; [unrolled: 1-line block ×15, first 2 shown]
	s_and_b32 vcc_lo, exec_lo, s20
	s_add_nc_u64 s[46:47], s[46:47], s[34:35]
	v_mul_f64_e32 v[6:7], v[18:19], v[6:7]
	s_delay_alu instid0(VALU_DEP_1)
	v_fmac_f64_e32 v[38:39], v[6:7], v[82:83]
	s_cbranch_vccz .LBB44_50
; %bb.41:                               ;   in Loop: Header=BB44_3 Depth=1
	s_delay_alu instid0(VALU_DEP_1)
	v_mov_b64_e32 v[76:77], v[38:39]
	s_branch .LBB44_3
.LBB44_42:                              ;   in Loop: Header=BB44_3 Depth=1
	v_add_nc_u64_e32 v[6:7], v[44:45], v[42:43]
	v_add_nc_u64_e32 v[8:9], v[46:47], v[42:43]
	v_dual_mov_b32 v10, v2 :: v_dual_mov_b32 v11, v2
	v_dual_mov_b32 v12, v2 :: v_dual_mov_b32 v13, v2
	;; [unrolled: 1-line block ×3, first 2 shown]
	global_load_b64 v[4:5], v[6:7], off
	global_load_b64 v[20:21], v[8:9], off
	s_wait_xcnt 0x1
	v_dual_mov_b32 v6, v2 :: v_dual_mov_b32 v7, v2
	s_wait_xcnt 0x0
	v_dual_mov_b32 v8, v2 :: v_dual_mov_b32 v9, v2
	v_dual_mov_b32 v16, v2 :: v_dual_mov_b32 v17, v2
	;; [unrolled: 1-line block ×10, first 2 shown]
	s_or_b32 exec_lo, exec_lo, s20
	s_and_saveexec_b32 s20, s2
	s_cbranch_execz .LBB44_32
.LBB44_43:                              ;   in Loop: Header=BB44_3 Depth=1
	v_add_nc_u64_e32 v[78:79], v[72:73], v[42:43]
	v_add_nc_u64_e32 v[82:83], v[74:75], v[42:43]
	global_load_b64 v[6:7], v[78:79], off
	global_load_b64 v[22:23], v[82:83], off
	s_wait_xcnt 0x0
	s_or_b32 exec_lo, exec_lo, s20
	s_and_saveexec_b32 s20, s2
	s_cbranch_execz .LBB44_33
.LBB44_44:                              ;   in Loop: Header=BB44_3 Depth=1
	v_add_nc_u64_e32 v[78:79], v[68:69], v[42:43]
	v_add_nc_u64_e32 v[82:83], v[70:71], v[42:43]
	global_load_b64 v[8:9], v[78:79], off
	global_load_b64 v[24:25], v[82:83], off
	s_wait_xcnt 0x0
	s_or_b32 exec_lo, exec_lo, s20
	s_and_saveexec_b32 s20, s2
	s_cbranch_execz .LBB44_34
.LBB44_45:                              ;   in Loop: Header=BB44_3 Depth=1
	v_add_nc_u64_e32 v[78:79], v[64:65], v[42:43]
	v_add_nc_u64_e32 v[82:83], v[66:67], v[42:43]
	global_load_b64 v[10:11], v[78:79], off
	global_load_b64 v[26:27], v[82:83], off
	s_wait_xcnt 0x0
	s_or_b32 exec_lo, exec_lo, s20
	s_and_saveexec_b32 s20, s2
	s_cbranch_execz .LBB44_35
.LBB44_46:                              ;   in Loop: Header=BB44_3 Depth=1
	v_add_nc_u64_e32 v[78:79], v[60:61], v[42:43]
	v_add_nc_u64_e32 v[82:83], v[62:63], v[42:43]
	global_load_b64 v[12:13], v[78:79], off
	global_load_b64 v[28:29], v[82:83], off
	s_wait_xcnt 0x0
	s_or_b32 exec_lo, exec_lo, s20
	s_and_saveexec_b32 s20, s2
	s_cbranch_execz .LBB44_36
.LBB44_47:                              ;   in Loop: Header=BB44_3 Depth=1
	v_add_nc_u64_e32 v[78:79], v[56:57], v[42:43]
	v_add_nc_u64_e32 v[82:83], v[58:59], v[42:43]
	global_load_b64 v[14:15], v[78:79], off
	global_load_b64 v[30:31], v[82:83], off
	s_wait_xcnt 0x0
	s_or_b32 exec_lo, exec_lo, s20
	s_and_saveexec_b32 s20, s2
	s_cbranch_execz .LBB44_37
.LBB44_48:                              ;   in Loop: Header=BB44_3 Depth=1
	v_add_nc_u64_e32 v[78:79], v[52:53], v[42:43]
	v_add_nc_u64_e32 v[82:83], v[54:55], v[42:43]
	global_load_b64 v[16:17], v[78:79], off
	global_load_b64 v[32:33], v[82:83], off
	s_wait_xcnt 0x0
	s_or_b32 exec_lo, exec_lo, s20
	s_and_saveexec_b32 s20, s2
	s_cbranch_execnz .LBB44_38
	s_branch .LBB44_39
.LBB44_49:
                                        ; implicit-def: $vgpr36_vgpr37
                                        ; implicit-def: $vgpr38_vgpr39
	s_branch .LBB44_51
.LBB44_50:
	s_cbranch_execnz .LBB44_82
.LBB44_51:
	v_mov_b64_e32 v[36:37], 0
	v_mov_b64_e32 v[38:39], 0
	s_and_not1_b32 vcc_lo, exec_lo, s17
	s_cbranch_vccnz .LBB44_82
; %bb.52:
	v_bfe_u32 v1, v0, 10, 10
	v_mov_b32_e32 v2, 0
	v_and_b32_e32 v110, 0x3ff, v0
	s_load_b32 s2, s[0:1], 0x44
	v_mov_b64_e32 v[38:39], 0
	s_delay_alu instid0(VALU_DEP_3) | instskip(SKIP_3) | instid1(VALU_DEP_3)
	v_dual_mov_b32 v5, v2 :: v_dual_lshlrev_b32 v4, 6, v1
	v_dual_mov_b32 v41, v2 :: v_dual_lshlrev_b32 v40, 3, v1
	v_mov_b64_e32 v[36:37], 0
	s_mov_b64 s[22:23], 0xffffffffffffff83
	v_lshl_add_u64 v[4:5], s[18:19], 3, v[4:5]
	s_mov_b64 s[24:25], 0xffffffffffffff84
	s_mov_b64 s[26:27], 0xffffffffffffff85
	;; [unrolled: 1-line block ×4, first 2 shown]
	v_add_nc_u64_e32 v[6:7], 8, v[4:5]
	v_add_nc_u64_e32 v[10:11], 16, v[4:5]
	;; [unrolled: 1-line block ×7, first 2 shown]
	v_mad_nc_u64_u32 v[42:43], s6, v6, s[8:9]
	v_mul_lo_u32 v3, s6, v7
	v_mul_lo_u32 v20, s7, v6
	v_mad_nc_u64_u32 v[52:53], s6, v6, s[10:11]
	v_mad_nc_u64_u32 v[46:47], s6, v12, s[8:9]
	v_mul_lo_u32 v26, s6, v13
	v_mad_nc_u64_u32 v[62:63], s6, v4, s[8:9]
	v_mul_lo_u32 v32, s7, v4
	v_mad_nc_u64_u32 v[68:69], s6, v4, s[10:11]
	v_add_nc_u32_e32 v4, s3, v110
	v_add_nc_u64_e32 v[8:9], s[18:19], v[40:41]
	v_mul_lo_u32 v27, s7, v12
	v_mad_nc_u64_u32 v[56:57], s6, v12, s[10:11]
	v_add3_u32 v43, v20, v43, v3
	v_add3_u32 v53, v20, v53, v3
	v_mad_nc_u64_u32 v[44:45], s6, v10, s[8:9]
	v_mul_lo_u32 v24, s6, v11
	v_add_nc_u64_e32 v[6:7], 7, v[8:9]
	v_add_nc_u64_e32 v[12:13], 6, v[8:9]
	v_add_nc_u64_e32 v[20:21], 5, v[8:9]
	v_mul_lo_u32 v25, s7, v10
	v_mad_nc_u64_u32 v[48:49], s6, v14, s[8:9]
	v_mul_lo_u32 v28, s6, v15
	v_mul_lo_u32 v29, s7, v14
	v_mul_u64_e32 v[6:7], s[6:7], v[6:7]
	v_mad_nc_u64_u32 v[54:55], s6, v10, s[10:11]
	v_mul_u64_e32 v[10:11], s[6:7], v[8:9]
	v_add_nc_u64_e32 v[22:23], 4, v[8:9]
	v_mad_nc_u64_u32 v[60:61], s6, v14, s[10:11]
	v_mul_u64_e32 v[12:13], s[6:7], v[12:13]
	v_add_nc_u64_e32 v[14:15], 3, v[8:9]
	v_add_nc_u64_e32 v[8:9], 2, v[8:9]
	v_mul_u64_e32 v[20:21], s[6:7], v[20:21]
	v_mad_nc_u64_u32 v[50:51], s6, v16, s[8:9]
	v_mul_u64_e32 v[22:23], s[6:7], v[22:23]
	v_mul_lo_u32 v17, s6, v17
	v_mul_lo_u32 v30, s7, v16
	v_mul_u64_e32 v[14:15], s[6:7], v[14:15]
	v_mul_u64_e32 v[8:9], s[6:7], v[8:9]
	v_mad_nc_u64_u32 v[64:65], s6, v16, s[10:11]
	v_mul_lo_u32 v3, s6, v5
	v_mov_b32_e32 v5, v2
	v_mad_nc_u64_u32 v[58:59], s6, v18, s[8:9]
	v_mul_lo_u32 v19, s6, v19
	v_mul_lo_u32 v31, s7, v18
	v_mad_nc_u64_u32 v[66:67], s6, v18, s[10:11]
	v_lshlrev_b64_e32 v[70:71], 3, v[4:5]
	v_add3_u32 v51, v30, v51, v17
	s_mov_b32 s3, 0
	s_wait_kmcnt 0x0
	s_lshl_b32 s20, s2, 7
	v_add3_u32 v65, v30, v65, v17
	s_mov_b32 s21, s3
	v_add3_u32 v45, v25, v45, v24
	v_add3_u32 v47, v27, v47, v26
	;; [unrolled: 1-line block ×4, first 2 shown]
	v_lshlrev_b64_e32 v[6:7], 3, v[6:7]
	v_add3_u32 v49, v29, v49, v28
	v_lshlrev_b64_e32 v[16:17], 3, v[10:11]
	v_add_nc_u64_e32 v[10:11], s[6:7], v[10:11]
	v_add3_u32 v61, v29, v61, v28
	v_lshlrev_b64_e32 v[4:5], 3, v[12:13]
	v_add3_u32 v59, v31, v59, v19
	v_add_nc_u64_e32 v[76:77], s[8:9], v[6:7]
	v_add_nc_u64_e32 v[78:79], s[10:11], v[6:7]
	v_lshlrev_b64_e32 v[6:7], 3, v[20:21]
	v_lshlrev_b64_e32 v[12:13], 3, v[22:23]
	v_add_nc_u64_e32 v[72:73], s[8:9], v[16:17]
	v_add_nc_u64_e32 v[80:81], s[8:9], v[4:5]
	;; [unrolled: 1-line block ×3, first 2 shown]
	v_lshlrev_b64_e32 v[4:5], 3, v[14:15]
	v_lshlrev_b64_e32 v[8:9], 3, v[8:9]
	v_add_nc_u64_e32 v[84:85], s[8:9], v[6:7]
	v_add_nc_u64_e32 v[86:87], s[10:11], v[6:7]
	v_lshlrev_b64_e32 v[6:7], 3, v[10:11]
	v_add_nc_u64_e32 v[74:75], s[10:11], v[16:17]
	v_add_nc_u64_e32 v[88:89], s[8:9], v[12:13]
	v_add_nc_u64_e32 v[90:91], s[10:11], v[12:13]
	v_add_nc_u64_e32 v[92:93], s[8:9], v[4:5]
	v_add_nc_u64_e32 v[94:95], s[10:11], v[4:5]
	v_add_nc_u64_e32 v[96:97], s[8:9], v[8:9]
	v_add_nc_u64_e32 v[98:99], s[10:11], v[8:9]
	v_add_nc_u64_e32 v[100:101], s[8:9], v[6:7]
	v_add_nc_u64_e32 v[102:103], s[10:11], v[6:7]
	v_add3_u32 v63, v32, v63, v3
	v_add3_u32 v67, v31, v67, v19
	v_add3_u32 v69, v32, v69, v3
	s_mul_u64 s[38:39], s[6:7], s[20:21]
	s_mov_b64 s[8:9], 0xffffffffffffff81
	s_mov_b64 s[10:11], 0xffffffffffffff82
	;; [unrolled: 1-line block ×3, first 2 shown]
	s_add_nc_u64 s[36:37], s[0:1], 64
	s_lshl_b64 s[38:39], s[38:39], 3
	s_add_nc_u64 s[40:41], s[18:19], 0x7f
	s_branch .LBB44_56
.LBB44_53:                              ;   in Loop: Header=BB44_56 Depth=1
	s_wait_xcnt 0x0
	s_or_b32 exec_lo, exec_lo, s17
.LBB44_54:                              ;   in Loop: Header=BB44_56 Depth=1
	s_delay_alu instid0(SALU_CYCLE_1)
	s_or_b32 exec_lo, exec_lo, s2
	v_add_nc_u64_e32 v[8:9], v[74:75], v[70:71]
	v_add_nc_u64_e32 v[10:11], v[52:53], v[70:71]
	;; [unrolled: 1-line block ×4, first 2 shown]
	global_load_b64 v[8:9], v[8:9], off
	global_load_b64 v[14:15], v[10:11], off
	global_load_b64 v[16:17], v[12:13], off
	s_wait_xcnt 0x1
	v_add_nc_u64_e32 v[10:11], v[54:55], v[70:71]
	s_wait_xcnt 0x0
	v_add_nc_u64_e32 v[12:13], v[42:43], v[70:71]
	global_load_b64 v[20:21], v[10:11], off
	global_load_b64 v[22:23], v[12:13], off
	s_wait_xcnt 0x1
	v_add_nc_u64_e32 v[10:11], v[56:57], v[70:71]
	s_wait_xcnt 0x0
	v_add_nc_u64_e32 v[12:13], v[44:45], v[70:71]
	global_load_b64 v[24:25], v[10:11], off
	global_load_b64 v[26:27], v[12:13], off
	;; [unrolled: 6-line block ×5, first 2 shown]
	global_load_b64 v[108:109], v[18:19], off
	s_wait_xcnt 0x2
	v_add_nc_u64_e32 v[10:11], v[58:59], v[70:71]
	s_wait_xcnt 0x1
	v_add_nc_u64_e32 v[12:13], v[62:63], v[70:71]
	global_load_b64 v[112:113], v[10:11], off
	global_load_b64 v[18:19], v[12:13], off
	s_wait_loadcnt 0x11
	s_wait_xcnt 0x1
	ds_bpermute_b32 v10, v2, v6
	ds_bpermute_b32 v11, v2, v7
	s_wait_xcnt 0x0
	ds_bpermute_b32 v12, v2, v6 offset:8
	ds_bpermute_b32 v13, v2, v7 offset:8
	s_wait_loadcnt_dscnt 0xf02
	v_add_f64_e64 v[8:9], v[8:9], -v[10:11]
	ds_bpermute_b32 v10, v2, v6 offset:4
	ds_bpermute_b32 v11, v2, v7 offset:4
	s_wait_loadcnt_dscnt 0xc02
	v_add_f64_e64 v[12:13], v[20:21], -v[12:13]
	s_wait_dscnt 0x0
	v_add_f64_e64 v[10:11], v[14:15], -v[10:11]
	ds_bpermute_b32 v14, v2, v4
	ds_bpermute_b32 v15, v2, v5
	v_mul_f64_e32 v[8:9], v[16:17], v[8:9]
	s_wait_loadcnt 0x9
	v_mul_f64_e32 v[12:13], v[26:27], v[12:13]
	v_mul_f64_e32 v[10:11], v[22:23], v[10:11]
	s_wait_dscnt 0x0
	s_delay_alu instid0(VALU_DEP_3)
	v_fmac_f64_e32 v[38:39], v[8:9], v[14:15]
	v_add_f64_e32 v[8:9], v[36:37], v[16:17]
	ds_bpermute_b32 v14, v2, v6 offset:12
	ds_bpermute_b32 v15, v2, v7 offset:12
	;; [unrolled: 1-line block ×4, first 2 shown]
	s_wait_dscnt 0x2
	v_add_f64_e64 v[14:15], v[24:25], -v[14:15]
	s_wait_dscnt 0x0
	v_fmac_f64_e32 v[38:39], v[10:11], v[16:17]
	v_add_f64_e32 v[8:9], v[8:9], v[22:23]
	ds_bpermute_b32 v10, v2, v6 offset:16
	ds_bpermute_b32 v11, v2, v7 offset:16
	;; [unrolled: 1-line block ×4, first 2 shown]
	s_wait_loadcnt_dscnt 0x802
	v_add_f64_e64 v[10:11], v[28:29], -v[10:11]
	s_wait_loadcnt 0x7
	v_mul_f64_e32 v[14:15], v[30:31], v[14:15]
	s_wait_dscnt 0x0
	v_fmac_f64_e32 v[38:39], v[12:13], v[16:17]
	v_add_f64_e32 v[8:9], v[8:9], v[26:27]
	ds_bpermute_b32 v12, v2, v6 offset:20
	ds_bpermute_b32 v13, v2, v7 offset:20
	;; [unrolled: 1-line block ×4, first 2 shown]
	s_wait_loadcnt_dscnt 0x602
	v_add_f64_e64 v[12:13], v[32:33], -v[12:13]
	s_wait_loadcnt 0x5
	v_mul_f64_e32 v[10:11], v[34:35], v[10:11]
	s_wait_dscnt 0x0
	v_fmac_f64_e32 v[38:39], v[14:15], v[16:17]
	v_add_f64_e32 v[8:9], v[8:9], v[30:31]
	ds_bpermute_b32 v14, v2, v6 offset:24
	ds_bpermute_b32 v16, v2, v4 offset:16
	;; [unrolled: 1-line block ×6, first 2 shown]
	s_wait_loadcnt 0x4
	v_mul_f64_e32 v[12:13], v[104:105], v[12:13]
	s_wait_loadcnt_dscnt 0x200
	v_add_f64_e64 v[6:7], v[108:109], -v[6:7]
	v_fmac_f64_e32 v[38:39], v[10:11], v[16:17]
	v_add_f64_e64 v[10:11], v[106:107], -v[14:15]
	v_add_f64_e32 v[8:9], v[8:9], v[34:35]
	ds_bpermute_b32 v14, v2, v4 offset:20
	ds_bpermute_b32 v15, v2, v5 offset:20
	s_wait_dscnt 0x0
	v_fmac_f64_e32 v[38:39], v[12:13], v[14:15]
	s_wait_loadcnt 0x1
	v_mul_f64_e32 v[10:11], v[112:113], v[10:11]
	v_add_f64_e32 v[8:9], v[8:9], v[104:105]
	s_wait_loadcnt 0x0
	v_mul_f64_e32 v[12:13], v[18:19], v[6:7]
	ds_bpermute_b32 v6, v2, v4 offset:24
	ds_bpermute_b32 v7, v2, v5 offset:24
	;; [unrolled: 1-line block ×4, first 2 shown]
	s_wait_dscnt 0x2
	v_fmac_f64_e32 v[38:39], v[10:11], v[6:7]
	v_add_f64_e32 v[6:7], v[8:9], v[112:113]
	s_wait_dscnt 0x0
	v_mul_f64_e32 v[8:9], v[12:13], v[4:5]
	s_delay_alu instid0(VALU_DEP_3)
	v_mov_b64_e32 v[4:5], v[38:39]
.LBB44_55:                              ;   in Loop: Header=BB44_56 Depth=1
	s_delay_alu instid0(VALU_DEP_1) | instskip(NEXT) | instid1(VALU_DEP_4)
	v_add_f64_e32 v[38:39], v[4:5], v[8:9]
	v_add_f64_e32 v[36:37], v[6:7], v[18:19]
	s_add_nc_u64 s[18:19], s[18:19], s[20:21]
	v_add_nc_u64_e32 v[72:73], s[38:39], v[72:73]
	v_cmp_ge_i64_e64 s2, s[18:19], s[4:5]
	v_add_nc_u64_e32 v[74:75], s[38:39], v[74:75]
	v_add_nc_u64_e32 v[42:43], s[38:39], v[42:43]
	v_add_nc_u64_e32 v[44:45], s[38:39], v[44:45]
	v_add_nc_u64_e32 v[46:47], s[38:39], v[46:47]
	v_add_nc_u64_e32 v[48:49], s[38:39], v[48:49]
	v_add_nc_u64_e32 v[50:51], s[38:39], v[50:51]
	v_add_nc_u64_e32 v[58:59], s[38:39], v[58:59]
	v_add_nc_u64_e32 v[62:63], s[38:39], v[62:63]
	v_add_nc_u64_e32 v[52:53], s[38:39], v[52:53]
	v_add_nc_u64_e32 v[54:55], s[38:39], v[54:55]
	v_add_nc_u64_e32 v[56:57], s[38:39], v[56:57]
	v_add_nc_u64_e32 v[60:61], s[38:39], v[60:61]
	v_add_nc_u64_e32 v[64:65], s[38:39], v[64:65]
	v_add_nc_u64_e32 v[66:67], s[38:39], v[66:67]
	v_add_nc_u64_e32 v[68:69], s[38:39], v[68:69]
	v_add_nc_u64_e32 v[76:77], s[38:39], v[76:77]
	v_add_nc_u64_e32 v[78:79], s[38:39], v[78:79]
	v_add_nc_u64_e32 v[80:81], s[38:39], v[80:81]
	v_add_nc_u64_e32 v[82:83], s[38:39], v[82:83]
	v_add_nc_u64_e32 v[84:85], s[38:39], v[84:85]
	v_add_nc_u64_e32 v[86:87], s[38:39], v[86:87]
	v_add_nc_u64_e32 v[88:89], s[38:39], v[88:89]
	v_add_nc_u64_e32 v[90:91], s[38:39], v[90:91]
	v_add_nc_u64_e32 v[92:93], s[38:39], v[92:93]
	v_add_nc_u64_e32 v[94:95], s[38:39], v[94:95]
	v_add_nc_u64_e32 v[96:97], s[38:39], v[96:97]
	v_add_nc_u64_e32 v[98:99], s[38:39], v[98:99]
	v_add_nc_u64_e32 v[100:101], s[38:39], v[100:101]
	v_add_nc_u64_e32 v[102:103], s[38:39], v[102:103]
	s_and_b32 vcc_lo, exec_lo, s2
	s_add_nc_u64 s[40:41], s[40:41], s[20:21]
	s_cbranch_vccnz .LBB44_82
.LBB44_56:                              ; =>This Inner Loop Header: Depth=1
	v_cmp_ge_i64_e64 s2, s[40:41], s[4:5]
	v_add_nc_u64_e32 v[104:105], s[40:41], v[40:41]
                                        ; implicit-def: $vgpr18_vgpr19
                                        ; implicit-def: $vgpr8_vgpr9
                                        ; implicit-def: $vgpr6_vgpr7
                                        ; implicit-def: $vgpr4_vgpr5
	s_and_b32 vcc_lo, exec_lo, s2
	s_mov_b32 s2, -1
	s_cbranch_vccz .LBB44_78
; %bb.57:                               ;   in Loop: Header=BB44_56 Depth=1
	s_load_b32 s2, s[36:37], 0xc
	v_mov_b64_e32 v[106:107], 0
	v_mov_b64_e32 v[108:109], 0
	s_wait_kmcnt 0x0
	s_and_b32 s2, s2, 0xffff
	s_delay_alu instid0(SALU_CYCLE_1) | instskip(SKIP_1) | instid1(VALU_DEP_1)
	v_mad_u32_u24 v3, v1, s2, v110
	s_mov_b32 s2, exec_lo
	v_and_b32_e32 v4, 31, v3
	s_delay_alu instid0(VALU_DEP_1)
	v_cmpx_gt_u32_e32 8, v4
	s_cbranch_execz .LBB44_61
; %bb.58:                               ;   in Loop: Header=BB44_56 Depth=1
	v_mov_b32_e32 v5, v2
	v_mov_b64_e32 v[108:109], 0
	v_mov_b64_e32 v[106:107], 0
	s_mov_b32 s17, exec_lo
	s_delay_alu instid0(VALU_DEP_3) | instskip(NEXT) | instid1(VALU_DEP_1)
	v_add_nc_u64_e32 v[4:5], v[104:105], v[4:5]
	v_add_nc_u64_e32 v[4:5], s[8:9], v[4:5]
	s_delay_alu instid0(VALU_DEP_1)
	v_cmpx_gt_i64_e64 s[4:5], v[4:5]
	s_cbranch_execz .LBB44_60
; %bb.59:                               ;   in Loop: Header=BB44_56 Depth=1
	v_lshlrev_b64_e32 v[4:5], 3, v[4:5]
	s_delay_alu instid0(VALU_DEP_1)
	v_add_nc_u64_e32 v[6:7], s[12:13], v[4:5]
	v_add_nc_u64_e32 v[4:5], s[14:15], v[4:5]
	global_load_b64 v[108:109], v[6:7], off
	global_load_b64 v[106:107], v[4:5], off
.LBB44_60:                              ;   in Loop: Header=BB44_56 Depth=1
	s_wait_xcnt 0x0
	s_or_b32 exec_lo, exec_lo, s17
.LBB44_61:                              ;   in Loop: Header=BB44_56 Depth=1
	s_delay_alu instid0(SALU_CYCLE_1)
	s_or_b32 exec_lo, exec_lo, s2
	v_add_nc_u64_e32 v[18:19], s[8:9], v[104:105]
	v_dual_mov_b32 v15, v2 :: v_dual_mov_b32 v16, v2
	v_dual_mov_b32 v17, v2 :: v_dual_mov_b32 v3, v2
	v_dual_mov_b32 v4, v2 :: v_dual_mov_b32 v5, v2
	v_dual_mov_b32 v6, v2 :: v_dual_mov_b32 v7, v2
	v_dual_mov_b32 v8, v2 :: v_dual_mov_b32 v9, v2
	v_dual_mov_b32 v10, v2 :: v_dual_mov_b32 v11, v2
	v_dual_mov_b32 v12, v2 :: v_dual_mov_b32 v13, v2
	v_mov_b32_e32 v14, v2
	v_mov_b64_e32 v[34:35], v[16:17]
	v_cmp_gt_i64_e32 vcc_lo, s[4:5], v[18:19]
	v_mov_b64_e32 v[28:29], v[10:11]
	v_mov_b64_e32 v[30:31], v[12:13]
	;; [unrolled: 1-line block ×15, first 2 shown]
	s_and_saveexec_b32 s2, vcc_lo
	s_cbranch_execz .LBB44_63
; %bb.62:                               ;   in Loop: Header=BB44_56 Depth=1
	v_add_nc_u64_e32 v[6:7], v[72:73], v[70:71]
	v_add_nc_u64_e32 v[8:9], v[74:75], v[70:71]
	v_dual_mov_b32 v10, v2 :: v_dual_mov_b32 v11, v2
	v_dual_mov_b32 v12, v2 :: v_dual_mov_b32 v13, v2
	v_dual_mov_b32 v14, v2 :: v_dual_mov_b32 v15, v2
	global_load_b64 v[4:5], v[6:7], off
	global_load_b64 v[20:21], v[8:9], off
	s_wait_xcnt 0x1
	v_dual_mov_b32 v6, v2 :: v_dual_mov_b32 v7, v2
	s_wait_xcnt 0x0
	v_dual_mov_b32 v8, v2 :: v_dual_mov_b32 v9, v2
	v_dual_mov_b32 v16, v2 :: v_dual_mov_b32 v17, v2
	;; [unrolled: 1-line block ×10, first 2 shown]
.LBB44_63:                              ;   in Loop: Header=BB44_56 Depth=1
	s_or_b32 exec_lo, exec_lo, s2
	v_add_nc_u64_e32 v[112:113], s[10:11], v[104:105]
	s_mov_b32 s2, exec_lo
	s_delay_alu instid0(VALU_DEP_1)
	v_cmpx_gt_i64_e64 s[4:5], v[112:113]
	s_cbranch_execz .LBB44_65
; %bb.64:                               ;   in Loop: Header=BB44_56 Depth=1
	v_add_nc_u64_e32 v[112:113], v[100:101], v[70:71]
	v_add_nc_u64_e32 v[114:115], v[102:103], v[70:71]
	global_load_b64 v[6:7], v[112:113], off
	global_load_b64 v[22:23], v[114:115], off
.LBB44_65:                              ;   in Loop: Header=BB44_56 Depth=1
	s_wait_xcnt 0x0
	s_or_b32 exec_lo, exec_lo, s2
	v_add_nc_u64_e32 v[112:113], s[22:23], v[104:105]
	s_mov_b32 s2, exec_lo
	s_delay_alu instid0(VALU_DEP_1)
	v_cmpx_gt_i64_e64 s[4:5], v[112:113]
	s_cbranch_execz .LBB44_67
; %bb.66:                               ;   in Loop: Header=BB44_56 Depth=1
	v_add_nc_u64_e32 v[112:113], v[96:97], v[70:71]
	v_add_nc_u64_e32 v[114:115], v[98:99], v[70:71]
	global_load_b64 v[8:9], v[112:113], off
	global_load_b64 v[24:25], v[114:115], off
.LBB44_67:                              ;   in Loop: Header=BB44_56 Depth=1
	s_wait_xcnt 0x0
	s_or_b32 exec_lo, exec_lo, s2
	v_add_nc_u64_e32 v[112:113], s[24:25], v[104:105]
	s_mov_b32 s2, exec_lo
	s_delay_alu instid0(VALU_DEP_1)
	v_cmpx_gt_i64_e64 s[4:5], v[112:113]
	s_cbranch_execz .LBB44_69
; %bb.68:                               ;   in Loop: Header=BB44_56 Depth=1
	v_add_nc_u64_e32 v[112:113], v[92:93], v[70:71]
	v_add_nc_u64_e32 v[114:115], v[94:95], v[70:71]
	global_load_b64 v[10:11], v[112:113], off
	global_load_b64 v[26:27], v[114:115], off
.LBB44_69:                              ;   in Loop: Header=BB44_56 Depth=1
	s_wait_xcnt 0x0
	s_or_b32 exec_lo, exec_lo, s2
	v_add_nc_u64_e32 v[112:113], s[26:27], v[104:105]
	s_mov_b32 s2, exec_lo
	s_delay_alu instid0(VALU_DEP_1)
	v_cmpx_gt_i64_e64 s[4:5], v[112:113]
	s_cbranch_execz .LBB44_71
; %bb.70:                               ;   in Loop: Header=BB44_56 Depth=1
	v_add_nc_u64_e32 v[112:113], v[88:89], v[70:71]
	v_add_nc_u64_e32 v[114:115], v[90:91], v[70:71]
	global_load_b64 v[12:13], v[112:113], off
	global_load_b64 v[28:29], v[114:115], off
.LBB44_71:                              ;   in Loop: Header=BB44_56 Depth=1
	s_wait_xcnt 0x0
	s_or_b32 exec_lo, exec_lo, s2
	v_add_nc_u64_e32 v[112:113], s[28:29], v[104:105]
	s_mov_b32 s2, exec_lo
	s_delay_alu instid0(VALU_DEP_1)
	v_cmpx_gt_i64_e64 s[4:5], v[112:113]
	s_cbranch_execz .LBB44_73
; %bb.72:                               ;   in Loop: Header=BB44_56 Depth=1
	v_add_nc_u64_e32 v[112:113], v[84:85], v[70:71]
	v_add_nc_u64_e32 v[114:115], v[86:87], v[70:71]
	global_load_b64 v[14:15], v[112:113], off
	global_load_b64 v[30:31], v[114:115], off
.LBB44_73:                              ;   in Loop: Header=BB44_56 Depth=1
	s_wait_xcnt 0x0
	s_or_b32 exec_lo, exec_lo, s2
	v_add_nc_u64_e32 v[112:113], s[30:31], v[104:105]
	s_mov_b32 s2, exec_lo
	s_delay_alu instid0(VALU_DEP_1)
	v_cmpx_gt_i64_e64 s[4:5], v[112:113]
	s_cbranch_execz .LBB44_75
; %bb.74:                               ;   in Loop: Header=BB44_56 Depth=1
	v_add_nc_u64_e32 v[112:113], v[80:81], v[70:71]
	v_add_nc_u64_e32 v[114:115], v[82:83], v[70:71]
	global_load_b64 v[16:17], v[112:113], off
	global_load_b64 v[32:33], v[114:115], off
.LBB44_75:                              ;   in Loop: Header=BB44_56 Depth=1
	s_wait_xcnt 0x0
	s_or_b32 exec_lo, exec_lo, s2
	v_add_nc_u64_e32 v[112:113], s[34:35], v[104:105]
	s_mov_b32 s2, exec_lo
	s_delay_alu instid0(VALU_DEP_1)
	v_cmpx_gt_i64_e64 s[4:5], v[112:113]
	s_cbranch_execz .LBB44_77
; %bb.76:                               ;   in Loop: Header=BB44_56 Depth=1
	v_add_nc_u64_e32 v[112:113], v[76:77], v[70:71]
	v_add_nc_u64_e32 v[114:115], v[78:79], v[70:71]
	global_load_b64 v[18:19], v[112:113], off
	global_load_b64 v[34:35], v[114:115], off
.LBB44_77:                              ;   in Loop: Header=BB44_56 Depth=1
	s_wait_xcnt 0x0
	s_or_b32 exec_lo, exec_lo, s2
	s_wait_loadcnt 0x1
	ds_bpermute_b32 v112, v2, v108
	ds_bpermute_b32 v113, v2, v109
	s_wait_loadcnt 0x0
	ds_bpermute_b32 v114, v2, v106
	ds_bpermute_b32 v115, v2, v107
	v_add_f64_e32 v[116:117], v[36:37], v[4:5]
	s_mov_b32 s2, 0
	s_wait_dscnt 0x2
	v_add_f64_e64 v[20:21], v[20:21], -v[112:113]
	ds_bpermute_b32 v112, v2, v108 offset:4
	ds_bpermute_b32 v113, v2, v109 offset:4
	s_wait_dscnt 0x0
	v_add_f64_e64 v[22:23], v[22:23], -v[112:113]
	ds_bpermute_b32 v112, v2, v108 offset:8
	ds_bpermute_b32 v113, v2, v109 offset:8
	v_mul_f64_e32 v[20:21], v[4:5], v[20:21]
	s_wait_dscnt 0x0
	v_add_f64_e64 v[24:25], v[24:25], -v[112:113]
	ds_bpermute_b32 v112, v2, v106 offset:4
	ds_bpermute_b32 v113, v2, v107 offset:4
	v_mul_f64_e32 v[22:23], v[6:7], v[22:23]
	v_add_f64_e32 v[6:7], v[6:7], v[116:117]
	v_fma_f64 v[4:5], v[20:21], v[114:115], v[38:39]
	ds_bpermute_b32 v20, v2, v108 offset:12
	ds_bpermute_b32 v21, v2, v109 offset:12
	v_mul_f64_e32 v[24:25], v[8:9], v[24:25]
	s_wait_dscnt 0x0
	v_add_f64_e64 v[20:21], v[26:27], -v[20:21]
	ds_bpermute_b32 v26, v2, v106 offset:8
	ds_bpermute_b32 v27, v2, v107 offset:8
	v_add_f64_e32 v[6:7], v[8:9], v[6:7]
	ds_bpermute_b32 v8, v2, v108 offset:20
	ds_bpermute_b32 v9, v2, v109 offset:20
	v_fmac_f64_e32 v[4:5], v[22:23], v[112:113]
	ds_bpermute_b32 v22, v2, v108 offset:16
	ds_bpermute_b32 v23, v2, v109 offset:16
	s_wait_dscnt 0x2
	v_add_f64_e64 v[8:9], v[30:31], -v[8:9]
	s_wait_dscnt 0x0
	v_add_f64_e64 v[22:23], v[28:29], -v[22:23]
	v_mul_f64_e32 v[20:21], v[10:11], v[20:21]
	v_add_f64_e32 v[6:7], v[10:11], v[6:7]
	ds_bpermute_b32 v10, v2, v108 offset:24
	ds_bpermute_b32 v11, v2, v109 offset:24
	v_fmac_f64_e32 v[4:5], v[24:25], v[26:27]
	ds_bpermute_b32 v24, v2, v106 offset:12
	ds_bpermute_b32 v25, v2, v107 offset:12
	s_wait_dscnt 0x2
	v_add_f64_e64 v[10:11], v[32:33], -v[10:11]
	v_mul_f64_e32 v[8:9], v[14:15], v[8:9]
	v_mul_f64_e32 v[22:23], v[12:13], v[22:23]
	v_add_f64_e32 v[6:7], v[12:13], v[6:7]
	s_wait_dscnt 0x0
	v_fmac_f64_e32 v[4:5], v[20:21], v[24:25]
	ds_bpermute_b32 v20, v2, v106 offset:16
	ds_bpermute_b32 v21, v2, v107 offset:16
	ds_bpermute_b32 v24, v2, v108 offset:28
	ds_bpermute_b32 v25, v2, v109 offset:28
	v_mul_f64_e32 v[10:11], v[16:17], v[10:11]
	s_wait_dscnt 0x0
	v_add_f64_e64 v[12:13], v[34:35], -v[24:25]
	v_add_f64_e32 v[6:7], v[14:15], v[6:7]
	ds_bpermute_b32 v14, v2, v106 offset:28
	ds_bpermute_b32 v15, v2, v107 offset:28
	v_fmac_f64_e32 v[4:5], v[22:23], v[20:21]
	ds_bpermute_b32 v20, v2, v106 offset:20
	ds_bpermute_b32 v21, v2, v107 offset:20
	v_add_f64_e32 v[6:7], v[16:17], v[6:7]
	s_wait_dscnt 0x0
	v_fmac_f64_e32 v[4:5], v[8:9], v[20:21]
	v_mul_f64_e32 v[8:9], v[18:19], v[12:13]
	ds_bpermute_b32 v12, v2, v106 offset:24
	ds_bpermute_b32 v13, v2, v107 offset:24
	s_wait_dscnt 0x0
	v_fmac_f64_e32 v[4:5], v[10:11], v[12:13]
	v_mul_f64_e32 v[8:9], v[8:9], v[14:15]
.LBB44_78:                              ;   in Loop: Header=BB44_56 Depth=1
	s_and_b32 vcc_lo, exec_lo, s2
	s_cbranch_vccz .LBB44_55
; %bb.79:                               ;   in Loop: Header=BB44_56 Depth=1
	s_load_b32 s2, s[36:37], 0x0
	v_mov_b64_e32 v[4:5], 0
	v_mov_b64_e32 v[6:7], 0
	s_wait_kmcnt 0x0
	s_cmp_lt_u32 s16, s2
	s_cselect_b32 s2, 12, 18
	s_delay_alu instid0(SALU_CYCLE_1) | instskip(SKIP_4) | instid1(VALU_DEP_1)
	s_add_nc_u64 s[42:43], s[36:37], s[2:3]
	s_load_u16 s2, s[42:43], 0x0
	s_wait_kmcnt 0x0
	v_mad_u32_u24 v3, v1, s2, v110
	s_mov_b32 s2, exec_lo
	v_and_b32_e32 v8, 31, v3
	s_delay_alu instid0(VALU_DEP_1)
	v_cmpx_gt_u32_e32 8, v8
	s_cbranch_execz .LBB44_54
; %bb.80:                               ;   in Loop: Header=BB44_56 Depth=1
	v_mov_b32_e32 v9, v2
	v_mov_b64_e32 v[6:7], 0
	s_mov_b32 s17, exec_lo
	s_delay_alu instid0(VALU_DEP_2) | instskip(NEXT) | instid1(VALU_DEP_1)
	v_add_nc_u64_e32 v[4:5], v[104:105], v[8:9]
	v_add_nc_u64_e32 v[8:9], s[8:9], v[4:5]
	v_mov_b64_e32 v[4:5], 0
	s_delay_alu instid0(VALU_DEP_2)
	v_cmpx_gt_i64_e64 s[4:5], v[8:9]
	s_cbranch_execz .LBB44_53
; %bb.81:                               ;   in Loop: Header=BB44_56 Depth=1
	v_lshlrev_b64_e32 v[4:5], 3, v[8:9]
	s_delay_alu instid0(VALU_DEP_1)
	v_add_nc_u64_e32 v[8:9], s[12:13], v[4:5]
	v_add_nc_u64_e32 v[10:11], s[14:15], v[4:5]
	global_load_b64 v[6:7], v[8:9], off
	global_load_b64 v[4:5], v[10:11], off
	s_branch .LBB44_53
.LBB44_82:
	v_and_b32_e32 v1, 0x3ff, v0
	v_bfe_u32 v2, v0, 10, 10
	v_bfe_u32 v0, v0, 5, 5
	s_mov_b32 s2, exec_lo
	s_delay_alu instid0(VALU_DEP_2) | instskip(NEXT) | instid1(VALU_DEP_2)
	v_mad_u32_u24 v3, v2, 33, v1
	v_add_nc_u32_e32 v0, v0, v2
	s_delay_alu instid0(VALU_DEP_2)
	v_lshl_add_u32 v2, v3, 3, 0
	ds_store_b64 v2, v[38:39]
	ds_store_b64 v2, v[36:37] offset:4224
	s_wait_dscnt 0x0
	s_barrier_signal -1
	s_barrier_wait -1
	v_cmpx_gt_u32_e32 32, v0
	s_cbranch_execz .LBB44_98
; %bb.83:
	s_load_b128 s[8:11], s[0:1], 0x30
	v_and_b32_e32 v2, 31, v1
                                        ; implicit-def: $vgpr4_vgpr5
	s_wait_xcnt 0x0
	s_delay_alu instid0(VALU_DEP_1)
	v_cmp_gt_u32_e64 s0, 16, v2
	v_mul_u32_u24_e32 v8, 33, v2
                                        ; implicit-def: $vgpr2_vgpr3
	s_and_saveexec_b32 s1, s0
	s_cbranch_execz .LBB44_85
; %bb.84:
	s_delay_alu instid0(VALU_DEP_1) | instskip(NEXT) | instid1(VALU_DEP_1)
	v_add_nc_u32_e32 v2, v0, v8
	v_lshl_add_u32 v2, v2, 3, 0
	ds_load_b64 v[4:5], v2
	ds_load_b64 v[2:3], v2 offset:4224
.LBB44_85:
	s_or_b32 exec_lo, exec_lo, s1
	v_mbcnt_lo_u32_b32 v14, -1, 0
	s_mov_b32 s17, 0
	v_cmp_eq_u32_e64 s1, 0, v1
	s_lshl_b64 s[2:3], s[16:17], 5
	s_wait_kmcnt 0x0
	s_cmp_lg_u64 s[8:9], 0
	v_xor_b32_e32 v6, 8, v14
	s_cselect_b32 s5, -1, 0
	s_cmp_lg_u64 s[10:11], 0
	v_mov_b32_e32 v1, 0
	s_cselect_b32 s4, -1, 0
	v_cmp_gt_i32_e32 vcc_lo, 32, v6
	v_cndmask_b32_e32 v6, v14, v6, vcc_lo
	s_delay_alu instid0(VALU_DEP_1)
	v_lshlrev_b32_e32 v9, 2, v6
	s_wait_dscnt 0x1
	ds_bpermute_b32 v6, v9, v4
	ds_bpermute_b32 v7, v9, v5
	s_wait_dscnt 0x0
	v_add_f64_e32 v[4:5], v[4:5], v[6:7]
	v_xor_b32_e32 v6, 4, v14
	s_delay_alu instid0(VALU_DEP_1)
	v_cmp_gt_i32_e32 vcc_lo, 32, v6
	v_cndmask_b32_e32 v6, v14, v6, vcc_lo
	ds_bpermute_b32 v10, v9, v2
	ds_bpermute_b32 v11, v9, v3
	s_wait_dscnt 0x0
	v_add_f64_e32 v[2:3], v[2:3], v[10:11]
	v_lshlrev_b32_e32 v10, 2, v6
	ds_bpermute_b32 v6, v10, v4
	ds_bpermute_b32 v7, v10, v5
	s_wait_dscnt 0x0
	v_add_f64_e32 v[4:5], v[4:5], v[6:7]
	v_xor_b32_e32 v6, 2, v14
	s_delay_alu instid0(VALU_DEP_1)
	v_cmp_gt_i32_e32 vcc_lo, 32, v6
	v_cndmask_b32_e32 v6, v14, v6, vcc_lo
	ds_bpermute_b32 v12, v10, v2
	ds_bpermute_b32 v13, v10, v3
	s_wait_dscnt 0x0
	v_dual_add_f64 v[2:3], v[2:3], v[12:13] :: v_dual_lshlrev_b32 v11, 2, v6
	ds_bpermute_b32 v6, v11, v4
	ds_bpermute_b32 v7, v11, v5
	s_wait_dscnt 0x0
	v_add_f64_e32 v[4:5], v[4:5], v[6:7]
	ds_bpermute_b32 v12, v11, v2
	ds_bpermute_b32 v13, v11, v3
	s_wait_dscnt 0x0
	v_dual_add_f64 v[6:7], v[2:3], v[12:13] :: v_dual_bitop2_b32 v2, 1, v14 bitop3:0x14
	s_delay_alu instid0(VALU_DEP_1) | instskip(SKIP_1) | instid1(VALU_DEP_1)
	v_cmp_gt_i32_e32 vcc_lo, 32, v2
	v_cndmask_b32_e32 v2, v14, v2, vcc_lo
	v_lshlrev_b32_e32 v12, 2, v2
	ds_bpermute_b32 v2, v12, v4
	ds_bpermute_b32 v3, v12, v5
	;; [unrolled: 1-line block ×4, first 2 shown]
	s_wait_dscnt 0x2
	v_add_f64_e32 v[2:3], v[4:5], v[2:3]
	s_wait_dscnt 0x0
	v_dual_add_f64 v[4:5], v[6:7], v[14:15] :: v_dual_bitop2_b32 v6, s2, v0 bitop3:0x54
	v_mov_b32_e32 v7, s3
	s_delay_alu instid0(VALU_DEP_1) | instskip(SKIP_1) | instid1(SALU_CYCLE_1)
	v_cmp_gt_i64_e32 vcc_lo, s[6:7], v[6:7]
	s_and_b32 s13, s1, vcc_lo
	s_and_saveexec_b32 s12, s13
	s_cbranch_execz .LBB44_90
; %bb.86:
	s_and_not1_b32 vcc_lo, exec_lo, s5
	s_cbranch_vccnz .LBB44_88
; %bb.87:
	v_lshl_add_u64 v[14:15], v[6:7], 3, s[8:9]
	global_store_b64 v[14:15], v[2:3], off
.LBB44_88:
	s_and_not1_b32 vcc_lo, exec_lo, s4
	s_cbranch_vccnz .LBB44_90
; %bb.89:
	v_lshl_add_u64 v[6:7], v[6:7], 3, s[10:11]
	global_store_b64 v[6:7], v[4:5], off
.LBB44_90:
	s_wait_xcnt 0x0
	s_or_b32 exec_lo, exec_lo, s12
	v_cmp_gt_u32_e32 vcc_lo, 16, v0
	s_and_b32 exec_lo, exec_lo, vcc_lo
	s_cbranch_execz .LBB44_98
; %bb.91:
	s_and_saveexec_b32 s12, s0
	s_cbranch_execz .LBB44_93
; %bb.92:
	v_add_nc_u32_e32 v2, v0, v8
	s_delay_alu instid0(VALU_DEP_1)
	v_lshl_add_u32 v4, v2, 3, 0
	ds_load_b64 v[2:3], v4 offset:128
	ds_load_b64 v[4:5], v4 offset:4352
.LBB44_93:
	s_or_b32 exec_lo, exec_lo, s12
	s_wait_dscnt 0x1
	ds_bpermute_b32 v6, v9, v2
	ds_bpermute_b32 v7, v9, v3
	s_wait_dscnt 0x2
	ds_bpermute_b32 v8, v9, v4
	ds_bpermute_b32 v9, v9, v5
	s_wait_dscnt 0x2
	v_add_f64_e32 v[2:3], v[2:3], v[6:7]
	s_wait_dscnt 0x0
	v_add_f64_e32 v[4:5], v[4:5], v[8:9]
	ds_bpermute_b32 v6, v10, v2
	ds_bpermute_b32 v7, v10, v3
	;; [unrolled: 1-line block ×4, first 2 shown]
	v_add_nc_u32_e32 v10, 16, v0
	s_delay_alu instid0(VALU_DEP_1)
	v_or_b32_e32 v10, s2, v10
	s_wait_dscnt 0x2
	v_add_f64_e32 v[2:3], v[2:3], v[6:7]
	s_wait_dscnt 0x0
	v_add_f64_e32 v[4:5], v[4:5], v[8:9]
	ds_bpermute_b32 v6, v11, v2
	ds_bpermute_b32 v7, v11, v3
	;; [unrolled: 1-line block ×4, first 2 shown]
	v_mov_b32_e32 v11, s3
	s_delay_alu instid0(VALU_DEP_1)
	v_cmp_gt_i64_e32 vcc_lo, s[6:7], v[10:11]
	s_and_b32 s0, s1, vcc_lo
	s_wait_dscnt 0x2
	v_add_f64_e32 v[6:7], v[2:3], v[6:7]
	s_wait_dscnt 0x0
	v_add_f64_e32 v[2:3], v[4:5], v[8:9]
	ds_bpermute_b32 v8, v12, v6
	ds_bpermute_b32 v9, v12, v7
	;; [unrolled: 1-line block ×4, first 2 shown]
	s_and_b32 exec_lo, exec_lo, s0
	s_cbranch_execz .LBB44_98
; %bb.94:
	v_add_nc_u64_e32 v[0:1], s[2:3], v[0:1]
	s_and_not1_b32 vcc_lo, exec_lo, s5
	s_cbranch_vccnz .LBB44_96
; %bb.95:
	s_wait_dscnt 0x2
	v_add_f64_e32 v[6:7], v[6:7], v[8:9]
	s_delay_alu instid0(VALU_DEP_2)
	v_lshl_add_u64 v[8:9], v[0:1], 3, s[8:9]
	global_store_b64 v[8:9], v[6:7], off offset:128
.LBB44_96:
	s_and_not1_b32 vcc_lo, exec_lo, s4
	s_cbranch_vccnz .LBB44_98
; %bb.97:
	s_wait_dscnt 0x0
	v_add_f64_e32 v[2:3], v[2:3], v[4:5]
	v_lshl_add_u64 v[0:1], v[0:1], 3, s[10:11]
	global_store_b64 v[0:1], v[2:3], off offset:128
.LBB44_98:
	s_sendmsg sendmsg(MSG_DEALLOC_VGPRS)
	s_endpgm
	.section	.rodata,"a",@progbits
	.p2align	6, 0x0
	.amdhsa_kernel _ZN2at6native12_GLOBAL__N_135GammaBetaBackwardCUDAKernelTemplateIddLj32ELj16ELj128ELb0ELb0ELb0EEEvllPKT_S5_PKT0_S8_PS3_S9_
		.amdhsa_group_segment_fixed_size 0
		.amdhsa_private_segment_fixed_size 0
		.amdhsa_kernarg_size 320
		.amdhsa_user_sgpr_count 2
		.amdhsa_user_sgpr_dispatch_ptr 0
		.amdhsa_user_sgpr_queue_ptr 0
		.amdhsa_user_sgpr_kernarg_segment_ptr 1
		.amdhsa_user_sgpr_dispatch_id 0
		.amdhsa_user_sgpr_kernarg_preload_length 0
		.amdhsa_user_sgpr_kernarg_preload_offset 0
		.amdhsa_user_sgpr_private_segment_size 0
		.amdhsa_wavefront_size32 1
		.amdhsa_uses_dynamic_stack 0
		.amdhsa_enable_private_segment 0
		.amdhsa_system_sgpr_workgroup_id_x 1
		.amdhsa_system_sgpr_workgroup_id_y 1
		.amdhsa_system_sgpr_workgroup_id_z 0
		.amdhsa_system_sgpr_workgroup_info 0
		.amdhsa_system_vgpr_workitem_id 1
		.amdhsa_next_free_vgpr 118
		.amdhsa_next_free_sgpr 52
		.amdhsa_named_barrier_count 0
		.amdhsa_reserve_vcc 1
		.amdhsa_float_round_mode_32 0
		.amdhsa_float_round_mode_16_64 0
		.amdhsa_float_denorm_mode_32 3
		.amdhsa_float_denorm_mode_16_64 3
		.amdhsa_fp16_overflow 0
		.amdhsa_memory_ordered 1
		.amdhsa_forward_progress 1
		.amdhsa_inst_pref_size 60
		.amdhsa_round_robin_scheduling 0
		.amdhsa_exception_fp_ieee_invalid_op 0
		.amdhsa_exception_fp_denorm_src 0
		.amdhsa_exception_fp_ieee_div_zero 0
		.amdhsa_exception_fp_ieee_overflow 0
		.amdhsa_exception_fp_ieee_underflow 0
		.amdhsa_exception_fp_ieee_inexact 0
		.amdhsa_exception_int_div_zero 0
	.end_amdhsa_kernel
	.section	.text._ZN2at6native12_GLOBAL__N_135GammaBetaBackwardCUDAKernelTemplateIddLj32ELj16ELj128ELb0ELb0ELb0EEEvllPKT_S5_PKT0_S8_PS3_S9_,"axG",@progbits,_ZN2at6native12_GLOBAL__N_135GammaBetaBackwardCUDAKernelTemplateIddLj32ELj16ELj128ELb0ELb0ELb0EEEvllPKT_S5_PKT0_S8_PS3_S9_,comdat
.Lfunc_end44:
	.size	_ZN2at6native12_GLOBAL__N_135GammaBetaBackwardCUDAKernelTemplateIddLj32ELj16ELj128ELb0ELb0ELb0EEEvllPKT_S5_PKT0_S8_PS3_S9_, .Lfunc_end44-_ZN2at6native12_GLOBAL__N_135GammaBetaBackwardCUDAKernelTemplateIddLj32ELj16ELj128ELb0ELb0ELb0EEEvllPKT_S5_PKT0_S8_PS3_S9_
                                        ; -- End function
	.set _ZN2at6native12_GLOBAL__N_135GammaBetaBackwardCUDAKernelTemplateIddLj32ELj16ELj128ELb0ELb0ELb0EEEvllPKT_S5_PKT0_S8_PS3_S9_.num_vgpr, 118
	.set _ZN2at6native12_GLOBAL__N_135GammaBetaBackwardCUDAKernelTemplateIddLj32ELj16ELj128ELb0ELb0ELb0EEEvllPKT_S5_PKT0_S8_PS3_S9_.num_agpr, 0
	.set _ZN2at6native12_GLOBAL__N_135GammaBetaBackwardCUDAKernelTemplateIddLj32ELj16ELj128ELb0ELb0ELb0EEEvllPKT_S5_PKT0_S8_PS3_S9_.numbered_sgpr, 52
	.set _ZN2at6native12_GLOBAL__N_135GammaBetaBackwardCUDAKernelTemplateIddLj32ELj16ELj128ELb0ELb0ELb0EEEvllPKT_S5_PKT0_S8_PS3_S9_.num_named_barrier, 0
	.set _ZN2at6native12_GLOBAL__N_135GammaBetaBackwardCUDAKernelTemplateIddLj32ELj16ELj128ELb0ELb0ELb0EEEvllPKT_S5_PKT0_S8_PS3_S9_.private_seg_size, 0
	.set _ZN2at6native12_GLOBAL__N_135GammaBetaBackwardCUDAKernelTemplateIddLj32ELj16ELj128ELb0ELb0ELb0EEEvllPKT_S5_PKT0_S8_PS3_S9_.uses_vcc, 1
	.set _ZN2at6native12_GLOBAL__N_135GammaBetaBackwardCUDAKernelTemplateIddLj32ELj16ELj128ELb0ELb0ELb0EEEvllPKT_S5_PKT0_S8_PS3_S9_.uses_flat_scratch, 0
	.set _ZN2at6native12_GLOBAL__N_135GammaBetaBackwardCUDAKernelTemplateIddLj32ELj16ELj128ELb0ELb0ELb0EEEvllPKT_S5_PKT0_S8_PS3_S9_.has_dyn_sized_stack, 0
	.set _ZN2at6native12_GLOBAL__N_135GammaBetaBackwardCUDAKernelTemplateIddLj32ELj16ELj128ELb0ELb0ELb0EEEvllPKT_S5_PKT0_S8_PS3_S9_.has_recursion, 0
	.set _ZN2at6native12_GLOBAL__N_135GammaBetaBackwardCUDAKernelTemplateIddLj32ELj16ELj128ELb0ELb0ELb0EEEvllPKT_S5_PKT0_S8_PS3_S9_.has_indirect_call, 0
	.section	.AMDGPU.csdata,"",@progbits
; Kernel info:
; codeLenInByte = 7640
; TotalNumSgprs: 54
; NumVgprs: 118
; ScratchSize: 0
; MemoryBound: 1
; FloatMode: 240
; IeeeMode: 1
; LDSByteSize: 0 bytes/workgroup (compile time only)
; SGPRBlocks: 0
; VGPRBlocks: 7
; NumSGPRsForWavesPerEU: 54
; NumVGPRsForWavesPerEU: 118
; NamedBarCnt: 0
; Occupancy: 8
; WaveLimiterHint : 0
; COMPUTE_PGM_RSRC2:SCRATCH_EN: 0
; COMPUTE_PGM_RSRC2:USER_SGPR: 2
; COMPUTE_PGM_RSRC2:TRAP_HANDLER: 0
; COMPUTE_PGM_RSRC2:TGID_X_EN: 1
; COMPUTE_PGM_RSRC2:TGID_Y_EN: 1
; COMPUTE_PGM_RSRC2:TGID_Z_EN: 0
; COMPUTE_PGM_RSRC2:TIDIG_COMP_CNT: 1
	.section	.text._ZN2at6native12_GLOBAL__N_135GammaBetaBackwardCUDAKernelTemplateIddLj32ELj32ELj256ELb0ELb1ELb0EEEvllPKT_S5_PKT0_S8_PS3_S9_,"axG",@progbits,_ZN2at6native12_GLOBAL__N_135GammaBetaBackwardCUDAKernelTemplateIddLj32ELj32ELj256ELb0ELb1ELb0EEEvllPKT_S5_PKT0_S8_PS3_S9_,comdat
	.globl	_ZN2at6native12_GLOBAL__N_135GammaBetaBackwardCUDAKernelTemplateIddLj32ELj32ELj256ELb0ELb1ELb0EEEvllPKT_S5_PKT0_S8_PS3_S9_ ; -- Begin function _ZN2at6native12_GLOBAL__N_135GammaBetaBackwardCUDAKernelTemplateIddLj32ELj32ELj256ELb0ELb1ELb0EEEvllPKT_S5_PKT0_S8_PS3_S9_
	.p2align	8
	.type	_ZN2at6native12_GLOBAL__N_135GammaBetaBackwardCUDAKernelTemplateIddLj32ELj32ELj256ELb0ELb1ELb0EEEvllPKT_S5_PKT0_S8_PS3_S9_,@function
_ZN2at6native12_GLOBAL__N_135GammaBetaBackwardCUDAKernelTemplateIddLj32ELj32ELj256ELb0ELb1ELb0EEEvllPKT_S5_PKT0_S8_PS3_S9_: ; @_ZN2at6native12_GLOBAL__N_135GammaBetaBackwardCUDAKernelTemplateIddLj32ELj32ELj256ELb0ELb1ELb0EEEvllPKT_S5_PKT0_S8_PS3_S9_
; %bb.0:
	s_load_b128 s[12:15], s[0:1], 0x0
	s_bfe_u32 s2, ttmp6, 0x40010
	s_bfe_u32 s3, ttmp6, 0x40004
	s_add_co_i32 s2, s2, 1
	s_getreg_b32 s24, hwreg(HW_REG_IB_STS2, 6, 4)
	s_mul_i32 s2, ttmp7, s2
	s_mov_b32 s17, 0
	s_add_co_i32 s3, s3, s2
	s_cmp_eq_u32 s24, 0
	v_bfe_u32 v25, v0, 10, 10
	s_cselect_b32 s2, ttmp7, s3
	s_delay_alu instid0(SALU_CYCLE_1)
	s_lshl_b32 s16, s2, 8
	s_wait_kmcnt 0x0
	v_cmp_gt_i64_e64 s2, s[12:13], s[16:17]
	s_and_b32 vcc_lo, exec_lo, s2
	s_cbranch_vccnz .LBB45_2
; %bb.1:
	v_bfe_u32 v1, v0, 10, 10
	s_mov_b32 s2, s17
	s_branch .LBB45_3
.LBB45_2:
	s_mov_b32 s2, -1
                                        ; implicit-def: $vgpr1
.LBB45_3:
	v_mov_b64_e32 v[14:15], 0
	v_mov_b64_e32 v[2:3], 0
	v_and_b32_e32 v24, 0x3ff, v0
	s_and_not1_b32 vcc_lo, exec_lo, s2
	s_cbranch_vccnz .LBB45_11
; %bb.4:
	v_dual_mov_b32 v1, 0 :: v_dual_lshlrev_b32 v0, 3, v25
	s_load_b32 s2, s[0:1], 0x4c
	s_bfe_u32 s20, ttmp6, 0x4000c
	s_clause 0x1
	s_load_b32 s3, s[0:1], 0x44
	s_load_b256 s[4:11], s[0:1], 0x10
	s_add_co_i32 s20, s20, 1
	v_add_nc_u64_e32 v[2:3], s[16:17], v[0:1]
	s_and_b32 s18, ttmp6, 15
	s_mul_i32 s20, ttmp9, s20
	v_dual_mov_b32 v27, 12 :: v_dual_mov_b32 v7, v1
	s_add_co_i32 s18, s18, s20
	v_mov_b64_e32 v[14:15], 0
	s_delay_alu instid0(VALU_DEP_3)
	v_mul_u64_e32 v[8:9], s[14:15], v[2:3]
	s_mov_b32 s19, 0
	v_dual_mov_b32 v0, 4 :: v_dual_mov_b32 v26, 8
	v_dual_mov_b32 v28, 16 :: v_dual_mov_b32 v29, 20
	;; [unrolled: 1-line block ×3, first 2 shown]
	s_wait_kmcnt 0x0
	s_and_b32 s2, s2, 0xffff
	s_cmp_eq_u32 s24, 0
	v_mad_u32_u24 v4, v25, s2, v24
	v_mov_b32_e32 v11, v1
	s_cselect_b32 s2, ttmp9, s18
	s_lshl_b32 s18, s3, 8
	v_lshl_add_u32 v10, s2, 5, v24
	v_and_b32_e32 v6, 31, v4
	s_mul_u64 s[22:23], s[14:15], s[18:19]
	s_lshl_b64 s[20:21], s[18:19], 3
	s_lshl_b64 s[22:23], s[22:23], 3
	v_lshlrev_b64_e32 v[10:11], 3, v[10:11]
	v_add_nc_u64_e32 v[4:5], v[2:3], v[6:7]
	v_mov_b64_e32 v[2:3], 0
	v_cmp_gt_u32_e64 s2, 8, v6
	s_lshl_b64 s[14:15], s[14:15], 3
	v_lshlrev_b64_e32 v[6:7], 3, v[4:5]
	v_lshl_add_u64 v[8:9], v[8:9], 3, v[10:11]
	s_branch .LBB45_7
.LBB45_5:                               ;   in Loop: Header=BB45_7 Depth=1
	s_wait_xcnt 0x0
	s_or_b32 exec_lo, exec_lo, s25
.LBB45_6:                               ;   in Loop: Header=BB45_7 Depth=1
	s_delay_alu instid0(SALU_CYCLE_1)
	s_or_b32 exec_lo, exec_lo, s3
	v_add_nc_u64_e32 v[16:17], s[6:7], v[8:9]
	v_add_nc_u64_e32 v[18:19], s[4:5], v[8:9]
	s_wait_loadcnt 0x0
	ds_bpermute_b32 v58, v1, v10
	ds_bpermute_b32 v59, v1, v11
	s_add_nc_u64 s[16:17], s[16:17], s[18:19]
	v_add_nc_u64_e32 v[6:7], s[20:21], v[6:7]
	v_cmp_lt_i64_e64 s3, s[16:17], s[12:13]
	global_load_b64 v[32:33], v[16:17], off
	s_wait_xcnt 0x0
	v_add_nc_u64_e32 v[16:17], s[14:15], v[16:17]
	v_add_nc_u64_e32 v[4:5], s[18:19], v[4:5]
	;; [unrolled: 1-line block ×3, first 2 shown]
	global_load_b64 v[34:35], v[16:17], off
	global_load_b64 v[36:37], v[18:19], off
	s_wait_xcnt 0x1
	v_add_nc_u64_e32 v[16:17], s[14:15], v[16:17]
	s_wait_xcnt 0x0
	v_add_nc_u64_e32 v[18:19], s[14:15], v[18:19]
	s_and_b32 vcc_lo, exec_lo, s3
	global_load_b64 v[38:39], v[16:17], off
	global_load_b64 v[40:41], v[18:19], off
	s_wait_xcnt 0x1
	v_add_nc_u64_e32 v[16:17], s[14:15], v[16:17]
	s_wait_xcnt 0x0
	v_add_nc_u64_e32 v[18:19], s[14:15], v[18:19]
	global_load_b64 v[42:43], v[16:17], off
	global_load_b64 v[44:45], v[18:19], off
	s_wait_xcnt 0x1
	v_add_nc_u64_e32 v[16:17], s[14:15], v[16:17]
	s_wait_xcnt 0x0
	v_add_nc_u64_e32 v[18:19], s[14:15], v[18:19]
	;; [unrolled: 6-line block ×3, first 2 shown]
	global_load_b64 v[50:51], v[16:17], off
	global_load_b64 v[52:53], v[18:19], off
	s_wait_xcnt 0x1
	v_add_nc_u64_e32 v[16:17], s[14:15], v[16:17]
	v_add_nc_u64_e32 v[20:21], s[14:15], v[18:19]
	global_load_b64 v[54:55], v[16:17], off
	global_load_b64 v[18:19], v[20:21], off
	s_wait_xcnt 0x1
	v_add_nc_u64_e32 v[16:17], s[14:15], v[16:17]
	v_add_nc_u64_e32 v[56:57], s[14:15], v[20:21]
	global_load_b64 v[22:23], v[16:17], off
	global_load_b64 v[20:21], v[56:57], off
	s_wait_xcnt 0x1
	v_add_nc_u64_e32 v[16:17], s[14:15], v[56:57]
	s_wait_xcnt 0x0
	ds_bpermute_b32 v56, v1, v12
	ds_bpermute_b32 v57, v1, v13
	global_load_b64 v[16:17], v[16:17], off
	s_wait_loadcnt_dscnt 0xf00
	v_add_f64_e64 v[32:33], v[32:33], -v[56:57]
	ds_bpermute_b32 v56, v0, v12
	ds_bpermute_b32 v57, v0, v13
	s_wait_loadcnt 0xd
	v_add_f64_e32 v[14:15], v[14:15], v[36:37]
	s_wait_dscnt 0x0
	v_add_f64_e64 v[34:35], v[34:35], -v[56:57]
	ds_bpermute_b32 v56, v26, v12
	ds_bpermute_b32 v57, v26, v13
	v_mul_f64_e32 v[32:33], v[36:37], v[32:33]
	ds_bpermute_b32 v36, v0, v10
	ds_bpermute_b32 v37, v0, v11
	s_wait_loadcnt 0xb
	v_add_f64_e32 v[14:15], v[14:15], v[40:41]
	s_wait_dscnt 0x2
	v_add_f64_e64 v[38:39], v[38:39], -v[56:57]
	v_mul_f64_e32 v[34:35], v[40:41], v[34:35]
	v_fmac_f64_e32 v[2:3], v[32:33], v[58:59]
	ds_bpermute_b32 v32, v27, v12
	ds_bpermute_b32 v33, v27, v13
	s_wait_loadcnt 0x9
	v_add_f64_e32 v[14:15], v[14:15], v[44:45]
	v_mul_f64_e32 v[38:39], v[44:45], v[38:39]
	s_wait_dscnt 0x0
	v_add_f64_e64 v[32:33], v[42:43], -v[32:33]
	v_fmac_f64_e32 v[2:3], v[34:35], v[36:37]
	ds_bpermute_b32 v34, v28, v12
	ds_bpermute_b32 v35, v28, v13
	;; [unrolled: 1-line block ×4, first 2 shown]
	s_wait_loadcnt 0x7
	v_add_f64_e32 v[14:15], v[14:15], v[48:49]
	s_wait_dscnt 0x2
	v_add_f64_e64 v[34:35], v[46:47], -v[34:35]
	v_mul_f64_e32 v[32:33], v[48:49], v[32:33]
	s_wait_dscnt 0x0
	v_fmac_f64_e32 v[2:3], v[38:39], v[36:37]
	ds_bpermute_b32 v36, v29, v12
	ds_bpermute_b32 v37, v29, v13
	;; [unrolled: 1-line block ×4, first 2 shown]
	s_wait_loadcnt 0x5
	v_add_f64_e32 v[14:15], v[14:15], v[52:53]
	s_wait_dscnt 0x2
	v_add_f64_e64 v[36:37], v[50:51], -v[36:37]
	v_mul_f64_e32 v[34:35], v[52:53], v[34:35]
	s_wait_dscnt 0x0
	v_fmac_f64_e32 v[2:3], v[32:33], v[38:39]
	ds_bpermute_b32 v32, v30, v12
	ds_bpermute_b32 v33, v30, v13
	;; [unrolled: 1-line block ×6, first 2 shown]
	s_wait_loadcnt 0x3
	v_add_f64_e32 v[14:15], v[14:15], v[18:19]
	s_wait_dscnt 0x4
	v_add_f64_e64 v[32:33], v[54:55], -v[32:33]
	v_mul_f64_e32 v[36:37], v[18:19], v[36:37]
	ds_bpermute_b32 v18, v30, v10
	ds_bpermute_b32 v19, v30, v11
	s_wait_loadcnt_dscnt 0x202
	v_add_f64_e64 v[12:13], v[22:23], -v[12:13]
	v_fmac_f64_e32 v[2:3], v[34:35], v[38:39]
	ds_bpermute_b32 v34, v29, v10
	ds_bpermute_b32 v35, v29, v11
	;; [unrolled: 1-line block ×4, first 2 shown]
	s_wait_loadcnt 0x1
	v_add_f64_e32 v[14:15], v[14:15], v[20:21]
	v_mul_f64_e32 v[22:23], v[20:21], v[32:33]
	s_wait_loadcnt 0x0
	v_mul_f64_e32 v[12:13], v[16:17], v[12:13]
	s_wait_dscnt 0x2
	v_fmac_f64_e32 v[2:3], v[36:37], v[34:35]
	s_delay_alu instid0(VALU_DEP_4) | instskip(NEXT) | instid1(VALU_DEP_2)
	v_add_f64_e32 v[14:15], v[14:15], v[16:17]
	v_fmac_f64_e32 v[2:3], v[22:23], v[18:19]
	s_wait_dscnt 0x0
	s_delay_alu instid0(VALU_DEP_1)
	v_fmac_f64_e32 v[2:3], v[12:13], v[10:11]
	s_cbranch_vccz .LBB45_10
.LBB45_7:                               ; =>This Inner Loop Header: Depth=1
	v_mov_b64_e32 v[10:11], 0
	v_mov_b64_e32 v[12:13], 0
	s_and_saveexec_b32 s3, s2
	s_cbranch_execz .LBB45_6
; %bb.8:                                ;   in Loop: Header=BB45_7 Depth=1
	v_mov_b64_e32 v[12:13], 0
	v_mov_b64_e32 v[10:11], 0
	s_mov_b32 s25, exec_lo
	v_cmpx_gt_i64_e64 s[12:13], v[4:5]
	s_cbranch_execz .LBB45_5
; %bb.9:                                ;   in Loop: Header=BB45_7 Depth=1
	v_add_nc_u64_e32 v[16:17], s[8:9], v[6:7]
	v_add_nc_u64_e32 v[18:19], s[10:11], v[6:7]
	global_load_b64 v[12:13], v[16:17], off
	global_load_b64 v[10:11], v[18:19], off
	s_branch .LBB45_5
.LBB45_10:
	v_mov_b32_e32 v1, v25
.LBB45_11:
	s_load_b128 s[0:3], s[0:1], 0x30
	s_delay_alu instid0(VALU_DEP_1) | instskip(SKIP_2) | instid1(VALU_DEP_2)
	v_mad_u32_u24 v0, v1, 33, v24
	v_lshrrev_b32_e32 v4, 5, v24
	s_mov_b32 s4, exec_lo
	v_lshl_add_u32 v0, v0, 3, 0
	s_delay_alu instid0(VALU_DEP_2)
	v_add_nc_u32_e32 v8, v4, v1
	ds_store_b64 v0, v[2:3]
	ds_store_b64 v0, v[14:15] offset:8448
	s_wait_dscnt 0x0
	s_barrier_signal -1
	s_barrier_wait -1
	v_cmpx_gt_u32_e32 32, v8
	s_cbranch_execz .LBB45_17
; %bb.12:
	v_and_b32_e32 v0, 31, v24
	v_mbcnt_lo_u32_b32 v9, -1, 0
	s_delay_alu instid0(VALU_DEP_2) | instskip(NEXT) | instid1(VALU_DEP_2)
	v_mad_u32_u24 v0, v0, 33, v8
	v_xor_b32_e32 v4, 16, v9
	s_delay_alu instid0(VALU_DEP_2) | instskip(NEXT) | instid1(VALU_DEP_2)
	v_lshl_add_u32 v2, v0, 3, 0
	v_cmp_gt_i32_e32 vcc_lo, 32, v4
	ds_load_b64 v[0:1], v2
	ds_load_b64 v[2:3], v2 offset:8448
	v_cndmask_b32_e32 v4, v9, v4, vcc_lo
	s_delay_alu instid0(VALU_DEP_1)
	v_lshlrev_b32_e32 v7, 2, v4
	s_wait_dscnt 0x1
	ds_bpermute_b32 v4, v7, v0
	ds_bpermute_b32 v5, v7, v1
	s_wait_dscnt 0x0
	v_add_f64_e32 v[0:1], v[0:1], v[4:5]
	v_xor_b32_e32 v4, 8, v9
	ds_bpermute_b32 v6, v7, v2
	ds_bpermute_b32 v7, v7, v3
	v_cmp_gt_i32_e32 vcc_lo, 32, v4
	s_wait_dscnt 0x0
	v_dual_add_f64 v[2:3], v[2:3], v[6:7] :: v_dual_cndmask_b32 v4, v9, v4, vcc_lo
	s_delay_alu instid0(VALU_DEP_1)
	v_lshlrev_b32_e32 v7, 2, v4
	ds_bpermute_b32 v4, v7, v0
	ds_bpermute_b32 v5, v7, v1
	s_wait_dscnt 0x0
	v_add_f64_e32 v[0:1], v[0:1], v[4:5]
	v_xor_b32_e32 v4, 4, v9
	ds_bpermute_b32 v6, v7, v2
	ds_bpermute_b32 v7, v7, v3
	v_cmp_gt_i32_e32 vcc_lo, 32, v4
	s_wait_dscnt 0x0
	v_dual_add_f64 v[2:3], v[2:3], v[6:7] :: v_dual_cndmask_b32 v4, v9, v4, vcc_lo
	s_delay_alu instid0(VALU_DEP_1)
	v_lshlrev_b32_e32 v7, 2, v4
	ds_bpermute_b32 v4, v7, v0
	ds_bpermute_b32 v5, v7, v1
	s_wait_dscnt 0x0
	v_add_f64_e32 v[0:1], v[0:1], v[4:5]
	ds_bpermute_b32 v6, v7, v2
	ds_bpermute_b32 v7, v7, v3
	s_wait_dscnt 0x0
	v_dual_add_f64 v[4:5], v[2:3], v[6:7] :: v_dual_bitop2_b32 v2, 2, v9 bitop3:0x14
	s_delay_alu instid0(VALU_DEP_1) | instskip(SKIP_1) | instid1(VALU_DEP_1)
	v_cmp_gt_i32_e32 vcc_lo, 32, v2
	v_cndmask_b32_e32 v2, v9, v2, vcc_lo
	v_lshlrev_b32_e32 v7, 2, v2
	ds_bpermute_b32 v2, v7, v0
	ds_bpermute_b32 v3, v7, v1
	;; [unrolled: 1-line block ×4, first 2 shown]
	s_wait_dscnt 0x2
	v_add_f64_e32 v[2:3], v[0:1], v[2:3]
	s_wait_dscnt 0x0
	v_dual_add_f64 v[0:1], v[4:5], v[6:7] :: v_dual_bitop2_b32 v4, 1, v9 bitop3:0x14
	s_delay_alu instid0(VALU_DEP_1) | instskip(SKIP_2) | instid1(VALU_DEP_2)
	v_cmp_gt_i32_e32 vcc_lo, 32, v4
	v_cndmask_b32_e32 v4, v9, v4, vcc_lo
	v_cmp_eq_u32_e32 vcc_lo, 0, v24
	v_lshlrev_b32_e32 v5, 2, v4
	ds_bpermute_b32 v6, v5, v2
	ds_bpermute_b32 v7, v5, v3
	;; [unrolled: 1-line block ×4, first 2 shown]
	s_and_b32 exec_lo, exec_lo, vcc_lo
	s_cbranch_execz .LBB45_17
; %bb.13:
	s_bfe_u32 s4, ttmp6, 0x4000c
	s_and_b32 s5, ttmp6, 15
	s_add_co_i32 s4, s4, 1
	s_delay_alu instid0(SALU_CYCLE_1) | instskip(NEXT) | instid1(SALU_CYCLE_1)
	s_mul_i32 s4, ttmp9, s4
	s_add_co_i32 s4, s5, s4
	s_cmp_eq_u32 s24, 0
	s_mov_b32 s5, 0
	s_cselect_b32 s4, ttmp9, s4
	s_delay_alu instid0(SALU_CYCLE_1)
	s_lshl_b64 s[4:5], s[4:5], 5
	s_wait_kmcnt 0x0
	s_cmp_eq_u64 s[0:1], 0
	v_dual_mov_b32 v9, s5 :: v_dual_bitop2_b32 v8, s4, v8 bitop3:0x54
	s_cbranch_scc1 .LBB45_15
; %bb.14:
	s_wait_dscnt 0x2
	v_add_f64_e32 v[2:3], v[2:3], v[6:7]
	s_delay_alu instid0(VALU_DEP_2)
	v_lshl_add_u64 v[6:7], v[8:9], 3, s[0:1]
	global_store_b64 v[6:7], v[2:3], off
.LBB45_15:
	s_cmp_eq_u64 s[2:3], 0
	s_cbranch_scc1 .LBB45_17
; %bb.16:
	s_wait_dscnt 0x0
	v_add_f64_e32 v[0:1], v[0:1], v[4:5]
	s_wait_xcnt 0x0
	v_lshl_add_u64 v[2:3], v[8:9], 3, s[2:3]
	global_store_b64 v[2:3], v[0:1], off
.LBB45_17:
	s_endpgm
	.section	.rodata,"a",@progbits
	.p2align	6, 0x0
	.amdhsa_kernel _ZN2at6native12_GLOBAL__N_135GammaBetaBackwardCUDAKernelTemplateIddLj32ELj32ELj256ELb0ELb1ELb0EEEvllPKT_S5_PKT0_S8_PS3_S9_
		.amdhsa_group_segment_fixed_size 0
		.amdhsa_private_segment_fixed_size 0
		.amdhsa_kernarg_size 320
		.amdhsa_user_sgpr_count 2
		.amdhsa_user_sgpr_dispatch_ptr 0
		.amdhsa_user_sgpr_queue_ptr 0
		.amdhsa_user_sgpr_kernarg_segment_ptr 1
		.amdhsa_user_sgpr_dispatch_id 0
		.amdhsa_user_sgpr_kernarg_preload_length 0
		.amdhsa_user_sgpr_kernarg_preload_offset 0
		.amdhsa_user_sgpr_private_segment_size 0
		.amdhsa_wavefront_size32 1
		.amdhsa_uses_dynamic_stack 0
		.amdhsa_enable_private_segment 0
		.amdhsa_system_sgpr_workgroup_id_x 1
		.amdhsa_system_sgpr_workgroup_id_y 1
		.amdhsa_system_sgpr_workgroup_id_z 0
		.amdhsa_system_sgpr_workgroup_info 0
		.amdhsa_system_vgpr_workitem_id 1
		.amdhsa_next_free_vgpr 60
		.amdhsa_next_free_sgpr 26
		.amdhsa_named_barrier_count 0
		.amdhsa_reserve_vcc 1
		.amdhsa_float_round_mode_32 0
		.amdhsa_float_round_mode_16_64 0
		.amdhsa_float_denorm_mode_32 3
		.amdhsa_float_denorm_mode_16_64 3
		.amdhsa_fp16_overflow 0
		.amdhsa_memory_ordered 1
		.amdhsa_forward_progress 1
		.amdhsa_inst_pref_size 16
		.amdhsa_round_robin_scheduling 0
		.amdhsa_exception_fp_ieee_invalid_op 0
		.amdhsa_exception_fp_denorm_src 0
		.amdhsa_exception_fp_ieee_div_zero 0
		.amdhsa_exception_fp_ieee_overflow 0
		.amdhsa_exception_fp_ieee_underflow 0
		.amdhsa_exception_fp_ieee_inexact 0
		.amdhsa_exception_int_div_zero 0
	.end_amdhsa_kernel
	.section	.text._ZN2at6native12_GLOBAL__N_135GammaBetaBackwardCUDAKernelTemplateIddLj32ELj32ELj256ELb0ELb1ELb0EEEvllPKT_S5_PKT0_S8_PS3_S9_,"axG",@progbits,_ZN2at6native12_GLOBAL__N_135GammaBetaBackwardCUDAKernelTemplateIddLj32ELj32ELj256ELb0ELb1ELb0EEEvllPKT_S5_PKT0_S8_PS3_S9_,comdat
.Lfunc_end45:
	.size	_ZN2at6native12_GLOBAL__N_135GammaBetaBackwardCUDAKernelTemplateIddLj32ELj32ELj256ELb0ELb1ELb0EEEvllPKT_S5_PKT0_S8_PS3_S9_, .Lfunc_end45-_ZN2at6native12_GLOBAL__N_135GammaBetaBackwardCUDAKernelTemplateIddLj32ELj32ELj256ELb0ELb1ELb0EEEvllPKT_S5_PKT0_S8_PS3_S9_
                                        ; -- End function
	.set _ZN2at6native12_GLOBAL__N_135GammaBetaBackwardCUDAKernelTemplateIddLj32ELj32ELj256ELb0ELb1ELb0EEEvllPKT_S5_PKT0_S8_PS3_S9_.num_vgpr, 60
	.set _ZN2at6native12_GLOBAL__N_135GammaBetaBackwardCUDAKernelTemplateIddLj32ELj32ELj256ELb0ELb1ELb0EEEvllPKT_S5_PKT0_S8_PS3_S9_.num_agpr, 0
	.set _ZN2at6native12_GLOBAL__N_135GammaBetaBackwardCUDAKernelTemplateIddLj32ELj32ELj256ELb0ELb1ELb0EEEvllPKT_S5_PKT0_S8_PS3_S9_.numbered_sgpr, 26
	.set _ZN2at6native12_GLOBAL__N_135GammaBetaBackwardCUDAKernelTemplateIddLj32ELj32ELj256ELb0ELb1ELb0EEEvllPKT_S5_PKT0_S8_PS3_S9_.num_named_barrier, 0
	.set _ZN2at6native12_GLOBAL__N_135GammaBetaBackwardCUDAKernelTemplateIddLj32ELj32ELj256ELb0ELb1ELb0EEEvllPKT_S5_PKT0_S8_PS3_S9_.private_seg_size, 0
	.set _ZN2at6native12_GLOBAL__N_135GammaBetaBackwardCUDAKernelTemplateIddLj32ELj32ELj256ELb0ELb1ELb0EEEvllPKT_S5_PKT0_S8_PS3_S9_.uses_vcc, 1
	.set _ZN2at6native12_GLOBAL__N_135GammaBetaBackwardCUDAKernelTemplateIddLj32ELj32ELj256ELb0ELb1ELb0EEEvllPKT_S5_PKT0_S8_PS3_S9_.uses_flat_scratch, 0
	.set _ZN2at6native12_GLOBAL__N_135GammaBetaBackwardCUDAKernelTemplateIddLj32ELj32ELj256ELb0ELb1ELb0EEEvllPKT_S5_PKT0_S8_PS3_S9_.has_dyn_sized_stack, 0
	.set _ZN2at6native12_GLOBAL__N_135GammaBetaBackwardCUDAKernelTemplateIddLj32ELj32ELj256ELb0ELb1ELb0EEEvllPKT_S5_PKT0_S8_PS3_S9_.has_recursion, 0
	.set _ZN2at6native12_GLOBAL__N_135GammaBetaBackwardCUDAKernelTemplateIddLj32ELj32ELj256ELb0ELb1ELb0EEEvllPKT_S5_PKT0_S8_PS3_S9_.has_indirect_call, 0
	.section	.AMDGPU.csdata,"",@progbits
; Kernel info:
; codeLenInByte = 1932
; TotalNumSgprs: 28
; NumVgprs: 60
; ScratchSize: 0
; MemoryBound: 0
; FloatMode: 240
; IeeeMode: 1
; LDSByteSize: 0 bytes/workgroup (compile time only)
; SGPRBlocks: 0
; VGPRBlocks: 3
; NumSGPRsForWavesPerEU: 28
; NumVGPRsForWavesPerEU: 60
; NamedBarCnt: 0
; Occupancy: 16
; WaveLimiterHint : 0
; COMPUTE_PGM_RSRC2:SCRATCH_EN: 0
; COMPUTE_PGM_RSRC2:USER_SGPR: 2
; COMPUTE_PGM_RSRC2:TRAP_HANDLER: 0
; COMPUTE_PGM_RSRC2:TGID_X_EN: 1
; COMPUTE_PGM_RSRC2:TGID_Y_EN: 1
; COMPUTE_PGM_RSRC2:TGID_Z_EN: 0
; COMPUTE_PGM_RSRC2:TIDIG_COMP_CNT: 1
	.section	.text._ZN2at6native12_GLOBAL__N_135GammaBetaBackwardCUDAKernelTemplateIddLj32ELj32ELj256ELb0ELb0ELb0EEEvllPKT_S5_PKT0_S8_PS3_S9_,"axG",@progbits,_ZN2at6native12_GLOBAL__N_135GammaBetaBackwardCUDAKernelTemplateIddLj32ELj32ELj256ELb0ELb0ELb0EEEvllPKT_S5_PKT0_S8_PS3_S9_,comdat
	.globl	_ZN2at6native12_GLOBAL__N_135GammaBetaBackwardCUDAKernelTemplateIddLj32ELj32ELj256ELb0ELb0ELb0EEEvllPKT_S5_PKT0_S8_PS3_S9_ ; -- Begin function _ZN2at6native12_GLOBAL__N_135GammaBetaBackwardCUDAKernelTemplateIddLj32ELj32ELj256ELb0ELb0ELb0EEEvllPKT_S5_PKT0_S8_PS3_S9_
	.p2align	8
	.type	_ZN2at6native12_GLOBAL__N_135GammaBetaBackwardCUDAKernelTemplateIddLj32ELj32ELj256ELb0ELb0ELb0EEEvllPKT_S5_PKT0_S8_PS3_S9_,@function
_ZN2at6native12_GLOBAL__N_135GammaBetaBackwardCUDAKernelTemplateIddLj32ELj32ELj256ELb0ELb0ELb0EEEvllPKT_S5_PKT0_S8_PS3_S9_: ; @_ZN2at6native12_GLOBAL__N_135GammaBetaBackwardCUDAKernelTemplateIddLj32ELj32ELj256ELb0ELb0ELb0EEEvllPKT_S5_PKT0_S8_PS3_S9_
; %bb.0:
	s_load_b256 s[4:11], s[0:1], 0x0
	s_bfe_u32 s3, ttmp6, 0x4000c
	s_bfe_u32 s12, ttmp6, 0x40010
	s_add_co_i32 s3, s3, 1
	s_add_co_i32 s12, s12, 1
	s_and_b32 s2, ttmp6, 15
	s_bfe_u32 s13, ttmp6, 0x40004
	s_mul_i32 s3, ttmp9, s3
	s_mul_i32 s12, ttmp7, s12
	s_getreg_b32 s14, hwreg(HW_REG_IB_STS2, 6, 4)
	s_add_co_i32 s2, s2, s3
	s_add_co_i32 s3, s13, s12
	s_cmp_eq_u32 s14, 0
	s_mov_b32 s19, 0
	s_cselect_b32 s16, ttmp9, s2
	s_cselect_b32 s2, ttmp7, s3
	s_lshl_b32 s3, s16, 5
	s_load_b128 s[12:15], s[0:1], 0x20
	s_or_b32 s18, s3, 31
	s_wait_kmcnt 0x0
	v_cmp_le_i64_e64 s20, s[6:7], s[18:19]
	s_lshl_b32 s18, s2, 8
	s_delay_alu instid0(SALU_CYCLE_1) | instskip(SKIP_2) | instid1(VALU_DEP_1)
	v_cmp_gt_i64_e64 s17, s[4:5], s[18:19]
	s_and_b32 vcc_lo, exec_lo, s20
	v_cndmask_b32_e64 v1, 0, 1, s17
	v_cmp_ne_u32_e64 s2, 1, v1
	s_cbranch_vccz .LBB46_49
; %bb.1:
	v_mov_b64_e32 v[36:37], 0
	v_mov_b64_e32 v[40:41], 0
	s_and_b32 vcc_lo, exec_lo, s2
	s_cbranch_vccnz .LBB46_50
; %bb.2:
	v_bfe_u32 v1, v0, 10, 10
	v_mov_b32_e32 v2, 0
	v_and_b32_e32 v84, 0x3ff, v0
	s_load_b32 s20, s[0:1], 0x44
	s_mov_b32 s21, 0
	s_delay_alu instid0(VALU_DEP_2) | instskip(NEXT) | instid1(VALU_DEP_2)
	v_dual_mov_b32 v39, v2 :: v_dual_lshlrev_b32 v38, 3, v1
	v_dual_mov_b32 v19, v2 :: v_dual_add_nc_u32 v18, s3, v84
	v_mov_b64_e32 v[76:77], 0
	v_mov_b64_e32 v[36:37], 0
	s_delay_alu instid0(VALU_DEP_4)
	v_add_nc_u64_e32 v[4:5], s[18:19], v[38:39]
	s_mov_b32 s35, s21
	v_cmp_gt_i64_e64 s2, s[6:7], v[18:19]
	v_lshlrev_b64_e32 v[42:43], 3, v[18:19]
	s_mov_b64 s[22:23], 0xffffffffffffff01
	s_mov_b64 s[24:25], 0xffffffffffffff02
	;; [unrolled: 1-line block ×3, first 2 shown]
	v_mul_u64_e32 v[6:7], s[6:7], v[4:5]
	v_add_nc_u64_e32 v[8:9], 7, v[4:5]
	v_add_nc_u64_e32 v[10:11], 6, v[4:5]
	;; [unrolled: 1-line block ×6, first 2 shown]
	s_wait_kmcnt 0x0
	s_lshl_b32 s34, s20, 8
	v_mul_u64_e32 v[8:9], s[6:7], v[8:9]
	v_mul_u64_e32 v[10:11], s[6:7], v[10:11]
	;; [unrolled: 1-line block ×6, first 2 shown]
	s_mul_u64 s[44:45], s[6:7], s[34:35]
	s_mov_b64 s[28:29], 0xffffffffffffff04
	s_mov_b64 s[30:31], 0xffffffffffffff05
	;; [unrolled: 1-line block ×5, first 2 shown]
	s_add_nc_u64 s[42:43], s[0:1], 64
	s_lshl_b64 s[44:45], s[44:45], 3
	s_add_nc_u64 s[46:47], s[18:19], 0xff
	s_mov_b64 s[48:49], s[18:19]
	v_lshlrev_b64_e32 v[20:21], 3, v[6:7]
	v_add_nc_u64_e32 v[6:7], s[6:7], v[6:7]
	s_delay_alu instid0(VALU_DEP_2)
	v_add_nc_u64_e32 v[44:45], s[8:9], v[20:21]
	v_lshlrev_b64_e32 v[8:9], 3, v[8:9]
	v_lshlrev_b64_e32 v[10:11], 3, v[10:11]
	;; [unrolled: 1-line block ×7, first 2 shown]
	v_add_nc_u64_e32 v[46:47], s[10:11], v[20:21]
	v_add_nc_u64_e32 v[48:49], s[8:9], v[8:9]
	;; [unrolled: 1-line block ×15, first 2 shown]
.LBB46_3:                               ; =>This Inner Loop Header: Depth=1
	v_cmp_ge_i64_e64 s20, s[46:47], s[4:5]
	v_add_nc_u64_e32 v[78:79], s[46:47], v[38:39]
                                        ; implicit-def: $vgpr4_vgpr5_vgpr6_vgpr7_vgpr8_vgpr9_vgpr10_vgpr11_vgpr12_vgpr13_vgpr14_vgpr15_vgpr16_vgpr17_vgpr18_vgpr19
                                        ; implicit-def: $vgpr82_vgpr83
                                        ; implicit-def: $vgpr20_vgpr21_vgpr22_vgpr23_vgpr24_vgpr25_vgpr26_vgpr27_vgpr28_vgpr29_vgpr30_vgpr31_vgpr32_vgpr33_vgpr34_vgpr35
                                        ; implicit-def: $vgpr6
                                        ; implicit-def: $vgpr4_vgpr5
                                        ; implicit-def: $vgpr40_vgpr41
	s_and_b32 vcc_lo, exec_lo, s20
	s_mov_b32 s20, -1
	s_cbranch_vccz .LBB46_25
; %bb.4:                                ;   in Loop: Header=BB46_3 Depth=1
	s_load_b32 s20, s[42:43], 0xc
	v_mov_b64_e32 v[82:83], 0
	v_mov_b64_e32 v[80:81], 0
	s_wait_kmcnt 0x0
	s_and_b32 s20, s20, 0xffff
	s_delay_alu instid0(SALU_CYCLE_1) | instskip(SKIP_1) | instid1(VALU_DEP_1)
	v_mad_u32_u24 v3, v1, s20, v84
	s_mov_b32 s20, exec_lo
	v_and_b32_e32 v4, 31, v3
	s_delay_alu instid0(VALU_DEP_1)
	v_cmpx_gt_u32_e32 8, v4
	s_cbranch_execz .LBB46_8
; %bb.5:                                ;   in Loop: Header=BB46_3 Depth=1
	v_mov_b32_e32 v5, v2
	v_mov_b64_e32 v[80:81], 0
	v_mov_b64_e32 v[82:83], 0
	s_mov_b32 s33, exec_lo
	s_delay_alu instid0(VALU_DEP_3) | instskip(NEXT) | instid1(VALU_DEP_1)
	v_add_nc_u64_e32 v[4:5], v[78:79], v[4:5]
	v_add_nc_u64_e32 v[4:5], s[22:23], v[4:5]
	s_delay_alu instid0(VALU_DEP_1)
	v_cmpx_gt_i64_e64 s[4:5], v[4:5]
	s_cbranch_execz .LBB46_7
; %bb.6:                                ;   in Loop: Header=BB46_3 Depth=1
	v_lshlrev_b64_e32 v[4:5], 3, v[4:5]
	s_delay_alu instid0(VALU_DEP_1)
	v_add_nc_u64_e32 v[6:7], s[12:13], v[4:5]
	v_add_nc_u64_e32 v[4:5], s[14:15], v[4:5]
	global_load_b64 v[80:81], v[6:7], off
	global_load_b64 v[82:83], v[4:5], off
.LBB46_7:                               ;   in Loop: Header=BB46_3 Depth=1
	s_wait_xcnt 0x0
	s_or_b32 exec_lo, exec_lo, s33
.LBB46_8:                               ;   in Loop: Header=BB46_3 Depth=1
	s_delay_alu instid0(SALU_CYCLE_1)
	s_or_b32 exec_lo, exec_lo, s20
	v_add_nc_u64_e32 v[18:19], s[22:23], v[78:79]
	v_dual_mov_b32 v15, v2 :: v_dual_mov_b32 v16, v2
	v_dual_mov_b32 v17, v2 :: v_dual_mov_b32 v3, v2
	;; [unrolled: 1-line block ×7, first 2 shown]
	v_mov_b32_e32 v14, v2
	v_cmp_gt_i64_e32 vcc_lo, s[4:5], v[18:19]
	v_mov_b64_e32 v[34:35], v[16:17]
	v_mov_b64_e32 v[28:29], v[10:11]
	;; [unrolled: 1-line block ×16, first 2 shown]
	s_and_b32 s33, s2, vcc_lo
	s_delay_alu instid0(SALU_CYCLE_1)
	s_and_saveexec_b32 s20, s33
	s_cbranch_execz .LBB46_10
; %bb.9:                                ;   in Loop: Header=BB46_3 Depth=1
	v_add_nc_u64_e32 v[6:7], v[44:45], v[42:43]
	v_add_nc_u64_e32 v[8:9], v[46:47], v[42:43]
	v_dual_mov_b32 v10, v2 :: v_dual_mov_b32 v11, v2
	v_dual_mov_b32 v12, v2 :: v_dual_mov_b32 v13, v2
	;; [unrolled: 1-line block ×3, first 2 shown]
	global_load_b64 v[4:5], v[6:7], off
	global_load_b64 v[20:21], v[8:9], off
	s_wait_xcnt 0x1
	v_dual_mov_b32 v6, v2 :: v_dual_mov_b32 v7, v2
	s_wait_xcnt 0x0
	v_dual_mov_b32 v8, v2 :: v_dual_mov_b32 v9, v2
	v_dual_mov_b32 v16, v2 :: v_dual_mov_b32 v17, v2
	;; [unrolled: 1-line block ×10, first 2 shown]
.LBB46_10:                              ;   in Loop: Header=BB46_3 Depth=1
	s_or_b32 exec_lo, exec_lo, s20
	v_add_nc_u64_e32 v[40:41], s[24:25], v[78:79]
	s_delay_alu instid0(VALU_DEP_1) | instskip(SKIP_1) | instid1(SALU_CYCLE_1)
	v_cmp_gt_i64_e32 vcc_lo, s[4:5], v[40:41]
	s_and_b32 s33, s2, vcc_lo
	s_and_saveexec_b32 s20, s33
	s_cbranch_execz .LBB46_12
; %bb.11:                               ;   in Loop: Header=BB46_3 Depth=1
	v_add_nc_u64_e32 v[6:7], v[72:73], v[42:43]
	v_add_nc_u64_e32 v[22:23], v[74:75], v[42:43]
	global_load_b64 v[6:7], v[6:7], off
	global_load_b64 v[22:23], v[22:23], off
.LBB46_12:                              ;   in Loop: Header=BB46_3 Depth=1
	s_wait_xcnt 0x0
	s_or_b32 exec_lo, exec_lo, s20
	v_add_nc_u64_e32 v[40:41], s[26:27], v[78:79]
	s_delay_alu instid0(VALU_DEP_1) | instskip(SKIP_1) | instid1(SALU_CYCLE_1)
	v_cmp_gt_i64_e32 vcc_lo, s[4:5], v[40:41]
	s_and_b32 s33, s2, vcc_lo
	s_and_saveexec_b32 s20, s33
	s_cbranch_execz .LBB46_14
; %bb.13:                               ;   in Loop: Header=BB46_3 Depth=1
	v_add_nc_u64_e32 v[8:9], v[68:69], v[42:43]
	v_add_nc_u64_e32 v[24:25], v[70:71], v[42:43]
	global_load_b64 v[8:9], v[8:9], off
	global_load_b64 v[24:25], v[24:25], off
.LBB46_14:                              ;   in Loop: Header=BB46_3 Depth=1
	s_wait_xcnt 0x0
	;; [unrolled: 14-line block ×7, first 2 shown]
	s_or_b32 exec_lo, exec_lo, s20
	s_wait_loadcnt 0x1
	ds_bpermute_b32 v40, v2, v80
	ds_bpermute_b32 v41, v2, v81
	s_wait_loadcnt 0x0
	ds_bpermute_b32 v86, v2, v82
	ds_bpermute_b32 v87, v2, v83
	s_mov_b32 s20, 0
	s_wait_dscnt 0x2
	v_add_f64_e64 v[20:21], v[20:21], -v[40:41]
	ds_bpermute_b32 v40, v2, v80 offset:4
	ds_bpermute_b32 v41, v2, v81 offset:4
	s_wait_dscnt 0x0
	v_add_f64_e64 v[22:23], v[22:23], -v[40:41]
	ds_bpermute_b32 v40, v2, v80 offset:8
	ds_bpermute_b32 v41, v2, v81 offset:8
	v_mul_f64_e32 v[20:21], v[4:5], v[20:21]
	v_add_f64_e32 v[4:5], v[36:37], v[4:5]
	s_wait_dscnt 0x0
	v_add_f64_e64 v[24:25], v[24:25], -v[40:41]
	v_mul_f64_e32 v[22:23], v[6:7], v[22:23]
	s_delay_alu instid0(VALU_DEP_4)
	v_fma_f64 v[40:41], v[20:21], v[86:87], v[76:77]
	ds_bpermute_b32 v20, v2, v80 offset:12
	ds_bpermute_b32 v21, v2, v81 offset:12
	;; [unrolled: 1-line block ×4, first 2 shown]
	v_add_f64_e32 v[4:5], v[6:7], v[4:5]
	ds_bpermute_b32 v6, v2, v80 offset:16
	ds_bpermute_b32 v7, v2, v81 offset:16
	v_mul_f64_e32 v[24:25], v[8:9], v[24:25]
	s_wait_dscnt 0x4
	v_add_f64_e64 v[20:21], v[26:27], -v[20:21]
	s_wait_dscnt 0x0
	v_add_f64_e64 v[6:7], v[28:29], -v[6:7]
	v_fmac_f64_e32 v[40:41], v[22:23], v[86:87]
	ds_bpermute_b32 v22, v2, v82 offset:8
	ds_bpermute_b32 v23, v2, v83 offset:8
	v_add_f64_e32 v[4:5], v[8:9], v[4:5]
	ds_bpermute_b32 v8, v2, v80 offset:20
	ds_bpermute_b32 v9, v2, v81 offset:20
	v_mul_f64_e32 v[20:21], v[10:11], v[20:21]
	s_wait_dscnt 0x0
	v_add_f64_e64 v[8:9], v[30:31], -v[8:9]
	v_mul_f64_e32 v[6:7], v[12:13], v[6:7]
	v_fmac_f64_e32 v[40:41], v[24:25], v[22:23]
	ds_bpermute_b32 v22, v2, v82 offset:12
	ds_bpermute_b32 v23, v2, v83 offset:12
	v_add_f64_e32 v[4:5], v[10:11], v[4:5]
	ds_bpermute_b32 v10, v2, v80 offset:24
	ds_bpermute_b32 v11, v2, v81 offset:24
	s_wait_dscnt 0x0
	v_add_f64_e64 v[10:11], v[32:33], -v[10:11]
	v_mul_f64_e32 v[8:9], v[14:15], v[8:9]
	v_fmac_f64_e32 v[40:41], v[20:21], v[22:23]
	ds_bpermute_b32 v20, v2, v82 offset:16
	ds_bpermute_b32 v21, v2, v83 offset:16
	v_add_f64_e32 v[4:5], v[12:13], v[4:5]
	v_mul_f64_e32 v[10:11], v[16:17], v[10:11]
	s_wait_dscnt 0x0
	v_fmac_f64_e32 v[40:41], v[6:7], v[20:21]
	ds_bpermute_b32 v6, v2, v82 offset:20
	ds_bpermute_b32 v7, v2, v83 offset:20
	v_add_f64_e32 v[4:5], v[14:15], v[4:5]
	s_wait_dscnt 0x0
	v_fmac_f64_e32 v[40:41], v[8:9], v[6:7]
	ds_bpermute_b32 v6, v2, v82 offset:24
	ds_bpermute_b32 v7, v2, v83 offset:24
	;; [unrolled: 1-line block ×4, first 2 shown]
	v_add_f64_e32 v[4:5], v[16:17], v[4:5]
	s_wait_dscnt 0x2
	v_fmac_f64_e32 v[40:41], v[10:11], v[6:7]
	ds_bpermute_b32 v6, v2, v80 offset:28
	ds_bpermute_b32 v7, v2, v81 offset:28
.LBB46_25:                              ;   in Loop: Header=BB46_3 Depth=1
	s_and_b32 vcc_lo, exec_lo, s20
	s_cbranch_vccz .LBB46_47
; %bb.26:                               ;   in Loop: Header=BB46_3 Depth=1
	s_load_b32 s20, s[42:43], 0x0
	v_mov_b64_e32 v[80:81], 0
	v_mov_b64_e32 v[40:41], 0
	s_wait_kmcnt 0x0
	s_cmp_lt_u32 s16, s20
	s_cselect_b32 s20, 12, 18
	s_delay_alu instid0(SALU_CYCLE_1) | instskip(SKIP_4) | instid1(VALU_DEP_1)
	s_add_nc_u64 s[50:51], s[42:43], s[20:21]
	s_load_u16 s20, s[50:51], 0x0
	s_wait_kmcnt 0x0
	v_mad_u32_u24 v3, v1, s20, v84
	s_mov_b32 s20, exec_lo
	v_and_b32_e32 v4, 31, v3
	s_delay_alu instid0(VALU_DEP_1)
	v_cmpx_gt_u32_e32 8, v4
	s_cbranch_execz .LBB46_30
; %bb.27:                               ;   in Loop: Header=BB46_3 Depth=1
	v_mov_b32_e32 v5, v2
	v_mov_b64_e32 v[40:41], 0
	v_mov_b64_e32 v[80:81], 0
	s_mov_b32 s33, exec_lo
	s_delay_alu instid0(VALU_DEP_3) | instskip(NEXT) | instid1(VALU_DEP_1)
	v_add_nc_u64_e32 v[4:5], v[78:79], v[4:5]
	v_add_nc_u64_e32 v[4:5], s[22:23], v[4:5]
	s_delay_alu instid0(VALU_DEP_1)
	v_cmpx_gt_i64_e64 s[4:5], v[4:5]
	s_cbranch_execz .LBB46_29
; %bb.28:                               ;   in Loop: Header=BB46_3 Depth=1
	v_lshlrev_b64_e32 v[4:5], 3, v[4:5]
	s_wait_dscnt 0x0
	s_delay_alu instid0(VALU_DEP_1)
	v_add_nc_u64_e32 v[6:7], s[12:13], v[4:5]
	v_add_nc_u64_e32 v[4:5], s[14:15], v[4:5]
	global_load_b64 v[40:41], v[6:7], off
	global_load_b64 v[80:81], v[4:5], off
.LBB46_29:                              ;   in Loop: Header=BB46_3 Depth=1
	s_wait_xcnt 0x0
	s_or_b32 exec_lo, exec_lo, s33
.LBB46_30:                              ;   in Loop: Header=BB46_3 Depth=1
	s_delay_alu instid0(SALU_CYCLE_1)
	s_or_b32 exec_lo, exec_lo, s20
	v_dual_mov_b32 v15, v2 :: v_dual_mov_b32 v16, v2
	v_dual_mov_b32 v17, v2 :: v_dual_mov_b32 v3, v2
	;; [unrolled: 1-line block ×3, first 2 shown]
	s_wait_dscnt 0x0
	v_dual_mov_b32 v6, v2 :: v_dual_mov_b32 v7, v2
	v_dual_mov_b32 v8, v2 :: v_dual_mov_b32 v9, v2
	;; [unrolled: 1-line block ×4, first 2 shown]
	v_mov_b32_e32 v14, v2
	v_mov_b64_e32 v[34:35], v[16:17]
	s_delay_alu instid0(VALU_DEP_4)
	v_mov_b64_e32 v[28:29], v[10:11]
	v_mov_b64_e32 v[26:27], v[8:9]
	;; [unrolled: 1-line block ×15, first 2 shown]
	s_and_saveexec_b32 s20, s2
	s_cbranch_execz .LBB46_38
; %bb.31:                               ;   in Loop: Header=BB46_3 Depth=1
	v_add_nc_u64_e32 v[6:7], v[44:45], v[42:43]
	v_add_nc_u64_e32 v[8:9], v[46:47], v[42:43]
	v_dual_mov_b32 v10, v2 :: v_dual_mov_b32 v11, v2
	v_dual_mov_b32 v12, v2 :: v_dual_mov_b32 v13, v2
	;; [unrolled: 1-line block ×3, first 2 shown]
	global_load_b64 v[4:5], v[6:7], off
	global_load_b64 v[20:21], v[8:9], off
	s_wait_xcnt 0x1
	v_dual_mov_b32 v6, v2 :: v_dual_mov_b32 v7, v2
	s_wait_xcnt 0x0
	v_dual_mov_b32 v8, v2 :: v_dual_mov_b32 v9, v2
	v_dual_mov_b32 v16, v2 :: v_dual_mov_b32 v17, v2
	;; [unrolled: 1-line block ×10, first 2 shown]
	s_or_b32 exec_lo, exec_lo, s20
	s_and_saveexec_b32 s20, s2
	s_cbranch_execnz .LBB46_39
.LBB46_32:                              ;   in Loop: Header=BB46_3 Depth=1
	s_or_b32 exec_lo, exec_lo, s20
	s_and_saveexec_b32 s20, s2
	s_cbranch_execz .LBB46_40
.LBB46_33:                              ;   in Loop: Header=BB46_3 Depth=1
	v_add_nc_u64_e32 v[8:9], v[68:69], v[42:43]
	v_add_nc_u64_e32 v[24:25], v[70:71], v[42:43]
	global_load_b64 v[8:9], v[8:9], off
	global_load_b64 v[24:25], v[24:25], off
	s_wait_xcnt 0x0
	s_or_b32 exec_lo, exec_lo, s20
	s_and_saveexec_b32 s20, s2
	s_cbranch_execnz .LBB46_41
.LBB46_34:                              ;   in Loop: Header=BB46_3 Depth=1
	s_or_b32 exec_lo, exec_lo, s20
	s_and_saveexec_b32 s20, s2
	s_cbranch_execz .LBB46_42
.LBB46_35:                              ;   in Loop: Header=BB46_3 Depth=1
	v_add_nc_u64_e32 v[12:13], v[60:61], v[42:43]
	v_add_nc_u64_e32 v[28:29], v[62:63], v[42:43]
	global_load_b64 v[12:13], v[12:13], off
	global_load_b64 v[28:29], v[28:29], off
	s_wait_xcnt 0x0
	s_or_b32 exec_lo, exec_lo, s20
	s_and_saveexec_b32 s20, s2
	s_cbranch_execnz .LBB46_43
.LBB46_36:                              ;   in Loop: Header=BB46_3 Depth=1
	s_or_b32 exec_lo, exec_lo, s20
	s_and_saveexec_b32 s20, s2
	s_cbranch_execz .LBB46_44
.LBB46_37:                              ;   in Loop: Header=BB46_3 Depth=1
	v_add_nc_u64_e32 v[16:17], v[52:53], v[42:43]
	v_add_nc_u64_e32 v[32:33], v[54:55], v[42:43]
	global_load_b64 v[16:17], v[16:17], off
	global_load_b64 v[32:33], v[32:33], off
	s_wait_xcnt 0x0
	s_or_b32 exec_lo, exec_lo, s20
	s_and_saveexec_b32 s20, s2
	s_cbranch_execnz .LBB46_45
	s_branch .LBB46_46
.LBB46_38:                              ;   in Loop: Header=BB46_3 Depth=1
	s_or_b32 exec_lo, exec_lo, s20
	s_and_saveexec_b32 s20, s2
	s_cbranch_execz .LBB46_32
.LBB46_39:                              ;   in Loop: Header=BB46_3 Depth=1
	v_add_nc_u64_e32 v[6:7], v[72:73], v[42:43]
	v_add_nc_u64_e32 v[22:23], v[74:75], v[42:43]
	global_load_b64 v[6:7], v[6:7], off
	global_load_b64 v[22:23], v[22:23], off
	s_wait_xcnt 0x0
	s_or_b32 exec_lo, exec_lo, s20
	s_and_saveexec_b32 s20, s2
	s_cbranch_execnz .LBB46_33
.LBB46_40:                              ;   in Loop: Header=BB46_3 Depth=1
	s_or_b32 exec_lo, exec_lo, s20
	s_and_saveexec_b32 s20, s2
	s_cbranch_execz .LBB46_34
.LBB46_41:                              ;   in Loop: Header=BB46_3 Depth=1
	v_add_nc_u64_e32 v[10:11], v[64:65], v[42:43]
	v_add_nc_u64_e32 v[26:27], v[66:67], v[42:43]
	global_load_b64 v[10:11], v[10:11], off
	global_load_b64 v[26:27], v[26:27], off
	s_wait_xcnt 0x0
	s_or_b32 exec_lo, exec_lo, s20
	s_and_saveexec_b32 s20, s2
	s_cbranch_execnz .LBB46_35
.LBB46_42:                              ;   in Loop: Header=BB46_3 Depth=1
	s_or_b32 exec_lo, exec_lo, s20
	s_and_saveexec_b32 s20, s2
	s_cbranch_execz .LBB46_36
.LBB46_43:                              ;   in Loop: Header=BB46_3 Depth=1
	v_add_nc_u64_e32 v[14:15], v[56:57], v[42:43]
	v_add_nc_u64_e32 v[30:31], v[58:59], v[42:43]
	global_load_b64 v[14:15], v[14:15], off
	global_load_b64 v[30:31], v[30:31], off
	s_wait_xcnt 0x0
	s_or_b32 exec_lo, exec_lo, s20
	s_and_saveexec_b32 s20, s2
	s_cbranch_execnz .LBB46_37
.LBB46_44:                              ;   in Loop: Header=BB46_3 Depth=1
	s_or_b32 exec_lo, exec_lo, s20
	s_and_saveexec_b32 s20, s2
	s_cbranch_execz .LBB46_46
.LBB46_45:                              ;   in Loop: Header=BB46_3 Depth=1
	v_add_nc_u64_e32 v[18:19], v[48:49], v[42:43]
	v_add_nc_u64_e32 v[34:35], v[50:51], v[42:43]
	global_load_b64 v[18:19], v[18:19], off
	global_load_b64 v[34:35], v[34:35], off
.LBB46_46:                              ;   in Loop: Header=BB46_3 Depth=1
	s_wait_xcnt 0x0
	s_or_b32 exec_lo, exec_lo, s20
	s_wait_loadcnt 0x1
	ds_bpermute_b32 v78, v2, v40
	ds_bpermute_b32 v79, v2, v41
	s_wait_loadcnt 0x0
	ds_bpermute_b32 v82, v2, v80
	ds_bpermute_b32 v83, v2, v81
	s_wait_dscnt 0x2
	v_add_f64_e64 v[20:21], v[20:21], -v[78:79]
	ds_bpermute_b32 v78, v2, v40 offset:4
	ds_bpermute_b32 v79, v2, v41 offset:4
	s_wait_dscnt 0x0
	v_add_f64_e64 v[22:23], v[22:23], -v[78:79]
	ds_bpermute_b32 v78, v2, v40 offset:8
	ds_bpermute_b32 v79, v2, v41 offset:8
	v_mul_f64_e32 v[20:21], v[4:5], v[20:21]
	v_add_f64_e32 v[4:5], v[36:37], v[4:5]
	ds_bpermute_b32 v36, v2, v80 offset:4
	ds_bpermute_b32 v37, v2, v81 offset:4
	s_wait_dscnt 0x2
	v_add_f64_e64 v[24:25], v[24:25], -v[78:79]
	v_mul_f64_e32 v[22:23], v[6:7], v[22:23]
	v_fmac_f64_e32 v[76:77], v[20:21], v[82:83]
	ds_bpermute_b32 v20, v2, v40 offset:12
	ds_bpermute_b32 v21, v2, v41 offset:12
	v_add_f64_e32 v[4:5], v[6:7], v[4:5]
	ds_bpermute_b32 v6, v2, v40 offset:16
	ds_bpermute_b32 v7, v2, v41 offset:16
	;; [unrolled: 1-line block ×4, first 2 shown]
	v_mul_f64_e32 v[24:25], v[8:9], v[24:25]
	s_wait_dscnt 0x4
	v_add_f64_e64 v[20:21], v[26:27], -v[20:21]
	s_wait_dscnt 0x2
	v_add_f64_e64 v[6:7], v[28:29], -v[6:7]
	v_fmac_f64_e32 v[76:77], v[22:23], v[36:37]
	ds_bpermute_b32 v22, v2, v80 offset:8
	ds_bpermute_b32 v23, v2, v81 offset:8
	v_add_f64_e32 v[4:5], v[8:9], v[4:5]
	ds_bpermute_b32 v8, v2, v40 offset:20
	ds_bpermute_b32 v9, v2, v41 offset:20
	v_mul_f64_e32 v[20:21], v[10:11], v[20:21]
	s_wait_dscnt 0x0
	v_add_f64_e64 v[8:9], v[30:31], -v[8:9]
	v_mul_f64_e32 v[6:7], v[12:13], v[6:7]
	v_fmac_f64_e32 v[76:77], v[24:25], v[22:23]
	ds_bpermute_b32 v22, v2, v80 offset:12
	ds_bpermute_b32 v23, v2, v81 offset:12
	v_add_f64_e32 v[4:5], v[10:11], v[4:5]
	ds_bpermute_b32 v10, v2, v80 offset:16
	ds_bpermute_b32 v11, v2, v81 offset:16
	v_mul_f64_e32 v[8:9], v[14:15], v[8:9]
	s_wait_dscnt 0x2
	v_fmac_f64_e32 v[76:77], v[20:21], v[22:23]
	ds_bpermute_b32 v20, v2, v40 offset:24
	ds_bpermute_b32 v21, v2, v41 offset:24
	v_add_f64_e32 v[4:5], v[12:13], v[4:5]
	s_wait_dscnt 0x2
	v_fmac_f64_e32 v[76:77], v[6:7], v[10:11]
	s_wait_dscnt 0x0
	v_add_f64_e64 v[6:7], v[32:33], -v[20:21]
	ds_bpermute_b32 v10, v2, v80 offset:20
	ds_bpermute_b32 v11, v2, v81 offset:20
	v_add_f64_e32 v[4:5], v[14:15], v[4:5]
	s_wait_dscnt 0x0
	v_fmac_f64_e32 v[76:77], v[8:9], v[10:11]
	v_mul_f64_e32 v[6:7], v[16:17], v[6:7]
	ds_bpermute_b32 v8, v2, v80 offset:24
	ds_bpermute_b32 v9, v2, v81 offset:24
	v_add_f64_e32 v[4:5], v[16:17], v[4:5]
	s_wait_dscnt 0x0
	v_fmac_f64_e32 v[76:77], v[6:7], v[8:9]
	ds_bpermute_b32 v6, v2, v40 offset:28
	ds_bpermute_b32 v7, v2, v41 offset:28
	v_mov_b64_e32 v[40:41], v[76:77]
.LBB46_47:                              ;   in Loop: Header=BB46_3 Depth=1
	s_wait_dscnt 0x0
	v_add_f64_e64 v[6:7], v[34:35], -v[6:7]
	v_add_f64_e32 v[36:37], v[4:5], v[18:19]
	s_add_nc_u64 s[48:49], s[48:49], s[34:35]
	v_add_nc_u64_e32 v[44:45], s[44:45], v[44:45]
	v_cmp_lt_i64_e64 s20, s[48:49], s[4:5]
	v_add_nc_u64_e32 v[46:47], s[44:45], v[46:47]
	v_add_nc_u64_e32 v[48:49], s[44:45], v[48:49]
	;; [unrolled: 1-line block ×15, first 2 shown]
	s_and_b32 vcc_lo, exec_lo, s20
	s_add_nc_u64 s[46:47], s[46:47], s[34:35]
	v_mul_f64_e32 v[6:7], v[18:19], v[6:7]
	s_delay_alu instid0(VALU_DEP_1)
	v_fmac_f64_e32 v[40:41], v[6:7], v[82:83]
	s_cbranch_vccz .LBB46_50
; %bb.48:                               ;   in Loop: Header=BB46_3 Depth=1
	s_delay_alu instid0(VALU_DEP_1)
	v_mov_b64_e32 v[76:77], v[40:41]
	s_branch .LBB46_3
.LBB46_49:
                                        ; implicit-def: $vgpr36_vgpr37
                                        ; implicit-def: $vgpr40_vgpr41
	s_branch .LBB46_51
.LBB46_50:
	s_cbranch_execnz .LBB46_82
.LBB46_51:
	v_mov_b64_e32 v[36:37], 0
	v_mov_b64_e32 v[40:41], 0
	s_and_not1_b32 vcc_lo, exec_lo, s17
	s_cbranch_vccnz .LBB46_82
; %bb.52:
	v_bfe_u32 v1, v0, 10, 10
	v_mov_b32_e32 v2, 0
	v_and_b32_e32 v110, 0x3ff, v0
	s_load_b32 s2, s[0:1], 0x44
	v_mov_b64_e32 v[40:41], 0
	s_delay_alu instid0(VALU_DEP_3) | instskip(SKIP_3) | instid1(VALU_DEP_3)
	v_dual_mov_b32 v5, v2 :: v_dual_lshlrev_b32 v4, 6, v1
	v_dual_mov_b32 v39, v2 :: v_dual_lshlrev_b32 v38, 3, v1
	v_mov_b64_e32 v[36:37], 0
	s_mov_b64 s[22:23], 0xffffffffffffff03
	v_lshl_add_u64 v[8:9], s[18:19], 3, v[4:5]
	s_mov_b64 s[24:25], 0xffffffffffffff04
	s_mov_b64 s[26:27], 0xffffffffffffff05
	;; [unrolled: 1-line block ×4, first 2 shown]
	v_add_nc_u64_e32 v[10:11], 8, v[8:9]
	v_add_nc_u64_e32 v[12:13], 16, v[8:9]
	;; [unrolled: 1-line block ×7, first 2 shown]
	v_mad_nc_u64_u32 v[42:43], s6, v10, s[8:9]
	v_mul_lo_u32 v3, s6, v11
	v_mul_lo_u32 v20, s7, v10
	v_mad_nc_u64_u32 v[52:53], s6, v10, s[10:11]
	v_mad_nc_u64_u32 v[46:47], s6, v14, s[8:9]
	v_mul_lo_u32 v26, s6, v15
	v_mad_nc_u64_u32 v[62:63], s6, v8, s[8:9]
	v_mul_lo_u32 v33, s7, v8
	v_mad_nc_u64_u32 v[68:69], s6, v8, s[10:11]
	v_add_nc_u32_e32 v8, s3, v110
	v_add_nc_u64_e32 v[4:5], s[18:19], v[38:39]
	v_mul_lo_u32 v27, s7, v14
	v_mad_nc_u64_u32 v[56:57], s6, v14, s[10:11]
	v_mad_nc_u64_u32 v[44:45], s6, v12, s[8:9]
	v_mul_lo_u32 v24, s6, v13
	v_mul_lo_u32 v25, s7, v12
	v_mad_nc_u64_u32 v[48:49], s6, v16, s[8:9]
	v_add_nc_u64_e32 v[10:11], 7, v[4:5]
	v_add_nc_u64_e32 v[14:15], 6, v[4:5]
	v_mul_lo_u32 v28, s6, v17
	v_mul_lo_u32 v29, s7, v16
	v_mad_nc_u64_u32 v[54:55], s6, v12, s[10:11]
	v_add3_u32 v43, v20, v43, v3
	v_mul_u64_e32 v[12:13], s[6:7], v[4:5]
	v_mul_u64_e32 v[10:11], s[6:7], v[10:11]
	v_add3_u32 v53, v20, v53, v3
	v_add_nc_u64_e32 v[20:21], 5, v[4:5]
	v_add_nc_u64_e32 v[22:23], 4, v[4:5]
	v_mad_nc_u64_u32 v[60:61], s6, v16, s[10:11]
	v_mul_u64_e32 v[14:15], s[6:7], v[14:15]
	v_add_nc_u64_e32 v[16:17], 3, v[4:5]
	v_add_nc_u64_e32 v[4:5], 2, v[4:5]
	v_mad_nc_u64_u32 v[50:51], s6, v6, s[8:9]
	v_mul_lo_u32 v30, s6, v7
	v_mul_lo_u32 v31, s7, v6
	v_mul_u64_e32 v[20:21], s[6:7], v[20:21]
	v_mul_u64_e32 v[22:23], s[6:7], v[22:23]
	v_mad_nc_u64_u32 v[64:65], s6, v6, s[10:11]
	v_mul_u64_e32 v[6:7], s[6:7], v[16:17]
	v_mul_u64_e32 v[4:5], s[6:7], v[4:5]
	v_mul_lo_u32 v3, s6, v9
	v_mov_b32_e32 v9, v2
	v_mad_nc_u64_u32 v[58:59], s6, v18, s[8:9]
	v_mul_lo_u32 v19, s6, v19
	v_mul_lo_u32 v32, s7, v18
	v_mad_nc_u64_u32 v[66:67], s6, v18, s[10:11]
	v_lshlrev_b64_e32 v[70:71], 3, v[8:9]
	s_mov_b32 s3, 0
	s_wait_kmcnt 0x0
	s_lshl_b32 s20, s2, 8
	s_mov_b32 s21, s3
	v_add3_u32 v45, v25, v45, v24
	v_add3_u32 v47, v27, v47, v26
	v_add3_u32 v55, v25, v55, v24
	v_add3_u32 v57, v27, v57, v26
	v_add3_u32 v49, v29, v49, v28
	v_lshlrev_b64_e32 v[16:17], 3, v[12:13]
	v_lshlrev_b64_e32 v[10:11], 3, v[10:11]
	v_add_nc_u64_e32 v[12:13], s[6:7], v[12:13]
	v_add3_u32 v61, v29, v61, v28
	v_add3_u32 v51, v31, v51, v30
	;; [unrolled: 1-line block ×3, first 2 shown]
	v_lshlrev_b64_e32 v[8:9], 3, v[14:15]
	v_add_nc_u64_e32 v[72:73], s[8:9], v[16:17]
	v_add_nc_u64_e32 v[76:77], s[8:9], v[10:11]
	;; [unrolled: 1-line block ×4, first 2 shown]
	v_add3_u32 v59, v32, v59, v19
	v_lshlrev_b64_e32 v[10:11], 3, v[20:21]
	v_lshlrev_b64_e32 v[14:15], 3, v[22:23]
	v_add_nc_u64_e32 v[80:81], s[8:9], v[8:9]
	v_add_nc_u64_e32 v[82:83], s[10:11], v[8:9]
	v_lshlrev_b64_e32 v[6:7], 3, v[6:7]
	v_lshlrev_b64_e32 v[4:5], 3, v[4:5]
	;; [unrolled: 1-line block ×3, first 2 shown]
	v_add_nc_u64_e32 v[84:85], s[8:9], v[10:11]
	v_add_nc_u64_e32 v[86:87], s[10:11], v[10:11]
	;; [unrolled: 1-line block ×10, first 2 shown]
	v_add3_u32 v63, v33, v63, v3
	v_add3_u32 v67, v32, v67, v19
	;; [unrolled: 1-line block ×3, first 2 shown]
	s_mul_u64 s[38:39], s[6:7], s[20:21]
	s_mov_b64 s[8:9], 0xffffffffffffff01
	s_mov_b64 s[10:11], 0xffffffffffffff02
	;; [unrolled: 1-line block ×3, first 2 shown]
	s_add_nc_u64 s[36:37], s[0:1], 64
	s_lshl_b64 s[38:39], s[38:39], 3
	s_add_nc_u64 s[40:41], s[18:19], 0xff
	s_branch .LBB46_56
.LBB46_53:                              ;   in Loop: Header=BB46_56 Depth=1
	s_wait_xcnt 0x0
	s_or_b32 exec_lo, exec_lo, s17
.LBB46_54:                              ;   in Loop: Header=BB46_56 Depth=1
	s_delay_alu instid0(SALU_CYCLE_1)
	s_or_b32 exec_lo, exec_lo, s2
	v_add_nc_u64_e32 v[8:9], v[74:75], v[70:71]
	v_add_nc_u64_e32 v[10:11], v[72:73], v[70:71]
	;; [unrolled: 1-line block ×7, first 2 shown]
	global_load_b64 v[16:17], v[8:9], off
	s_wait_xcnt 0x0
	v_add_nc_u64_e32 v[8:9], v[52:53], v[70:71]
	s_wait_loadcnt 0x1
	ds_bpermute_b32 v112, v2, v4
	ds_bpermute_b32 v113, v2, v5
	global_load_b64 v[24:25], v[8:9], off
	global_load_b64 v[14:15], v[10:11], off
	s_wait_xcnt 0x1
	v_add_nc_u64_e32 v[8:9], v[54:55], v[70:71]
	s_wait_xcnt 0x0
	v_add_nc_u64_e32 v[10:11], v[42:43], v[70:71]
	global_load_b64 v[26:27], v[8:9], off
	global_load_b64 v[12:13], v[10:11], off
	s_wait_xcnt 0x1
	v_add_nc_u64_e32 v[8:9], v[56:57], v[70:71]
	s_wait_xcnt 0x0
	v_add_nc_u64_e32 v[10:11], v[44:45], v[70:71]
	global_load_b64 v[20:21], v[8:9], off
	global_load_b64 v[10:11], v[10:11], off
	s_wait_xcnt 0x1
	v_add_nc_u64_e32 v[8:9], v[60:61], v[70:71]
	global_load_b64 v[22:23], v[8:9], off
	global_load_b64 v[8:9], v[18:19], off
	;; [unrolled: 4-line block ×4, first 2 shown]
	global_load_b64 v[34:35], v[34:35], off
	s_wait_xcnt 0x2
	v_add_nc_u64_e32 v[18:19], v[58:59], v[70:71]
	global_load_b64 v[108:109], v[18:19], off
	global_load_b64 v[18:19], v[106:107], off
	s_wait_xcnt 0x0
	ds_bpermute_b32 v106, v2, v6
	ds_bpermute_b32 v107, v2, v7
	s_wait_loadcnt_dscnt 0xf00
	v_add_f64_e64 v[16:17], v[16:17], -v[106:107]
	ds_bpermute_b32 v106, v2, v6 offset:4
	ds_bpermute_b32 v107, v2, v7 offset:4
	s_wait_loadcnt_dscnt 0xe00
	v_add_f64_e64 v[24:25], v[24:25], -v[106:107]
	ds_bpermute_b32 v106, v2, v6 offset:8
	ds_bpermute_b32 v107, v2, v7 offset:8
	s_wait_loadcnt 0xd
	v_mul_f64_e32 v[16:17], v[14:15], v[16:17]
	v_add_f64_e32 v[14:15], v[36:37], v[14:15]
	ds_bpermute_b32 v36, v2, v4 offset:4
	ds_bpermute_b32 v37, v2, v5 offset:4
	s_wait_loadcnt_dscnt 0xc02
	v_add_f64_e64 v[26:27], v[26:27], -v[106:107]
	s_wait_loadcnt 0xb
	v_mul_f64_e32 v[24:25], v[12:13], v[24:25]
	v_fmac_f64_e32 v[40:41], v[16:17], v[112:113]
	ds_bpermute_b32 v16, v2, v6 offset:12
	ds_bpermute_b32 v17, v2, v7 offset:12
	v_add_f64_e32 v[12:13], v[14:15], v[12:13]
	ds_bpermute_b32 v14, v2, v6 offset:16
	ds_bpermute_b32 v15, v2, v7 offset:16
	s_wait_loadcnt_dscnt 0xa02
	v_add_f64_e64 v[16:17], v[20:21], -v[16:17]
	s_wait_loadcnt 0x9
	v_mul_f64_e32 v[20:21], v[10:11], v[26:27]
	s_wait_loadcnt_dscnt 0x800
	v_add_f64_e64 v[14:15], v[22:23], -v[14:15]
	v_fmac_f64_e32 v[40:41], v[24:25], v[36:37]
	ds_bpermute_b32 v24, v2, v4 offset:8
	ds_bpermute_b32 v25, v2, v5 offset:8
	v_add_f64_e32 v[10:11], v[12:13], v[10:11]
	ds_bpermute_b32 v12, v2, v6 offset:20
	ds_bpermute_b32 v13, v2, v7 offset:20
	s_wait_loadcnt 0x7
	v_mul_f64_e32 v[16:17], v[8:9], v[16:17]
	s_wait_loadcnt_dscnt 0x600
	v_add_f64_e64 v[12:13], v[30:31], -v[12:13]
	s_wait_loadcnt 0x5
	v_mul_f64_e32 v[14:15], v[28:29], v[14:15]
	v_fmac_f64_e32 v[40:41], v[20:21], v[24:25]
	ds_bpermute_b32 v20, v2, v4 offset:12
	ds_bpermute_b32 v21, v2, v5 offset:12
	v_add_f64_e32 v[8:9], v[10:11], v[8:9]
	ds_bpermute_b32 v10, v2, v6 offset:24
	ds_bpermute_b32 v11, v2, v7 offset:24
	;; [unrolled: 1-line block ×4, first 2 shown]
	s_wait_loadcnt 0x4
	v_mul_f64_e32 v[12:13], v[104:105], v[12:13]
	s_wait_loadcnt_dscnt 0x302
	v_add_f64_e64 v[10:11], v[32:33], -v[10:11]
	s_wait_loadcnt_dscnt 0x200
	v_add_f64_e64 v[6:7], v[34:35], -v[6:7]
	v_fmac_f64_e32 v[40:41], v[16:17], v[20:21]
	ds_bpermute_b32 v16, v2, v4 offset:16
	ds_bpermute_b32 v17, v2, v5 offset:16
	v_add_f64_e32 v[8:9], v[8:9], v[28:29]
	s_wait_loadcnt 0x1
	v_mul_f64_e32 v[10:11], v[108:109], v[10:11]
	s_wait_dscnt 0x0
	v_fmac_f64_e32 v[40:41], v[14:15], v[16:17]
	ds_bpermute_b32 v14, v2, v4 offset:20
	ds_bpermute_b32 v15, v2, v5 offset:20
	v_add_f64_e32 v[8:9], v[8:9], v[104:105]
	s_wait_dscnt 0x0
	v_fmac_f64_e32 v[40:41], v[12:13], v[14:15]
	s_wait_loadcnt 0x0
	v_mul_f64_e32 v[12:13], v[18:19], v[6:7]
	ds_bpermute_b32 v6, v2, v4 offset:24
	ds_bpermute_b32 v7, v2, v5 offset:24
	ds_bpermute_b32 v4, v2, v4 offset:28
	ds_bpermute_b32 v5, v2, v5 offset:28
	s_wait_dscnt 0x2
	v_fmac_f64_e32 v[40:41], v[10:11], v[6:7]
	v_add_f64_e32 v[6:7], v[8:9], v[108:109]
	s_wait_dscnt 0x0
	v_mul_f64_e32 v[8:9], v[12:13], v[4:5]
	s_delay_alu instid0(VALU_DEP_3)
	v_mov_b64_e32 v[4:5], v[40:41]
.LBB46_55:                              ;   in Loop: Header=BB46_56 Depth=1
	s_delay_alu instid0(VALU_DEP_1) | instskip(NEXT) | instid1(VALU_DEP_4)
	v_add_f64_e32 v[40:41], v[4:5], v[8:9]
	v_add_f64_e32 v[36:37], v[6:7], v[18:19]
	s_add_nc_u64 s[18:19], s[18:19], s[20:21]
	v_add_nc_u64_e32 v[72:73], s[38:39], v[72:73]
	v_cmp_ge_i64_e64 s2, s[18:19], s[4:5]
	v_add_nc_u64_e32 v[74:75], s[38:39], v[74:75]
	v_add_nc_u64_e32 v[42:43], s[38:39], v[42:43]
	v_add_nc_u64_e32 v[44:45], s[38:39], v[44:45]
	v_add_nc_u64_e32 v[46:47], s[38:39], v[46:47]
	v_add_nc_u64_e32 v[48:49], s[38:39], v[48:49]
	v_add_nc_u64_e32 v[50:51], s[38:39], v[50:51]
	v_add_nc_u64_e32 v[58:59], s[38:39], v[58:59]
	v_add_nc_u64_e32 v[62:63], s[38:39], v[62:63]
	v_add_nc_u64_e32 v[52:53], s[38:39], v[52:53]
	v_add_nc_u64_e32 v[54:55], s[38:39], v[54:55]
	v_add_nc_u64_e32 v[56:57], s[38:39], v[56:57]
	v_add_nc_u64_e32 v[60:61], s[38:39], v[60:61]
	v_add_nc_u64_e32 v[64:65], s[38:39], v[64:65]
	v_add_nc_u64_e32 v[66:67], s[38:39], v[66:67]
	v_add_nc_u64_e32 v[68:69], s[38:39], v[68:69]
	v_add_nc_u64_e32 v[76:77], s[38:39], v[76:77]
	v_add_nc_u64_e32 v[78:79], s[38:39], v[78:79]
	v_add_nc_u64_e32 v[80:81], s[38:39], v[80:81]
	v_add_nc_u64_e32 v[82:83], s[38:39], v[82:83]
	v_add_nc_u64_e32 v[84:85], s[38:39], v[84:85]
	v_add_nc_u64_e32 v[86:87], s[38:39], v[86:87]
	v_add_nc_u64_e32 v[88:89], s[38:39], v[88:89]
	v_add_nc_u64_e32 v[90:91], s[38:39], v[90:91]
	v_add_nc_u64_e32 v[92:93], s[38:39], v[92:93]
	v_add_nc_u64_e32 v[94:95], s[38:39], v[94:95]
	v_add_nc_u64_e32 v[96:97], s[38:39], v[96:97]
	v_add_nc_u64_e32 v[98:99], s[38:39], v[98:99]
	v_add_nc_u64_e32 v[100:101], s[38:39], v[100:101]
	v_add_nc_u64_e32 v[102:103], s[38:39], v[102:103]
	s_and_b32 vcc_lo, exec_lo, s2
	s_add_nc_u64 s[40:41], s[40:41], s[20:21]
	s_cbranch_vccnz .LBB46_82
.LBB46_56:                              ; =>This Inner Loop Header: Depth=1
	v_cmp_ge_i64_e64 s2, s[40:41], s[4:5]
	v_add_nc_u64_e32 v[104:105], s[40:41], v[38:39]
                                        ; implicit-def: $vgpr18_vgpr19
                                        ; implicit-def: $vgpr8_vgpr9
                                        ; implicit-def: $vgpr6_vgpr7
                                        ; implicit-def: $vgpr4_vgpr5
	s_and_b32 vcc_lo, exec_lo, s2
	s_mov_b32 s2, -1
	s_cbranch_vccz .LBB46_78
; %bb.57:                               ;   in Loop: Header=BB46_56 Depth=1
	s_load_b32 s2, s[36:37], 0xc
	v_mov_b64_e32 v[106:107], 0
	v_mov_b64_e32 v[108:109], 0
	s_wait_kmcnt 0x0
	s_and_b32 s2, s2, 0xffff
	s_delay_alu instid0(SALU_CYCLE_1) | instskip(SKIP_1) | instid1(VALU_DEP_1)
	v_mad_u32_u24 v3, v1, s2, v110
	s_mov_b32 s2, exec_lo
	v_and_b32_e32 v4, 31, v3
	s_delay_alu instid0(VALU_DEP_1)
	v_cmpx_gt_u32_e32 8, v4
	s_cbranch_execz .LBB46_61
; %bb.58:                               ;   in Loop: Header=BB46_56 Depth=1
	v_mov_b32_e32 v5, v2
	v_mov_b64_e32 v[108:109], 0
	v_mov_b64_e32 v[106:107], 0
	s_mov_b32 s17, exec_lo
	s_delay_alu instid0(VALU_DEP_3) | instskip(NEXT) | instid1(VALU_DEP_1)
	v_add_nc_u64_e32 v[4:5], v[104:105], v[4:5]
	v_add_nc_u64_e32 v[4:5], s[8:9], v[4:5]
	s_delay_alu instid0(VALU_DEP_1)
	v_cmpx_gt_i64_e64 s[4:5], v[4:5]
	s_cbranch_execz .LBB46_60
; %bb.59:                               ;   in Loop: Header=BB46_56 Depth=1
	v_lshlrev_b64_e32 v[4:5], 3, v[4:5]
	s_delay_alu instid0(VALU_DEP_1)
	v_add_nc_u64_e32 v[6:7], s[12:13], v[4:5]
	v_add_nc_u64_e32 v[4:5], s[14:15], v[4:5]
	global_load_b64 v[108:109], v[6:7], off
	global_load_b64 v[106:107], v[4:5], off
.LBB46_60:                              ;   in Loop: Header=BB46_56 Depth=1
	s_wait_xcnt 0x0
	s_or_b32 exec_lo, exec_lo, s17
.LBB46_61:                              ;   in Loop: Header=BB46_56 Depth=1
	s_delay_alu instid0(SALU_CYCLE_1)
	s_or_b32 exec_lo, exec_lo, s2
	v_add_nc_u64_e32 v[18:19], s[8:9], v[104:105]
	v_dual_mov_b32 v15, v2 :: v_dual_mov_b32 v16, v2
	v_dual_mov_b32 v17, v2 :: v_dual_mov_b32 v3, v2
	v_dual_mov_b32 v4, v2 :: v_dual_mov_b32 v5, v2
	v_dual_mov_b32 v6, v2 :: v_dual_mov_b32 v7, v2
	v_dual_mov_b32 v8, v2 :: v_dual_mov_b32 v9, v2
	v_dual_mov_b32 v10, v2 :: v_dual_mov_b32 v11, v2
	v_dual_mov_b32 v12, v2 :: v_dual_mov_b32 v13, v2
	v_mov_b32_e32 v14, v2
	v_mov_b64_e32 v[34:35], v[16:17]
	v_cmp_gt_i64_e32 vcc_lo, s[4:5], v[18:19]
	v_mov_b64_e32 v[28:29], v[10:11]
	v_mov_b64_e32 v[30:31], v[12:13]
	;; [unrolled: 1-line block ×15, first 2 shown]
	s_and_saveexec_b32 s2, vcc_lo
	s_cbranch_execz .LBB46_63
; %bb.62:                               ;   in Loop: Header=BB46_56 Depth=1
	v_add_nc_u64_e32 v[4:5], v[72:73], v[70:71]
	v_add_nc_u64_e32 v[6:7], v[74:75], v[70:71]
	v_dual_mov_b32 v8, v2 :: v_dual_mov_b32 v9, v2
	v_dual_mov_b32 v10, v2 :: v_dual_mov_b32 v11, v2
	;; [unrolled: 1-line block ×3, first 2 shown]
	global_load_b64 v[4:5], v[4:5], off
	global_load_b64 v[20:21], v[6:7], off
	s_wait_xcnt 0x0
	v_dual_mov_b32 v6, v2 :: v_dual_mov_b32 v7, v2
	v_dual_mov_b32 v14, v2 :: v_dual_mov_b32 v15, v2
	;; [unrolled: 1-line block ×11, first 2 shown]
.LBB46_63:                              ;   in Loop: Header=BB46_56 Depth=1
	s_or_b32 exec_lo, exec_lo, s2
	v_add_nc_u64_e32 v[112:113], s[10:11], v[104:105]
	s_mov_b32 s2, exec_lo
	s_delay_alu instid0(VALU_DEP_1)
	v_cmpx_gt_i64_e64 s[4:5], v[112:113]
	s_cbranch_execz .LBB46_65
; %bb.64:                               ;   in Loop: Header=BB46_56 Depth=1
	v_add_nc_u64_e32 v[6:7], v[100:101], v[70:71]
	v_add_nc_u64_e32 v[22:23], v[102:103], v[70:71]
	global_load_b64 v[6:7], v[6:7], off
	global_load_b64 v[22:23], v[22:23], off
.LBB46_65:                              ;   in Loop: Header=BB46_56 Depth=1
	s_wait_xcnt 0x0
	s_or_b32 exec_lo, exec_lo, s2
	v_add_nc_u64_e32 v[112:113], s[22:23], v[104:105]
	s_mov_b32 s2, exec_lo
	s_delay_alu instid0(VALU_DEP_1)
	v_cmpx_gt_i64_e64 s[4:5], v[112:113]
	s_cbranch_execz .LBB46_67
; %bb.66:                               ;   in Loop: Header=BB46_56 Depth=1
	v_add_nc_u64_e32 v[8:9], v[96:97], v[70:71]
	v_add_nc_u64_e32 v[24:25], v[98:99], v[70:71]
	global_load_b64 v[8:9], v[8:9], off
	global_load_b64 v[24:25], v[24:25], off
.LBB46_67:                              ;   in Loop: Header=BB46_56 Depth=1
	s_wait_xcnt 0x0
	;; [unrolled: 13-line block ×7, first 2 shown]
	s_or_b32 exec_lo, exec_lo, s2
	s_wait_loadcnt 0x1
	ds_bpermute_b32 v112, v2, v108
	ds_bpermute_b32 v113, v2, v109
	s_wait_loadcnt 0x0
	ds_bpermute_b32 v114, v2, v106
	ds_bpermute_b32 v115, v2, v107
	v_add_f64_e32 v[116:117], v[36:37], v[4:5]
	s_mov_b32 s2, 0
	s_wait_dscnt 0x2
	v_add_f64_e64 v[20:21], v[20:21], -v[112:113]
	ds_bpermute_b32 v112, v2, v108 offset:4
	ds_bpermute_b32 v113, v2, v109 offset:4
	s_wait_dscnt 0x0
	v_add_f64_e64 v[22:23], v[22:23], -v[112:113]
	ds_bpermute_b32 v112, v2, v108 offset:8
	ds_bpermute_b32 v113, v2, v109 offset:8
	v_mul_f64_e32 v[20:21], v[4:5], v[20:21]
	s_wait_dscnt 0x0
	v_add_f64_e64 v[24:25], v[24:25], -v[112:113]
	ds_bpermute_b32 v112, v2, v106 offset:4
	ds_bpermute_b32 v113, v2, v107 offset:4
	v_mul_f64_e32 v[22:23], v[6:7], v[22:23]
	v_add_f64_e32 v[6:7], v[6:7], v[116:117]
	v_fma_f64 v[4:5], v[20:21], v[114:115], v[40:41]
	ds_bpermute_b32 v20, v2, v108 offset:12
	ds_bpermute_b32 v21, v2, v109 offset:12
	v_mul_f64_e32 v[24:25], v[8:9], v[24:25]
	s_wait_dscnt 0x0
	v_add_f64_e64 v[20:21], v[26:27], -v[20:21]
	ds_bpermute_b32 v26, v2, v106 offset:8
	ds_bpermute_b32 v27, v2, v107 offset:8
	v_add_f64_e32 v[6:7], v[8:9], v[6:7]
	ds_bpermute_b32 v8, v2, v108 offset:20
	ds_bpermute_b32 v9, v2, v109 offset:20
	v_fmac_f64_e32 v[4:5], v[22:23], v[112:113]
	ds_bpermute_b32 v22, v2, v108 offset:16
	ds_bpermute_b32 v23, v2, v109 offset:16
	s_wait_dscnt 0x2
	v_add_f64_e64 v[8:9], v[30:31], -v[8:9]
	s_wait_dscnt 0x0
	v_add_f64_e64 v[22:23], v[28:29], -v[22:23]
	v_mul_f64_e32 v[20:21], v[10:11], v[20:21]
	v_add_f64_e32 v[6:7], v[10:11], v[6:7]
	ds_bpermute_b32 v10, v2, v108 offset:24
	ds_bpermute_b32 v11, v2, v109 offset:24
	v_fmac_f64_e32 v[4:5], v[24:25], v[26:27]
	ds_bpermute_b32 v24, v2, v106 offset:12
	ds_bpermute_b32 v25, v2, v107 offset:12
	s_wait_dscnt 0x2
	v_add_f64_e64 v[10:11], v[32:33], -v[10:11]
	v_mul_f64_e32 v[8:9], v[14:15], v[8:9]
	v_mul_f64_e32 v[22:23], v[12:13], v[22:23]
	v_add_f64_e32 v[6:7], v[12:13], v[6:7]
	s_wait_dscnt 0x0
	v_fmac_f64_e32 v[4:5], v[20:21], v[24:25]
	ds_bpermute_b32 v20, v2, v106 offset:16
	ds_bpermute_b32 v21, v2, v107 offset:16
	;; [unrolled: 1-line block ×4, first 2 shown]
	v_mul_f64_e32 v[10:11], v[16:17], v[10:11]
	s_wait_dscnt 0x0
	v_add_f64_e64 v[12:13], v[34:35], -v[24:25]
	v_add_f64_e32 v[6:7], v[14:15], v[6:7]
	ds_bpermute_b32 v14, v2, v106 offset:28
	ds_bpermute_b32 v15, v2, v107 offset:28
	v_fmac_f64_e32 v[4:5], v[22:23], v[20:21]
	ds_bpermute_b32 v20, v2, v106 offset:20
	ds_bpermute_b32 v21, v2, v107 offset:20
	v_add_f64_e32 v[6:7], v[16:17], v[6:7]
	s_wait_dscnt 0x0
	v_fmac_f64_e32 v[4:5], v[8:9], v[20:21]
	v_mul_f64_e32 v[8:9], v[18:19], v[12:13]
	ds_bpermute_b32 v12, v2, v106 offset:24
	ds_bpermute_b32 v13, v2, v107 offset:24
	s_wait_dscnt 0x0
	v_fmac_f64_e32 v[4:5], v[10:11], v[12:13]
	v_mul_f64_e32 v[8:9], v[8:9], v[14:15]
.LBB46_78:                              ;   in Loop: Header=BB46_56 Depth=1
	s_and_b32 vcc_lo, exec_lo, s2
	s_cbranch_vccz .LBB46_55
; %bb.79:                               ;   in Loop: Header=BB46_56 Depth=1
	s_load_b32 s2, s[36:37], 0x0
	v_mov_b64_e32 v[4:5], 0
	v_mov_b64_e32 v[6:7], 0
	s_wait_kmcnt 0x0
	s_cmp_lt_u32 s16, s2
	s_cselect_b32 s2, 12, 18
	s_delay_alu instid0(SALU_CYCLE_1) | instskip(SKIP_4) | instid1(VALU_DEP_1)
	s_add_nc_u64 s[42:43], s[36:37], s[2:3]
	s_load_u16 s2, s[42:43], 0x0
	s_wait_kmcnt 0x0
	v_mad_u32_u24 v3, v1, s2, v110
	s_mov_b32 s2, exec_lo
	v_and_b32_e32 v8, 31, v3
	s_delay_alu instid0(VALU_DEP_1)
	v_cmpx_gt_u32_e32 8, v8
	s_cbranch_execz .LBB46_54
; %bb.80:                               ;   in Loop: Header=BB46_56 Depth=1
	v_mov_b32_e32 v9, v2
	v_mov_b64_e32 v[6:7], 0
	s_mov_b32 s17, exec_lo
	s_delay_alu instid0(VALU_DEP_2) | instskip(NEXT) | instid1(VALU_DEP_1)
	v_add_nc_u64_e32 v[4:5], v[104:105], v[8:9]
	v_add_nc_u64_e32 v[8:9], s[8:9], v[4:5]
	v_mov_b64_e32 v[4:5], 0
	s_delay_alu instid0(VALU_DEP_2)
	v_cmpx_gt_i64_e64 s[4:5], v[8:9]
	s_cbranch_execz .LBB46_53
; %bb.81:                               ;   in Loop: Header=BB46_56 Depth=1
	v_lshlrev_b64_e32 v[4:5], 3, v[8:9]
	s_delay_alu instid0(VALU_DEP_1)
	v_add_nc_u64_e32 v[6:7], s[12:13], v[4:5]
	v_add_nc_u64_e32 v[4:5], s[14:15], v[4:5]
	global_load_b64 v[6:7], v[6:7], off
	global_load_b64 v[4:5], v[4:5], off
	s_branch .LBB46_53
.LBB46_82:
	v_and_b32_e32 v10, 0x3ff, v0
	v_bfe_u32 v1, v0, 10, 10
	v_bfe_u32 v0, v0, 5, 5
	s_mov_b32 s17, 0
	s_mov_b32 s2, exec_lo
	s_delay_alu instid0(VALU_DEP_2) | instskip(NEXT) | instid1(VALU_DEP_2)
	v_mad_u32_u24 v2, v1, 33, v10
	v_add_nc_u32_e32 v6, v0, v1
	s_delay_alu instid0(VALU_DEP_2)
	v_lshl_add_u32 v0, v2, 3, 0
	ds_store_b64 v0, v[40:41]
	ds_store_b64 v0, v[36:37] offset:8448
	s_wait_dscnt 0x0
	s_barrier_signal -1
	s_barrier_wait -1
	v_cmpx_gt_u32_e32 32, v6
	s_cbranch_execz .LBB46_88
; %bb.83:
	v_mbcnt_lo_u32_b32 v7, -1, 0
	s_lshl_b64 s[2:3], s[16:17], 5
	s_delay_alu instid0(VALU_DEP_1) | instskip(NEXT) | instid1(VALU_DEP_1)
	v_xor_b32_e32 v4, 16, v7
	v_cmp_gt_i32_e32 vcc_lo, 32, v4
	v_dual_cndmask_b32 v4, v7, v4, vcc_lo :: v_dual_bitop2_b32 v0, 31, v10 bitop3:0x40
	s_delay_alu instid0(VALU_DEP_1) | instskip(SKIP_2) | instid1(VALU_DEP_4)
	v_mad_u32_u24 v0, v0, 33, v6
	v_or_b32_e32 v6, s2, v6
	v_cmp_eq_u32_e64 s2, 0, v10
	v_lshlrev_b32_e32 v9, 2, v4
	s_delay_alu instid0(VALU_DEP_4)
	v_lshl_add_u32 v2, v0, 3, 0
	ds_load_b64 v[0:1], v2
	ds_load_b64 v[2:3], v2 offset:8448
	s_wait_dscnt 0x1
	ds_bpermute_b32 v4, v9, v0
	ds_bpermute_b32 v5, v9, v1
	s_wait_dscnt 0x0
	v_dual_add_f64 v[0:1], v[0:1], v[4:5] :: v_dual_bitop2_b32 v4, 8, v7 bitop3:0x14
	ds_bpermute_b32 v8, v9, v2
	ds_bpermute_b32 v9, v9, v3
	v_cmp_gt_i32_e32 vcc_lo, 32, v4
	v_cndmask_b32_e32 v4, v7, v4, vcc_lo
	s_wait_dscnt 0x0
	v_add_f64_e32 v[2:3], v[2:3], v[8:9]
	s_delay_alu instid0(VALU_DEP_2) | instskip(SKIP_4) | instid1(VALU_DEP_1)
	v_lshlrev_b32_e32 v9, 2, v4
	ds_bpermute_b32 v4, v9, v0
	ds_bpermute_b32 v5, v9, v1
	s_wait_dscnt 0x0
	v_dual_add_f64 v[0:1], v[0:1], v[4:5] :: v_dual_bitop2_b32 v4, 4, v7 bitop3:0x14
	v_cmp_gt_i32_e32 vcc_lo, 32, v4
	v_cndmask_b32_e32 v4, v7, v4, vcc_lo
	ds_bpermute_b32 v8, v9, v2
	ds_bpermute_b32 v9, v9, v3
	s_wait_dscnt 0x0
	v_add_f64_e32 v[2:3], v[2:3], v[8:9]
	v_lshlrev_b32_e32 v9, 2, v4
	ds_bpermute_b32 v4, v9, v0
	ds_bpermute_b32 v5, v9, v1
	s_wait_dscnt 0x0
	v_add_f64_e32 v[0:1], v[0:1], v[4:5]
	ds_bpermute_b32 v8, v9, v2
	ds_bpermute_b32 v9, v9, v3
	s_wait_dscnt 0x0
	v_dual_add_f64 v[4:5], v[2:3], v[8:9] :: v_dual_bitop2_b32 v2, 2, v7 bitop3:0x14
	s_delay_alu instid0(VALU_DEP_1) | instskip(SKIP_1) | instid1(VALU_DEP_1)
	v_cmp_gt_i32_e32 vcc_lo, 32, v2
	v_cndmask_b32_e32 v2, v7, v2, vcc_lo
	v_lshlrev_b32_e32 v9, 2, v2
	ds_bpermute_b32 v2, v9, v0
	ds_bpermute_b32 v3, v9, v1
	;; [unrolled: 1-line block ×4, first 2 shown]
	s_wait_dscnt 0x2
	v_add_f64_e32 v[2:3], v[0:1], v[2:3]
	s_wait_dscnt 0x0
	v_dual_add_f64 v[0:1], v[4:5], v[8:9] :: v_dual_bitop2_b32 v4, 1, v7 bitop3:0x14
	s_delay_alu instid0(VALU_DEP_1) | instskip(SKIP_1) | instid1(VALU_DEP_1)
	v_cmp_gt_i32_e32 vcc_lo, 32, v4
	v_dual_cndmask_b32 v4, v7, v4 :: v_dual_mov_b32 v7, s3
	v_lshlrev_b32_e32 v5, 2, v4
	s_delay_alu instid0(VALU_DEP_2)
	v_cmp_gt_i64_e32 vcc_lo, s[6:7], v[6:7]
	ds_bpermute_b32 v8, v5, v2
	ds_bpermute_b32 v9, v5, v3
	s_and_b32 s2, s2, vcc_lo
	ds_bpermute_b32 v4, v5, v0
	ds_bpermute_b32 v5, v5, v1
	s_and_b32 exec_lo, exec_lo, s2
	s_cbranch_execz .LBB46_88
; %bb.84:
	s_load_b128 s[0:3], s[0:1], 0x30
	s_wait_kmcnt 0x0
	s_cmp_eq_u64 s[0:1], 0
	s_cbranch_scc1 .LBB46_86
; %bb.85:
	s_wait_dscnt 0x2
	v_add_f64_e32 v[2:3], v[2:3], v[8:9]
	v_lshl_add_u64 v[8:9], v[6:7], 3, s[0:1]
	global_store_b64 v[8:9], v[2:3], off
.LBB46_86:
	s_cmp_eq_u64 s[2:3], 0
	s_cbranch_scc1 .LBB46_88
; %bb.87:
	s_wait_dscnt 0x0
	v_add_f64_e32 v[0:1], v[0:1], v[4:5]
	s_wait_xcnt 0x0
	v_lshl_add_u64 v[2:3], v[6:7], 3, s[2:3]
	global_store_b64 v[2:3], v[0:1], off
.LBB46_88:
	s_sendmsg sendmsg(MSG_DEALLOC_VGPRS)
	s_endpgm
	.section	.rodata,"a",@progbits
	.p2align	6, 0x0
	.amdhsa_kernel _ZN2at6native12_GLOBAL__N_135GammaBetaBackwardCUDAKernelTemplateIddLj32ELj32ELj256ELb0ELb0ELb0EEEvllPKT_S5_PKT0_S8_PS3_S9_
		.amdhsa_group_segment_fixed_size 0
		.amdhsa_private_segment_fixed_size 0
		.amdhsa_kernarg_size 320
		.amdhsa_user_sgpr_count 2
		.amdhsa_user_sgpr_dispatch_ptr 0
		.amdhsa_user_sgpr_queue_ptr 0
		.amdhsa_user_sgpr_kernarg_segment_ptr 1
		.amdhsa_user_sgpr_dispatch_id 0
		.amdhsa_user_sgpr_kernarg_preload_length 0
		.amdhsa_user_sgpr_kernarg_preload_offset 0
		.amdhsa_user_sgpr_private_segment_size 0
		.amdhsa_wavefront_size32 1
		.amdhsa_uses_dynamic_stack 0
		.amdhsa_enable_private_segment 0
		.amdhsa_system_sgpr_workgroup_id_x 1
		.amdhsa_system_sgpr_workgroup_id_y 1
		.amdhsa_system_sgpr_workgroup_id_z 0
		.amdhsa_system_sgpr_workgroup_info 0
		.amdhsa_system_vgpr_workitem_id 1
		.amdhsa_next_free_vgpr 118
		.amdhsa_next_free_sgpr 52
		.amdhsa_named_barrier_count 0
		.amdhsa_reserve_vcc 1
		.amdhsa_float_round_mode_32 0
		.amdhsa_float_round_mode_16_64 0
		.amdhsa_float_denorm_mode_32 3
		.amdhsa_float_denorm_mode_16_64 3
		.amdhsa_fp16_overflow 0
		.amdhsa_memory_ordered 1
		.amdhsa_forward_progress 1
		.amdhsa_inst_pref_size 57
		.amdhsa_round_robin_scheduling 0
		.amdhsa_exception_fp_ieee_invalid_op 0
		.amdhsa_exception_fp_denorm_src 0
		.amdhsa_exception_fp_ieee_div_zero 0
		.amdhsa_exception_fp_ieee_overflow 0
		.amdhsa_exception_fp_ieee_underflow 0
		.amdhsa_exception_fp_ieee_inexact 0
		.amdhsa_exception_int_div_zero 0
	.end_amdhsa_kernel
	.section	.text._ZN2at6native12_GLOBAL__N_135GammaBetaBackwardCUDAKernelTemplateIddLj32ELj32ELj256ELb0ELb0ELb0EEEvllPKT_S5_PKT0_S8_PS3_S9_,"axG",@progbits,_ZN2at6native12_GLOBAL__N_135GammaBetaBackwardCUDAKernelTemplateIddLj32ELj32ELj256ELb0ELb0ELb0EEEvllPKT_S5_PKT0_S8_PS3_S9_,comdat
.Lfunc_end46:
	.size	_ZN2at6native12_GLOBAL__N_135GammaBetaBackwardCUDAKernelTemplateIddLj32ELj32ELj256ELb0ELb0ELb0EEEvllPKT_S5_PKT0_S8_PS3_S9_, .Lfunc_end46-_ZN2at6native12_GLOBAL__N_135GammaBetaBackwardCUDAKernelTemplateIddLj32ELj32ELj256ELb0ELb0ELb0EEEvllPKT_S5_PKT0_S8_PS3_S9_
                                        ; -- End function
	.set _ZN2at6native12_GLOBAL__N_135GammaBetaBackwardCUDAKernelTemplateIddLj32ELj32ELj256ELb0ELb0ELb0EEEvllPKT_S5_PKT0_S8_PS3_S9_.num_vgpr, 118
	.set _ZN2at6native12_GLOBAL__N_135GammaBetaBackwardCUDAKernelTemplateIddLj32ELj32ELj256ELb0ELb0ELb0EEEvllPKT_S5_PKT0_S8_PS3_S9_.num_agpr, 0
	.set _ZN2at6native12_GLOBAL__N_135GammaBetaBackwardCUDAKernelTemplateIddLj32ELj32ELj256ELb0ELb0ELb0EEEvllPKT_S5_PKT0_S8_PS3_S9_.numbered_sgpr, 52
	.set _ZN2at6native12_GLOBAL__N_135GammaBetaBackwardCUDAKernelTemplateIddLj32ELj32ELj256ELb0ELb0ELb0EEEvllPKT_S5_PKT0_S8_PS3_S9_.num_named_barrier, 0
	.set _ZN2at6native12_GLOBAL__N_135GammaBetaBackwardCUDAKernelTemplateIddLj32ELj32ELj256ELb0ELb0ELb0EEEvllPKT_S5_PKT0_S8_PS3_S9_.private_seg_size, 0
	.set _ZN2at6native12_GLOBAL__N_135GammaBetaBackwardCUDAKernelTemplateIddLj32ELj32ELj256ELb0ELb0ELb0EEEvllPKT_S5_PKT0_S8_PS3_S9_.uses_vcc, 1
	.set _ZN2at6native12_GLOBAL__N_135GammaBetaBackwardCUDAKernelTemplateIddLj32ELj32ELj256ELb0ELb0ELb0EEEvllPKT_S5_PKT0_S8_PS3_S9_.uses_flat_scratch, 0
	.set _ZN2at6native12_GLOBAL__N_135GammaBetaBackwardCUDAKernelTemplateIddLj32ELj32ELj256ELb0ELb0ELb0EEEvllPKT_S5_PKT0_S8_PS3_S9_.has_dyn_sized_stack, 0
	.set _ZN2at6native12_GLOBAL__N_135GammaBetaBackwardCUDAKernelTemplateIddLj32ELj32ELj256ELb0ELb0ELb0EEEvllPKT_S5_PKT0_S8_PS3_S9_.has_recursion, 0
	.set _ZN2at6native12_GLOBAL__N_135GammaBetaBackwardCUDAKernelTemplateIddLj32ELj32ELj256ELb0ELb0ELb0EEEvllPKT_S5_PKT0_S8_PS3_S9_.has_indirect_call, 0
	.section	.AMDGPU.csdata,"",@progbits
; Kernel info:
; codeLenInByte = 7284
; TotalNumSgprs: 54
; NumVgprs: 118
; ScratchSize: 0
; MemoryBound: 1
; FloatMode: 240
; IeeeMode: 1
; LDSByteSize: 0 bytes/workgroup (compile time only)
; SGPRBlocks: 0
; VGPRBlocks: 7
; NumSGPRsForWavesPerEU: 54
; NumVGPRsForWavesPerEU: 118
; NamedBarCnt: 0
; Occupancy: 8
; WaveLimiterHint : 0
; COMPUTE_PGM_RSRC2:SCRATCH_EN: 0
; COMPUTE_PGM_RSRC2:USER_SGPR: 2
; COMPUTE_PGM_RSRC2:TRAP_HANDLER: 0
; COMPUTE_PGM_RSRC2:TGID_X_EN: 1
; COMPUTE_PGM_RSRC2:TGID_Y_EN: 1
; COMPUTE_PGM_RSRC2:TGID_Z_EN: 0
; COMPUTE_PGM_RSRC2:TIDIG_COMP_CNT: 1
	.section	.text._ZN2at6native12_GLOBAL__N_118cuComputeGradInputIffLb0EEEvPKT_S5_llPKT0_S8_S5_PS3_,"axG",@progbits,_ZN2at6native12_GLOBAL__N_118cuComputeGradInputIffLb0EEEvPKT_S5_llPKT0_S8_S5_PS3_,comdat
	.globl	_ZN2at6native12_GLOBAL__N_118cuComputeGradInputIffLb0EEEvPKT_S5_llPKT0_S8_S5_PS3_ ; -- Begin function _ZN2at6native12_GLOBAL__N_118cuComputeGradInputIffLb0EEEvPKT_S5_llPKT0_S8_S5_PS3_
	.p2align	8
	.type	_ZN2at6native12_GLOBAL__N_118cuComputeGradInputIffLb0EEEvPKT_S5_llPKT0_S8_S5_PS3_,@function
_ZN2at6native12_GLOBAL__N_118cuComputeGradInputIffLb0EEEvPKT_S5_llPKT0_S8_S5_PS3_: ; @_ZN2at6native12_GLOBAL__N_118cuComputeGradInputIffLb0EEEvPKT_S5_llPKT0_S8_S5_PS3_
; %bb.0:
	s_load_b128 s[16:19], s[0:1], 0x10
	s_bfe_u32 s2, ttmp6, 0x40010
	s_bfe_u32 s3, ttmp6, 0x40004
	s_add_co_i32 s2, s2, 1
	s_getreg_b32 s4, hwreg(HW_REG_IB_STS2, 6, 4)
	s_mul_i32 s2, ttmp7, s2
	s_delay_alu instid0(SALU_CYCLE_1) | instskip(SKIP_2) | instid1(SALU_CYCLE_1)
	s_add_co_i32 s3, s3, s2
	s_cmp_eq_u32 s4, 0
	s_cselect_b32 s6, ttmp7, s3
	s_ashr_i32 s7, s6, 31
	s_wait_kmcnt 0x0
	v_cmp_le_i64_e64 s2, s[16:17], s[6:7]
	s_and_b32 vcc_lo, exec_lo, s2
	s_cbranch_vccnz .LBB47_49
; %bb.1:
	s_clause 0x1
	s_load_b32 s2, s[0:1], 0x4c
	s_load_b256 s[8:15], s[0:1], 0x20
	s_cls_i32 s3, s19
	v_and_b32_e32 v12, 0x3ff, v0
	v_bfe_u32 v13, v0, 10, 10
	s_clause 0x1
	s_load_b32 s38, s[0:1], 0x44
	s_load_b128 s[20:23], s[0:1], 0x0
	v_cmp_gt_i64_e64 s39, s[18:19], 0
	v_mbcnt_lo_u32_b32 v15, -1, 0
	v_lshlrev_b32_e32 v8, 3, v12
	s_wait_xcnt 0x0
	v_cmp_eq_u32_e64 s0, 0, v13
	v_cmp_ne_u32_e64 s1, 0, v13
	v_cndmask_b32_e64 v14, 0, 1, s39
	v_add_nc_u32_e32 v18, 0, v8
	s_wait_kmcnt 0x0
	s_lshr_b32 s33, s2, 16
	s_and_b32 s34, s2, 0xffff
	s_cmp_lg_u64 s[12:13], 0
	v_mad_u32_u24 v0, v13, s34, v12
	s_cselect_b32 s35, -1, 0
	s_cmp_gt_u32 s34, 1
	s_mul_i32 s24, s33, s34
	s_cselect_b32 s36, -1, 0
	s_cmp_gt_u32 s33, 1
	v_lshlrev_b32_e32 v9, 3, v0
	s_cselect_b32 s37, -1, 0
	s_xor_b32 s2, s18, s19
	s_add_co_i32 s3, s3, -1
	s_ashr_i32 s2, s2, 31
	s_ashr_i32 s25, s24, 31
	s_add_co_i32 s2, s2, 32
	v_add_nc_u32_e32 v16, 0, v9
	s_min_u32 s4, s3, s2
	s_delay_alu instid0(SALU_CYCLE_1) | instskip(NEXT) | instid1(SALU_CYCLE_1)
	s_lshl_b64 s[2:3], s[18:19], s4
	s_min_u32 s2, s2, 1
	s_delay_alu instid0(SALU_CYCLE_1) | instskip(SKIP_2) | instid1(SALU_CYCLE_3)
	s_or_b32 s2, s3, s2
	s_sub_co_i32 s3, 32, s4
	s_cvt_f32_i32 s2, s2
	v_ldexp_f32 v2, s2, s3
	s_delay_alu instid0(VALU_DEP_1) | instskip(SKIP_1) | instid1(VALU_DEP_2)
	v_div_scale_f32 v1, null, v2, v2, 1.0
	v_div_scale_f32 v6, vcc_lo, 1.0, v2, 1.0
	v_rcp_f32_e32 v3, v1
	v_xor_b32_e32 v5, 0x80000000, v1
	s_delay_alu instid0(TRANS32_DEP_1) | instid1(VALU_DEP_1)
	v_fma_f32 v1, v5, v3, 1.0
	s_delay_alu instid0(VALU_DEP_1) | instskip(NEXT) | instid1(VALU_DEP_1)
	v_dual_fmac_f32 v3, v1, v3 :: v_dual_mov_b32 v1, 0
	v_mul_f32_e32 v7, v6, v3
	s_delay_alu instid0(VALU_DEP_2) | instskip(NEXT) | instid1(VALU_DEP_2)
	v_cmp_gt_i64_e64 s2, s[18:19], v[0:1]
	v_fma_f32 v4, v5, v7, v6
	s_delay_alu instid0(VALU_DEP_1) | instskip(NEXT) | instid1(VALU_DEP_1)
	v_dual_fmac_f32 v7, v4, v3 :: v_dual_add_nc_u32 v4, s24, v0
	v_dual_fmac_f32 v6, v5, v7 :: v_dual_ashrrev_i32 v5, 31, v4
	s_delay_alu instid0(VALU_DEP_1) | instskip(NEXT) | instid1(VALU_DEP_2)
	v_div_fmas_f32 v3, v6, v3, v7
	v_sub_nc_u64_e64 v[4:5], v[4:5], s[24:25]
	s_delay_alu instid0(VALU_DEP_2)
	v_div_fixup_f32 v17, v3, v2, 1.0
	s_branch .LBB47_4
.LBB47_2:                               ;   in Loop: Header=BB47_4 Depth=1
	s_or_b32 exec_lo, exec_lo, s3
.LBB47_3:                               ;   in Loop: Header=BB47_4 Depth=1
	s_add_co_i32 s6, s38, s6
	s_wait_storecnt_dscnt 0x0
	s_ashr_i32 s7, s6, 31
	s_barrier_signal -1
	v_cmp_le_i64_e64 s3, s[16:17], s[6:7]
	s_barrier_wait -1
	s_and_b32 vcc_lo, exec_lo, s3
	s_cbranch_vccnz .LBB47_49
.LBB47_4:                               ; =>This Loop Header: Depth=1
                                        ;     Child Loop BB47_8 Depth 2
                                        ;     Child Loop BB47_20 Depth 2
                                        ;     Child Loop BB47_27 Depth 2
                                        ;     Child Loop BB47_29 Depth 2
                                        ;     Child Loop BB47_43 Depth 2
                                        ;     Child Loop BB47_48 Depth 2
	s_lshl_b64 s[4:5], s[6:7], 2
	v_cmp_ne_u32_e64 s3, 1, v14
	s_add_nc_u64 s[26:27], s[8:9], s[4:5]
	s_add_nc_u64 s[4:5], s[10:11], s[4:5]
	s_load_b32 s40, s[26:27], 0x0
	s_load_b32 s41, s[4:5], 0x0
	s_wait_xcnt 0x0
	s_mul_u64 s[4:5], s[6:7], s[18:19]
	s_and_not1_b32 vcc_lo, exec_lo, s35
	s_lshl_b64 s[30:31], s[4:5], 2
	s_mov_b32 s4, -1
	s_add_nc_u64 s[26:27], s[22:23], s[30:31]
	s_add_nc_u64 s[28:29], s[20:21], s[30:31]
                                        ; implicit-def: $vgpr6_vgpr7
	s_cbranch_vccnz .LBB47_16
; %bb.5:                                ;   in Loop: Header=BB47_4 Depth=1
	s_and_b32 vcc_lo, exec_lo, s3
	s_cbranch_vccnz .LBB47_14
; %bb.6:                                ;   in Loop: Header=BB47_4 Depth=1
	v_mov_b32_e32 v6, 0
	s_mov_b32 s4, 0
	s_delay_alu instid0(VALU_DEP_1)
	v_mov_b32_e32 v7, v6
	s_branch .LBB47_8
.LBB47_7:                               ;   in Loop: Header=BB47_8 Depth=2
	s_wait_xcnt 0x0
	s_or_b32 exec_lo, exec_lo, s3
	s_wait_loadcnt 0x0
	s_wait_kmcnt 0x0
	v_dual_subrev_f32 v9, s40, v11 :: v_dual_mul_f32 v8, v3, v10
	s_add_co_i32 s4, s4, s24
	s_delay_alu instid0(SALU_CYCLE_1) | instskip(NEXT) | instid1(VALU_DEP_1)
	s_ashr_i32 s5, s4, 31
	v_mul_f32_e32 v3, v9, v8
	v_cmp_le_i64_e64 s3, s[18:19], s[4:5]
	s_delay_alu instid0(VALU_DEP_2) | instskip(SKIP_1) | instid1(VALU_DEP_1)
	v_mul_f32_e32 v9, s41, v3
	s_and_b32 vcc_lo, exec_lo, s3
	v_pk_add_f32 v[6:7], v[6:7], v[8:9]
	s_cbranch_vccnz .LBB47_15
.LBB47_8:                               ;   Parent Loop BB47_4 Depth=1
                                        ; =>  This Inner Loop Header: Depth=2
	v_dual_mov_b32 v3, 0 :: v_dual_add_nc_u32 v8, s4, v0
	s_delay_alu instid0(VALU_DEP_1) | instskip(NEXT) | instid1(VALU_DEP_1)
	v_ashrrev_i32_e32 v9, 31, v8
	v_cmp_gt_i64_e32 vcc_lo, s[18:19], v[8:9]
	s_and_saveexec_b32 s3, vcc_lo
	s_cbranch_execz .LBB47_10
; %bb.9:                                ;   in Loop: Header=BB47_8 Depth=2
	v_lshl_add_u64 v[10:11], v[8:9], 2, s[12:13]
	global_load_b32 v3, v[10:11], off
.LBB47_10:                              ;   in Loop: Header=BB47_8 Depth=2
	s_wait_xcnt 0x0
	s_or_b32 exec_lo, exec_lo, s3
	v_dual_mov_b32 v10, 0 :: v_dual_mov_b32 v11, 0
	s_and_saveexec_b32 s3, vcc_lo
	s_cbranch_execz .LBB47_12
; %bb.11:                               ;   in Loop: Header=BB47_8 Depth=2
	v_lshl_add_u64 v[20:21], v[8:9], 2, s[26:27]
	global_load_b32 v11, v[20:21], off
.LBB47_12:                              ;   in Loop: Header=BB47_8 Depth=2
	s_wait_xcnt 0x0
	s_or_b32 exec_lo, exec_lo, s3
	s_and_saveexec_b32 s3, vcc_lo
	s_cbranch_execz .LBB47_7
; %bb.13:                               ;   in Loop: Header=BB47_8 Depth=2
	v_lshl_add_u64 v[8:9], v[8:9], 2, s[28:29]
	global_load_b32 v10, v[8:9], off
	s_branch .LBB47_7
.LBB47_14:                              ;   in Loop: Header=BB47_4 Depth=1
	v_mov_b64_e32 v[6:7], 0
.LBB47_15:                              ;   in Loop: Header=BB47_4 Depth=1
	s_mov_b32 s4, 0
.LBB47_16:                              ;   in Loop: Header=BB47_4 Depth=1
	s_delay_alu instid0(SALU_CYCLE_1)
	s_and_not1_b32 vcc_lo, exec_lo, s4
	s_cbranch_vccnz .LBB47_25
; %bb.17:                               ;   in Loop: Header=BB47_4 Depth=1
	s_and_not1_b32 vcc_lo, exec_lo, s39
	s_cbranch_vccnz .LBB47_24
; %bb.18:                               ;   in Loop: Header=BB47_4 Depth=1
	v_mov_b32_e32 v6, 0
	s_mov_b32 s4, 0
	s_delay_alu instid0(VALU_DEP_1)
	v_mov_b32_e32 v7, v6
	s_branch .LBB47_20
.LBB47_19:                              ;   in Loop: Header=BB47_20 Depth=2
	s_wait_xcnt 0x0
	s_or_b32 exec_lo, exec_lo, s3
	s_wait_loadcnt 0x0
	s_wait_kmcnt 0x0
	v_subrev_f32_e32 v3, s40, v3
	s_add_co_i32 s4, s4, s24
	s_delay_alu instid0(SALU_CYCLE_1) | instskip(NEXT) | instid1(SALU_CYCLE_1)
	s_ashr_i32 s5, s4, 31
	v_cmp_le_i64_e64 s3, s[18:19], s[4:5]
	s_delay_alu instid0(VALU_DEP_2) | instskip(NEXT) | instid1(VALU_DEP_1)
	v_mul_f32_e32 v3, v3, v8
	v_mul_f32_e32 v9, s41, v3
	s_and_b32 vcc_lo, exec_lo, s3
	s_delay_alu instid0(VALU_DEP_1)
	v_pk_add_f32 v[6:7], v[6:7], v[8:9]
	s_cbranch_vccnz .LBB47_25
.LBB47_20:                              ;   Parent Loop BB47_4 Depth=1
                                        ; =>  This Inner Loop Header: Depth=2
	v_dual_mov_b32 v3, 0 :: v_dual_add_nc_u32 v10, s4, v0
	s_delay_alu instid0(VALU_DEP_1) | instskip(NEXT) | instid1(VALU_DEP_1)
	v_ashrrev_i32_e32 v11, 31, v10
	v_cmp_gt_i64_e32 vcc_lo, s[18:19], v[10:11]
	s_and_saveexec_b32 s3, vcc_lo
	s_cbranch_execz .LBB47_22
; %bb.21:                               ;   in Loop: Header=BB47_20 Depth=2
	v_lshl_add_u64 v[8:9], v[10:11], 2, s[26:27]
	global_load_b32 v3, v[8:9], off
.LBB47_22:                              ;   in Loop: Header=BB47_20 Depth=2
	s_wait_xcnt 0x0
	s_or_b32 exec_lo, exec_lo, s3
	v_mov_b32_e32 v8, 0
	s_and_saveexec_b32 s3, vcc_lo
	s_cbranch_execz .LBB47_19
; %bb.23:                               ;   in Loop: Header=BB47_20 Depth=2
	v_lshl_add_u64 v[8:9], v[10:11], 2, s[28:29]
	global_load_b32 v8, v[8:9], off
	s_branch .LBB47_19
.LBB47_24:                              ;   in Loop: Header=BB47_4 Depth=1
	v_mov_b64_e32 v[6:7], 0
.LBB47_25:                              ;   in Loop: Header=BB47_4 Depth=1
	s_and_not1_b32 vcc_lo, exec_lo, s36
	s_cbranch_vccnz .LBB47_28
; %bb.26:                               ;   in Loop: Header=BB47_4 Depth=1
	s_mov_b32 s3, s34
.LBB47_27:                              ;   Parent Loop BB47_4 Depth=1
                                        ; =>  This Inner Loop Header: Depth=2
	s_delay_alu instid0(SALU_CYCLE_1) | instskip(SKIP_3) | instid1(VALU_DEP_1)
	s_lshr_b32 s4, s3, 1
	s_cmp_lt_u32 s3, 4
	v_xor_b32_e32 v3, s4, v15
	s_mov_b32 s3, s4
	v_cmp_gt_i32_e32 vcc_lo, 32, v3
	v_cndmask_b32_e32 v3, v15, v3, vcc_lo
	s_delay_alu instid0(VALU_DEP_1)
	v_lshlrev_b32_e32 v3, 2, v3
	ds_bpermute_b32 v8, v3, v6
	ds_bpermute_b32 v9, v3, v7
	s_wait_dscnt 0x0
	v_pk_add_f32 v[6:7], v[6:7], v[8:9]
	s_cbranch_scc0 .LBB47_27
.LBB47_28:                              ;   in Loop: Header=BB47_4 Depth=1
	s_and_not1_b32 vcc_lo, exec_lo, s37
	s_mov_b32 s5, s33
	s_cbranch_vccnz .LBB47_40
.LBB47_29:                              ;   Parent Loop BB47_4 Depth=1
                                        ; =>  This Inner Loop Header: Depth=2
	s_lshr_b32 s7, s5, 1
	s_and_b32 s4, s5, 0xfffe
	v_cmp_le_u32_e64 s3, s7, v13
	v_cmp_gt_u32_e64 s4, s4, v13
	v_cmp_gt_u32_e32 vcc_lo, s7, v13
	s_and_b32 s4, s3, s4
	s_delay_alu instid0(SALU_CYCLE_1)
	s_and_saveexec_b32 s3, s4
	s_cbranch_execz .LBB47_31
; %bb.30:                               ;   in Loop: Header=BB47_29 Depth=2
	v_subrev_nc_u32_e32 v3, s7, v13
	s_delay_alu instid0(VALU_DEP_1) | instskip(NEXT) | instid1(VALU_DEP_1)
	v_mad_u32_u24 v3, v3, s34, v12
	v_lshl_add_u32 v3, v3, 3, 0
	ds_store_b64 v3, v[6:7]
.LBB47_31:                              ;   in Loop: Header=BB47_29 Depth=2
	s_or_b32 exec_lo, exec_lo, s3
	s_wait_dscnt 0x0
	s_barrier_signal -1
	s_barrier_wait -1
	s_and_saveexec_b32 s3, vcc_lo
	s_cbranch_execz .LBB47_33
; %bb.32:                               ;   in Loop: Header=BB47_29 Depth=2
	ds_load_b64 v[8:9], v16
	s_wait_dscnt 0x0
	v_pk_add_f32 v[6:7], v[6:7], v[8:9]
.LBB47_33:                              ;   in Loop: Header=BB47_29 Depth=2
	s_or_b32 exec_lo, exec_lo, s3
	s_cmp_lt_u32 s5, 4
	s_barrier_signal -1
	s_barrier_wait -1
	s_cbranch_scc1 .LBB47_35
; %bb.34:                               ;   in Loop: Header=BB47_29 Depth=2
	s_mov_b32 s5, s7
	s_branch .LBB47_29
.LBB47_35:                              ;   in Loop: Header=BB47_4 Depth=1
	s_and_saveexec_b32 s3, s0
; %bb.36:                               ;   in Loop: Header=BB47_4 Depth=1
	ds_store_b64 v18, v[6:7]
; %bb.37:                               ;   in Loop: Header=BB47_4 Depth=1
	s_or_b32 exec_lo, exec_lo, s3
	s_wait_dscnt 0x0
	s_barrier_signal -1
	s_barrier_wait -1
	s_and_saveexec_b32 s3, s1
; %bb.38:                               ;   in Loop: Header=BB47_4 Depth=1
	ds_load_b64 v[6:7], v18
; %bb.39:                               ;   in Loop: Header=BB47_4 Depth=1
	s_or_b32 exec_lo, exec_lo, s3
.LBB47_40:                              ;   in Loop: Header=BB47_4 Depth=1
	s_wait_kmcnt 0x0
	v_mul_f32_e32 v19, s41, v17
	s_and_not1_b32 vcc_lo, exec_lo, s35
	s_add_nc_u64 s[4:5], s[14:15], s[30:31]
	s_cbranch_vccnz .LBB47_45
; %bb.41:                               ;   in Loop: Header=BB47_4 Depth=1
	s_and_saveexec_b32 s3, s2
	s_cbranch_execz .LBB47_44
; %bb.42:                               ;   in Loop: Header=BB47_4 Depth=1
	v_mov_b64_e32 v[8:9], v[4:5]
	v_mov_b64_e32 v[10:11], v[0:1]
	s_mov_b32 s7, 0
.LBB47_43:                              ;   Parent Loop BB47_4 Depth=1
                                        ; =>  This Inner Loop Header: Depth=2
	s_delay_alu instid0(VALU_DEP_1) | instskip(NEXT) | instid1(VALU_DEP_3)
	v_lshlrev_b64_e32 v[10:11], 2, v[10:11]
	v_add_nc_u64_e32 v[8:9], s[24:25], v[8:9]
	s_delay_alu instid0(VALU_DEP_2) | instskip(SKIP_2) | instid1(VALU_DEP_4)
	v_add_nc_u64_e32 v[20:21], s[28:29], v[10:11]
	v_add_nc_u64_e32 v[22:23], s[26:27], v[10:11]
	;; [unrolled: 1-line block ×3, first 2 shown]
	v_cmp_le_i64_e32 vcc_lo, s[18:19], v[8:9]
	global_load_b32 v3, v[20:21], off
	global_load_b32 v26, v[22:23], off
	;; [unrolled: 1-line block ×3, first 2 shown]
	s_or_b32 s7, vcc_lo, s7
	s_wait_loadcnt 0x1
	s_wait_xcnt 0x2
	v_subrev_f32_e32 v20, s40, v26
	s_delay_alu instid0(VALU_DEP_1) | instskip(SKIP_1) | instid1(VALU_DEP_1)
	v_dual_mul_f32 v3, v3, v2 :: v_dual_mul_f32 v20, s41, v20
	s_wait_loadcnt_dscnt 0x0
	v_fma_f32 v3, v3, v27, -v6
	s_delay_alu instid0(VALU_DEP_1) | instskip(SKIP_2) | instid1(VALU_DEP_3)
	v_fma_f32 v3, -v7, v20, v3
	v_add_nc_u64_e32 v[20:21], s[4:5], v[10:11]
	v_dual_mov_b32 v10, v8 :: v_dual_ashrrev_i32 v11, 31, v8
	v_mul_f32_e32 v3, v19, v3
	global_store_b32 v[20:21], v3, off
	s_wait_xcnt 0x0
	s_and_not1_b32 exec_lo, exec_lo, s7
	s_cbranch_execnz .LBB47_43
.LBB47_44:                              ;   in Loop: Header=BB47_4 Depth=1
	s_or_b32 exec_lo, exec_lo, s3
	s_cbranch_execnz .LBB47_3
	s_branch .LBB47_46
.LBB47_45:                              ;   in Loop: Header=BB47_4 Depth=1
.LBB47_46:                              ;   in Loop: Header=BB47_4 Depth=1
	s_and_saveexec_b32 s3, s2
	s_cbranch_execz .LBB47_2
; %bb.47:                               ;   in Loop: Header=BB47_4 Depth=1
	v_mov_b64_e32 v[8:9], v[4:5]
	v_mov_b64_e32 v[10:11], v[0:1]
	s_mov_b32 s7, 0
.LBB47_48:                              ;   Parent Loop BB47_4 Depth=1
                                        ; =>  This Inner Loop Header: Depth=2
	s_delay_alu instid0(VALU_DEP_1) | instskip(NEXT) | instid1(VALU_DEP_3)
	v_lshlrev_b64_e32 v[10:11], 2, v[10:11]
	v_add_nc_u64_e32 v[8:9], s[24:25], v[8:9]
	s_delay_alu instid0(VALU_DEP_2) | instskip(SKIP_1) | instid1(VALU_DEP_3)
	v_add_nc_u64_e32 v[20:21], s[26:27], v[10:11]
	v_add_nc_u64_e32 v[22:23], s[28:29], v[10:11]
	v_cmp_le_i64_e32 vcc_lo, s[18:19], v[8:9]
	global_load_b32 v3, v[20:21], off
	global_load_b32 v24, v[22:23], off
	v_mov_b32_e32 v25, s41
	s_or_b32 s7, vcc_lo, s7
	s_wait_loadcnt 0x1
	v_subrev_f32_e32 v3, s40, v3
	s_wait_loadcnt 0x0
	s_wait_xcnt 0x1
	s_delay_alu instid0(VALU_DEP_1) | instskip(SKIP_1) | instid1(VALU_DEP_1)
	v_pk_mul_f32 v[20:21], v[24:25], v[2:3]
	s_wait_dscnt 0x0
	v_sub_f32_e32 v3, v20, v6
	s_delay_alu instid0(VALU_DEP_1) | instskip(SKIP_2) | instid1(VALU_DEP_3)
	v_fma_f32 v3, -v21, v7, v3
	v_add_nc_u64_e32 v[20:21], s[4:5], v[10:11]
	v_dual_mov_b32 v10, v8 :: v_dual_ashrrev_i32 v11, 31, v8
	v_mul_f32_e32 v3, v19, v3
	global_store_b32 v[20:21], v3, off
	s_wait_xcnt 0x0
	s_and_not1_b32 exec_lo, exec_lo, s7
	s_cbranch_execnz .LBB47_48
	s_branch .LBB47_2
.LBB47_49:
	s_endpgm
	.section	.rodata,"a",@progbits
	.p2align	6, 0x0
	.amdhsa_kernel _ZN2at6native12_GLOBAL__N_118cuComputeGradInputIffLb0EEEvPKT_S5_llPKT0_S8_S5_PS3_
		.amdhsa_group_segment_fixed_size 0
		.amdhsa_private_segment_fixed_size 0
		.amdhsa_kernarg_size 320
		.amdhsa_user_sgpr_count 2
		.amdhsa_user_sgpr_dispatch_ptr 0
		.amdhsa_user_sgpr_queue_ptr 0
		.amdhsa_user_sgpr_kernarg_segment_ptr 1
		.amdhsa_user_sgpr_dispatch_id 0
		.amdhsa_user_sgpr_kernarg_preload_length 0
		.amdhsa_user_sgpr_kernarg_preload_offset 0
		.amdhsa_user_sgpr_private_segment_size 0
		.amdhsa_wavefront_size32 1
		.amdhsa_uses_dynamic_stack 0
		.amdhsa_enable_private_segment 0
		.amdhsa_system_sgpr_workgroup_id_x 1
		.amdhsa_system_sgpr_workgroup_id_y 1
		.amdhsa_system_sgpr_workgroup_id_z 0
		.amdhsa_system_sgpr_workgroup_info 0
		.amdhsa_system_vgpr_workitem_id 1
		.amdhsa_next_free_vgpr 28
		.amdhsa_next_free_sgpr 42
		.amdhsa_named_barrier_count 0
		.amdhsa_reserve_vcc 1
		.amdhsa_float_round_mode_32 0
		.amdhsa_float_round_mode_16_64 0
		.amdhsa_float_denorm_mode_32 3
		.amdhsa_float_denorm_mode_16_64 3
		.amdhsa_fp16_overflow 0
		.amdhsa_memory_ordered 1
		.amdhsa_forward_progress 1
		.amdhsa_inst_pref_size 14
		.amdhsa_round_robin_scheduling 0
		.amdhsa_exception_fp_ieee_invalid_op 0
		.amdhsa_exception_fp_denorm_src 0
		.amdhsa_exception_fp_ieee_div_zero 0
		.amdhsa_exception_fp_ieee_overflow 0
		.amdhsa_exception_fp_ieee_underflow 0
		.amdhsa_exception_fp_ieee_inexact 0
		.amdhsa_exception_int_div_zero 0
	.end_amdhsa_kernel
	.section	.text._ZN2at6native12_GLOBAL__N_118cuComputeGradInputIffLb0EEEvPKT_S5_llPKT0_S8_S5_PS3_,"axG",@progbits,_ZN2at6native12_GLOBAL__N_118cuComputeGradInputIffLb0EEEvPKT_S5_llPKT0_S8_S5_PS3_,comdat
.Lfunc_end47:
	.size	_ZN2at6native12_GLOBAL__N_118cuComputeGradInputIffLb0EEEvPKT_S5_llPKT0_S8_S5_PS3_, .Lfunc_end47-_ZN2at6native12_GLOBAL__N_118cuComputeGradInputIffLb0EEEvPKT_S5_llPKT0_S8_S5_PS3_
                                        ; -- End function
	.set _ZN2at6native12_GLOBAL__N_118cuComputeGradInputIffLb0EEEvPKT_S5_llPKT0_S8_S5_PS3_.num_vgpr, 28
	.set _ZN2at6native12_GLOBAL__N_118cuComputeGradInputIffLb0EEEvPKT_S5_llPKT0_S8_S5_PS3_.num_agpr, 0
	.set _ZN2at6native12_GLOBAL__N_118cuComputeGradInputIffLb0EEEvPKT_S5_llPKT0_S8_S5_PS3_.numbered_sgpr, 42
	.set _ZN2at6native12_GLOBAL__N_118cuComputeGradInputIffLb0EEEvPKT_S5_llPKT0_S8_S5_PS3_.num_named_barrier, 0
	.set _ZN2at6native12_GLOBAL__N_118cuComputeGradInputIffLb0EEEvPKT_S5_llPKT0_S8_S5_PS3_.private_seg_size, 0
	.set _ZN2at6native12_GLOBAL__N_118cuComputeGradInputIffLb0EEEvPKT_S5_llPKT0_S8_S5_PS3_.uses_vcc, 1
	.set _ZN2at6native12_GLOBAL__N_118cuComputeGradInputIffLb0EEEvPKT_S5_llPKT0_S8_S5_PS3_.uses_flat_scratch, 0
	.set _ZN2at6native12_GLOBAL__N_118cuComputeGradInputIffLb0EEEvPKT_S5_llPKT0_S8_S5_PS3_.has_dyn_sized_stack, 0
	.set _ZN2at6native12_GLOBAL__N_118cuComputeGradInputIffLb0EEEvPKT_S5_llPKT0_S8_S5_PS3_.has_recursion, 0
	.set _ZN2at6native12_GLOBAL__N_118cuComputeGradInputIffLb0EEEvPKT_S5_llPKT0_S8_S5_PS3_.has_indirect_call, 0
	.section	.AMDGPU.csdata,"",@progbits
; Kernel info:
; codeLenInByte = 1680
; TotalNumSgprs: 44
; NumVgprs: 28
; ScratchSize: 0
; MemoryBound: 0
; FloatMode: 240
; IeeeMode: 1
; LDSByteSize: 0 bytes/workgroup (compile time only)
; SGPRBlocks: 0
; VGPRBlocks: 1
; NumSGPRsForWavesPerEU: 44
; NumVGPRsForWavesPerEU: 28
; NamedBarCnt: 0
; Occupancy: 16
; WaveLimiterHint : 0
; COMPUTE_PGM_RSRC2:SCRATCH_EN: 0
; COMPUTE_PGM_RSRC2:USER_SGPR: 2
; COMPUTE_PGM_RSRC2:TRAP_HANDLER: 0
; COMPUTE_PGM_RSRC2:TGID_X_EN: 1
; COMPUTE_PGM_RSRC2:TGID_Y_EN: 1
; COMPUTE_PGM_RSRC2:TGID_Z_EN: 0
; COMPUTE_PGM_RSRC2:TIDIG_COMP_CNT: 1
	.section	.text._ZN2at6native12_GLOBAL__N_128layer_norm_grad_input_kernelIffLb0EEEvPKT_S5_PKT0_S8_S5_PS3_i,"axG",@progbits,_ZN2at6native12_GLOBAL__N_128layer_norm_grad_input_kernelIffLb0EEEvPKT_S5_PKT0_S8_S5_PS3_i,comdat
	.globl	_ZN2at6native12_GLOBAL__N_128layer_norm_grad_input_kernelIffLb0EEEvPKT_S5_PKT0_S8_S5_PS3_i ; -- Begin function _ZN2at6native12_GLOBAL__N_128layer_norm_grad_input_kernelIffLb0EEEvPKT_S5_PKT0_S8_S5_PS3_i
	.p2align	8
	.type	_ZN2at6native12_GLOBAL__N_128layer_norm_grad_input_kernelIffLb0EEEvPKT_S5_PKT0_S8_S5_PS3_i,@function
_ZN2at6native12_GLOBAL__N_128layer_norm_grad_input_kernelIffLb0EEEvPKT_S5_PKT0_S8_S5_PS3_i: ; @_ZN2at6native12_GLOBAL__N_128layer_norm_grad_input_kernelIffLb0EEEvPKT_S5_PKT0_S8_S5_PS3_i
; %bb.0:
	s_load_b256 s[4:11], s[0:1], 0x0
	s_bfe_u32 s2, ttmp6, 0x4000c
	s_load_b32 s12, s[0:1], 0x30
	s_add_co_i32 s2, s2, 1
	s_and_b32 s3, ttmp6, 15
	s_mul_i32 s2, ttmp9, s2
	s_getreg_b32 s13, hwreg(HW_REG_IB_STS2, 6, 4)
	s_add_co_i32 s3, s3, s2
	s_cmp_eq_u32 s13, 0
	v_lshlrev_b32_e32 v4, 2, v0
	s_cselect_b32 s18, ttmp9, s3
	s_mov_b32 s19, 0
	v_mov_b64_e32 v[2:3], 0
	s_load_b64 s[14:15], s[0:1], 0x20
	s_wait_kmcnt 0x0
	s_load_b32 s20, s[8:9], s18 offset:0x0 scale_offset
	s_load_b32 s21, s[10:11], s18 offset:0x0 scale_offset
	v_or_b32_e32 v1, 3, v4
	s_ashr_i32 s13, s12, 31
	s_delay_alu instid0(SALU_CYCLE_1)
	s_mul_u64 s[2:3], s[12:13], s[18:19]
	s_mov_b32 s13, exec_lo
	s_lshl_b64 s[16:17], s[2:3], 2
	s_wait_xcnt 0x0
	s_add_nc_u64 s[8:9], s[6:7], s[16:17]
	s_add_nc_u64 s[10:11], s[4:5], s[16:17]
	v_cmpx_gt_u32_e64 s12, v1
	s_cbranch_execz .LBB48_12
; %bb.1:
	s_load_b32 s22, s[0:1], 0x44
	v_mov_b32_e32 v5, 0
	s_cmp_lg_u64 s[14:15], 0
	s_cselect_b32 s18, -1, 0
	s_delay_alu instid0(VALU_DEP_1) | instskip(SKIP_2) | instid1(SALU_CYCLE_1)
	v_dual_mov_b32 v2, v5 :: v_dual_mov_b32 v3, v5
	s_wait_kmcnt 0x0
	s_and_b32 s22, s22, 0xffff
	s_lshl_b32 s22, s22, 2
	s_branch .LBB48_3
.LBB48_2:                               ;   in Loop: Header=BB48_3 Depth=1
	global_load_b32 v10, v[6:7], off offset:12
	global_load_b32 v21, v[8:9], off offset:12
	s_wait_loadcnt 0x6
	s_wait_xcnt 0x1
	v_dual_subrev_f32 v6, s20, v13 :: v_dual_mul_f32 v7, v12, v14
	s_wait_loadcnt 0x4
	s_wait_xcnt 0x0
	v_dual_subrev_f32 v8, s20, v16 :: v_dual_mul_f32 v9, v1, v17
	s_wait_loadcnt 0x2
	v_dual_subrev_f32 v12, s20, v19 :: v_dual_mul_f32 v11, v18, v20
	v_dual_mul_f32 v1, v6, v7 :: v_dual_add_nc_u32 v4, s22, v4
	s_delay_alu instid0(VALU_DEP_3) | instskip(NEXT) | instid1(VALU_DEP_2)
	v_mul_f32_e32 v8, v8, v9
	v_dual_mul_f32 v6, s21, v1 :: v_dual_mul_f32 v1, v12, v11
	s_delay_alu instid0(VALU_DEP_2) | instskip(NEXT) | instid1(VALU_DEP_2)
	v_mul_f32_e32 v8, s21, v8
	v_pk_add_f32 v[2:3], v[2:3], v[6:7]
	s_wait_loadcnt 0x0
	v_dual_subrev_f32 v6, s20, v10 :: v_dual_mul_f32 v7, v15, v21
	s_delay_alu instid0(VALU_DEP_2) | instskip(NEXT) | instid1(VALU_DEP_2)
	v_pk_add_f32 v[2:3], v[2:3], v[8:9]
	v_dual_mul_f32 v10, s21, v1 :: v_dual_mul_f32 v1, v6, v7
	v_add_nc_u32_e32 v8, 3, v4
	s_delay_alu instid0(VALU_DEP_2) | instskip(NEXT) | instid1(VALU_DEP_3)
	v_pk_add_f32 v[2:3], v[2:3], v[10:11]
	v_mul_f32_e32 v6, s21, v1
	s_delay_alu instid0(VALU_DEP_3) | instskip(NEXT) | instid1(VALU_DEP_2)
	v_cmp_le_u32_e32 vcc_lo, s12, v8
	v_pk_add_f32 v[2:3], v[2:3], v[6:7]
	s_or_b32 s19, vcc_lo, s19
	s_delay_alu instid0(SALU_CYCLE_1)
	s_and_not1_b32 exec_lo, exec_lo, s19
	s_cbranch_execz .LBB48_11
.LBB48_3:                               ; =>This Inner Loop Header: Depth=1
	v_dual_mov_b32 v1, 1.0 :: v_dual_mov_b32 v12, 1.0
	v_lshl_add_u64 v[10:11], v[4:5], 2, s[14:15]
	s_and_b32 vcc_lo, exec_lo, s18
	s_cbranch_vccz .LBB48_5
; %bb.4:                                ;   in Loop: Header=BB48_3 Depth=1
	global_load_b32 v12, v[10:11], off
.LBB48_5:                               ;   in Loop: Header=BB48_3 Depth=1
	v_lshlrev_b64_e32 v[8:9], 2, v[4:5]
	s_and_not1_b32 vcc_lo, exec_lo, s18
	s_delay_alu instid0(VALU_DEP_1)
	v_add_nc_u64_e32 v[6:7], s[8:9], v[8:9]
	v_add_nc_u64_e32 v[8:9], s[10:11], v[8:9]
	global_load_b32 v13, v[6:7], off
	global_load_b32 v14, v[8:9], off
	s_cbranch_vccnz .LBB48_7
; %bb.6:                                ;   in Loop: Header=BB48_3 Depth=1
	global_load_b32 v1, v[10:11], off offset:4
.LBB48_7:                               ;   in Loop: Header=BB48_3 Depth=1
	global_load_b32 v16, v[6:7], off offset:4
	global_load_b32 v17, v[8:9], off offset:4
	v_dual_mov_b32 v15, 1.0 :: v_dual_mov_b32 v18, 1.0
	s_and_not1_b32 vcc_lo, exec_lo, s18
	s_cbranch_vccnz .LBB48_9
; %bb.8:                                ;   in Loop: Header=BB48_3 Depth=1
	global_load_b32 v18, v[10:11], off offset:8
.LBB48_9:                               ;   in Loop: Header=BB48_3 Depth=1
	global_load_b32 v19, v[6:7], off offset:8
	global_load_b32 v20, v[8:9], off offset:8
	s_and_not1_b32 vcc_lo, exec_lo, s18
	s_cbranch_vccnz .LBB48_2
; %bb.10:                               ;   in Loop: Header=BB48_3 Depth=1
	global_load_b32 v15, v[10:11], off offset:12
	s_branch .LBB48_2
.LBB48_11:
	s_or_b32 exec_lo, exec_lo, s19
.LBB48_12:
	s_delay_alu instid0(SALU_CYCLE_1) | instskip(NEXT) | instid1(SALU_CYCLE_1)
	s_or_b32 exec_lo, exec_lo, s13
	s_mov_b32 s13, exec_lo
	v_cmpx_gt_u32_e64 s12, v4
	s_cbranch_execz .LBB48_19
; %bb.13:
	v_mov_b32_e32 v5, 0
	s_cmp_lg_u64 s[14:15], 0
	s_delay_alu instid0(VALU_DEP_1) | instskip(NEXT) | instid1(VALU_DEP_1)
	v_lshlrev_b64_e32 v[6:7], 2, v[4:5]
	v_lshl_add_u64 v[10:11], s[2:3], 2, v[6:7]
	v_add_nc_u64_e32 v[6:7], s[14:15], v[6:7]
	s_cselect_b32 s2, -1, 0
	s_mov_b32 s3, 0
	s_delay_alu instid0(VALU_DEP_2)
	v_add_nc_u64_e32 v[8:9], s[6:7], v[10:11]
	v_add_nc_u64_e32 v[10:11], s[4:5], v[10:11]
	s_branch .LBB48_16
.LBB48_14:                              ;   in Loop: Header=BB48_16 Depth=1
	global_load_b32 v1, v[6:7], off
.LBB48_15:                              ;   in Loop: Header=BB48_16 Depth=1
	global_load_b32 v5, v[8:9], off
	global_load_b32 v12, v[10:11], off
	s_wait_xcnt 0x2
	v_add_nc_u64_e32 v[6:7], 4, v[6:7]
	s_wait_xcnt 0x1
	v_add_nc_u64_e32 v[8:9], 4, v[8:9]
	;; [unrolled: 2-line block ×3, first 2 shown]
	v_add_nc_u32_e32 v4, 1, v4
	s_delay_alu instid0(VALU_DEP_1) | instskip(SKIP_4) | instid1(VALU_DEP_1)
	v_cmp_le_u32_e32 vcc_lo, s12, v4
	s_or_b32 s3, vcc_lo, s3
	s_wait_loadcnt 0x0
	s_wait_kmcnt 0x0
	v_dual_subrev_f32 v5, s20, v5 :: v_dual_mul_f32 v13, v1, v12
	v_mul_f32_e32 v1, v5, v13
	s_delay_alu instid0(VALU_DEP_1) | instskip(NEXT) | instid1(VALU_DEP_1)
	v_mul_f32_e32 v12, s21, v1
	v_pk_add_f32 v[2:3], v[2:3], v[12:13]
	s_and_not1_b32 exec_lo, exec_lo, s3
	s_cbranch_execz .LBB48_18
.LBB48_16:                              ; =>This Inner Loop Header: Depth=1
	s_and_not1_b32 vcc_lo, exec_lo, s2
	s_cbranch_vccz .LBB48_14
; %bb.17:                               ;   in Loop: Header=BB48_16 Depth=1
	v_mov_b32_e32 v1, 1.0
	s_branch .LBB48_15
.LBB48_18:
	s_or_b32 exec_lo, exec_lo, s3
.LBB48_19:
	s_delay_alu instid0(SALU_CYCLE_1) | instskip(SKIP_3) | instid1(VALU_DEP_1)
	s_or_b32 exec_lo, exec_lo, s13
	v_mbcnt_lo_u32_b32 v4, -1, 0
	s_barrier_signal -1
	s_barrier_wait -1
	v_lshl_or_b32 v1, v4, 2, 64
	v_cmp_gt_u32_e32 vcc_lo, 24, v4
	ds_bpermute_b32 v5, v1, v3
	v_cndmask_b32_e64 v6, 0, 8, vcc_lo
	v_cmp_gt_u32_e32 vcc_lo, 28, v4
	s_delay_alu instid0(VALU_DEP_2)
	v_add_lshl_u32 v6, v6, v4, 2
	s_wait_dscnt 0x0
	v_add_f32_e32 v5, v3, v5
	v_cndmask_b32_e64 v3, 0, 4, vcc_lo
	v_cmp_gt_u32_e32 vcc_lo, 30, v4
	ds_bpermute_b32 v7, v6, v5
	v_add_lshl_u32 v3, v3, v4, 2
	s_wait_dscnt 0x0
	v_add_f32_e32 v5, v5, v7
	v_cndmask_b32_e64 v7, 0, 2, vcc_lo
	v_cmp_ne_u32_e32 vcc_lo, 31, v4
	ds_bpermute_b32 v8, v3, v5
	v_add_lshl_u32 v7, v7, v4, 2
	v_add_co_ci_u32_e64 v9, null, 0, v4, vcc_lo
	s_wait_dscnt 0x0
	v_add_f32_e32 v5, v5, v8
	ds_bpermute_b32 v8, v7, v5
	s_wait_dscnt 0x0
	v_dual_add_f32 v4, v5, v8 :: v_dual_lshlrev_b32 v8, 2, v9
	v_dual_lshrrev_b32 v5, 3, v0 :: v_dual_bitop2_b32 v9, 31, v0 bitop3:0x40
	ds_bpermute_b32 v10, v8, v4
	v_cmp_eq_u32_e32 vcc_lo, 0, v9
	s_and_saveexec_b32 s2, vcc_lo
	s_cbranch_execz .LBB48_21
; %bb.20:
	s_wait_dscnt 0x0
	v_dual_add_f32 v4, v4, v10 :: v_dual_add_nc_u32 v11, 0, v5
	ds_store_b32 v11, v4
.LBB48_21:
	s_or_b32 exec_lo, exec_lo, s2
	s_wait_dscnt 0x0
	s_barrier_signal -1
	s_barrier_wait -1
	s_load_b32 s4, s[0:1], 0x44
	v_mov_b32_e32 v4, 0
	v_lshl_add_u32 v9, v9, 2, 0
	s_wait_kmcnt 0x0
	s_bfe_u32 s2, s4, 0xb0005
	s_delay_alu instid0(SALU_CYCLE_1)
	v_cmp_gt_u32_e64 s2, s2, v0
	s_and_saveexec_b32 s3, s2
; %bb.22:
	ds_load_b32 v4, v9
; %bb.23:
	s_or_b32 exec_lo, exec_lo, s3
	v_cmp_gt_u32_e64 s3, 32, v0
	s_and_saveexec_b32 s5, s3
	s_cbranch_execz .LBB48_25
; %bb.24:
	s_wait_dscnt 0x0
	ds_bpermute_b32 v10, v1, v4
	s_wait_dscnt 0x0
	v_add_f32_e32 v4, v4, v10
	ds_bpermute_b32 v10, v6, v4
	s_wait_dscnt 0x0
	v_add_f32_e32 v4, v4, v10
	;; [unrolled: 3-line block ×5, first 2 shown]
.LBB48_25:
	s_or_b32 exec_lo, exec_lo, s5
	ds_bpermute_b32 v10, v1, v2
	s_wait_dscnt 0x0
	s_barrier_signal -1
	s_barrier_wait -1
	v_add_f32_e32 v2, v2, v10
	ds_bpermute_b32 v10, v6, v2
	s_wait_dscnt 0x0
	v_add_f32_e32 v2, v2, v10
	ds_bpermute_b32 v10, v3, v2
	s_wait_dscnt 0x0
	v_add_f32_e32 v2, v2, v10
	ds_bpermute_b32 v10, v7, v2
	s_wait_dscnt 0x0
	v_add_f32_e32 v2, v2, v10
	ds_bpermute_b32 v10, v8, v2
	s_and_saveexec_b32 s5, vcc_lo
	s_cbranch_execz .LBB48_27
; %bb.26:
	s_wait_dscnt 0x0
	v_dual_add_f32 v2, v2, v10 :: v_dual_add_nc_u32 v5, 0, v5
	ds_store_b32 v5, v2
.LBB48_27:
	s_or_b32 exec_lo, exec_lo, s5
	v_mov_b32_e32 v5, 0
	s_wait_dscnt 0x0
	s_barrier_signal -1
	s_barrier_wait -1
	s_and_saveexec_b32 s5, s2
; %bb.28:
	ds_load_b32 v5, v9
; %bb.29:
	s_or_b32 exec_lo, exec_lo, s5
	s_and_saveexec_b32 s2, s3
	s_cbranch_execz .LBB48_31
; %bb.30:
	s_wait_dscnt 0x0
	ds_bpermute_b32 v1, v1, v5
	s_wait_dscnt 0x0
	v_add_f32_e32 v1, v5, v1
	ds_bpermute_b32 v2, v6, v1
	s_wait_dscnt 0x0
	v_add_f32_e32 v1, v1, v2
	;; [unrolled: 3-line block ×5, first 2 shown]
.LBB48_31:
	s_or_b32 exec_lo, exec_lo, s2
	s_delay_alu instid0(SALU_CYCLE_1)
	s_mov_b32 s2, exec_lo
	v_cmpx_eq_u32_e32 0, v0
	s_cbranch_execz .LBB48_33
; %bb.32:
	v_mov_b32_e32 v1, 0
	s_wait_dscnt 0x0
	ds_store_b64 v1, v[4:5]
.LBB48_33:
	s_or_b32 exec_lo, exec_lo, s2
	s_wait_dscnt 0x0
	s_barrier_signal -1
	s_barrier_wait -1
	s_mov_b32 s2, exec_lo
	v_cmpx_gt_i32_e64 s12, v0
	s_cbranch_execz .LBB48_39
; %bb.34:
	s_cvt_f32_i32 s2, s12
	s_load_b64 s[0:1], s[0:1], 0x28
	s_and_b32 s3, 0xffff, s4
	s_cmp_lg_u64 s[14:15], 0
	v_div_scale_f32 v1, null, s2, s2, 1.0
	v_div_scale_f32 v4, vcc_lo, 1.0, s2, 1.0
	s_cselect_b32 s4, -1, 0
	v_rcp_f32_e32 v2, v1
	v_nop
	v_xor_b32_e32 v1, 0x80000000, v1
	s_mov_b32 s5, 0
	s_delay_alu instid0(TRANS32_DEP_1) | instid1(VALU_DEP_1)
	v_fma_f32 v3, v1, v2, 1.0
	s_wait_kmcnt 0x0
	s_add_nc_u64 s[0:1], s[0:1], s[16:17]
	s_delay_alu instid0(VALU_DEP_1) | instskip(NEXT) | instid1(VALU_DEP_1)
	v_fmac_f32_e32 v2, v3, v2
	v_mul_f32_e32 v5, v4, v2
	s_delay_alu instid0(VALU_DEP_1) | instskip(NEXT) | instid1(VALU_DEP_1)
	v_fma_f32 v3, v1, v5, v4
	v_dual_fmac_f32 v5, v3, v2 :: v_dual_mov_b32 v3, 0
	ds_load_b32 v6, v3
	ds_load_b32 v3, v3 offset:4
	v_fmac_f32_e32 v4, v1, v5
	s_delay_alu instid0(VALU_DEP_1) | instskip(NEXT) | instid1(VALU_DEP_1)
	v_div_fmas_f32 v1, v4, v2, v5
	v_div_fixup_f32 v1, v1, s2, 1.0
	s_delay_alu instid0(VALU_DEP_1)
	v_mul_f32_e32 v7, s21, v1
	s_branch .LBB48_37
.LBB48_35:                              ;   in Loop: Header=BB48_37 Depth=1
	s_delay_alu instid0(VALU_DEP_1)
	v_lshl_add_u64 v[8:9], v[0:1], 2, s[14:15]
	global_load_b32 v4, v[8:9], off
.LBB48_36:                              ;   in Loop: Header=BB48_37 Depth=1
	s_wait_loadcnt 0x1
	s_wait_xcnt 0x0
	v_dual_subrev_f32 v9, s20, v5 :: v_dual_mov_b32 v5, s21
	v_mov_b32_e32 v8, s2
	s_wait_loadcnt 0x0
	s_delay_alu instid0(VALU_DEP_1) | instskip(SKIP_1) | instid1(VALU_DEP_1)
	v_pk_mul_f32 v[4:5], v[4:5], v[8:9]
	s_wait_dscnt 0x0
	v_pk_mul_f32 v[4:5], v[2:3], v[4:5]
	s_delay_alu instid0(VALU_DEP_1) | instskip(SKIP_1) | instid1(VALU_DEP_2)
	v_sub_f32_e32 v2, v4, v5
	v_lshl_add_u64 v[4:5], v[0:1], 2, s[0:1]
	v_dual_sub_f32 v1, v2, v6 :: v_dual_add_nc_u32 v0, s3, v0
	s_delay_alu instid0(VALU_DEP_1) | instskip(NEXT) | instid1(VALU_DEP_2)
	v_cmp_le_i32_e32 vcc_lo, s12, v0
	v_mul_f32_e32 v1, v7, v1
	s_or_b32 s5, vcc_lo, s5
	global_store_b32 v[4:5], v1, off
	s_wait_xcnt 0x0
	s_and_not1_b32 exec_lo, exec_lo, s5
	s_cbranch_execz .LBB48_39
.LBB48_37:                              ; =>This Inner Loop Header: Depth=1
	s_clause 0x1
	global_load_b32 v5, v0, s[8:9] scale_offset
	global_load_b32 v2, v0, s[10:11] scale_offset
	v_ashrrev_i32_e32 v1, 31, v0
	s_and_not1_b32 vcc_lo, exec_lo, s4
	s_cbranch_vccz .LBB48_35
; %bb.38:                               ;   in Loop: Header=BB48_37 Depth=1
	v_mov_b32_e32 v4, 1.0
	s_branch .LBB48_36
.LBB48_39:
	s_endpgm
	.section	.rodata,"a",@progbits
	.p2align	6, 0x0
	.amdhsa_kernel _ZN2at6native12_GLOBAL__N_128layer_norm_grad_input_kernelIffLb0EEEvPKT_S5_PKT0_S8_S5_PS3_i
		.amdhsa_group_segment_fixed_size 0
		.amdhsa_private_segment_fixed_size 0
		.amdhsa_kernarg_size 312
		.amdhsa_user_sgpr_count 2
		.amdhsa_user_sgpr_dispatch_ptr 0
		.amdhsa_user_sgpr_queue_ptr 0
		.amdhsa_user_sgpr_kernarg_segment_ptr 1
		.amdhsa_user_sgpr_dispatch_id 0
		.amdhsa_user_sgpr_kernarg_preload_length 0
		.amdhsa_user_sgpr_kernarg_preload_offset 0
		.amdhsa_user_sgpr_private_segment_size 0
		.amdhsa_wavefront_size32 1
		.amdhsa_uses_dynamic_stack 0
		.amdhsa_enable_private_segment 0
		.amdhsa_system_sgpr_workgroup_id_x 1
		.amdhsa_system_sgpr_workgroup_id_y 0
		.amdhsa_system_sgpr_workgroup_id_z 0
		.amdhsa_system_sgpr_workgroup_info 0
		.amdhsa_system_vgpr_workitem_id 0
		.amdhsa_next_free_vgpr 22
		.amdhsa_next_free_sgpr 23
		.amdhsa_named_barrier_count 0
		.amdhsa_reserve_vcc 1
		.amdhsa_float_round_mode_32 0
		.amdhsa_float_round_mode_16_64 0
		.amdhsa_float_denorm_mode_32 3
		.amdhsa_float_denorm_mode_16_64 3
		.amdhsa_fp16_overflow 0
		.amdhsa_memory_ordered 1
		.amdhsa_forward_progress 1
		.amdhsa_inst_pref_size 15
		.amdhsa_round_robin_scheduling 0
		.amdhsa_exception_fp_ieee_invalid_op 0
		.amdhsa_exception_fp_denorm_src 0
		.amdhsa_exception_fp_ieee_div_zero 0
		.amdhsa_exception_fp_ieee_overflow 0
		.amdhsa_exception_fp_ieee_underflow 0
		.amdhsa_exception_fp_ieee_inexact 0
		.amdhsa_exception_int_div_zero 0
	.end_amdhsa_kernel
	.section	.text._ZN2at6native12_GLOBAL__N_128layer_norm_grad_input_kernelIffLb0EEEvPKT_S5_PKT0_S8_S5_PS3_i,"axG",@progbits,_ZN2at6native12_GLOBAL__N_128layer_norm_grad_input_kernelIffLb0EEEvPKT_S5_PKT0_S8_S5_PS3_i,comdat
.Lfunc_end48:
	.size	_ZN2at6native12_GLOBAL__N_128layer_norm_grad_input_kernelIffLb0EEEvPKT_S5_PKT0_S8_S5_PS3_i, .Lfunc_end48-_ZN2at6native12_GLOBAL__N_128layer_norm_grad_input_kernelIffLb0EEEvPKT_S5_PKT0_S8_S5_PS3_i
                                        ; -- End function
	.set _ZN2at6native12_GLOBAL__N_128layer_norm_grad_input_kernelIffLb0EEEvPKT_S5_PKT0_S8_S5_PS3_i.num_vgpr, 22
	.set _ZN2at6native12_GLOBAL__N_128layer_norm_grad_input_kernelIffLb0EEEvPKT_S5_PKT0_S8_S5_PS3_i.num_agpr, 0
	.set _ZN2at6native12_GLOBAL__N_128layer_norm_grad_input_kernelIffLb0EEEvPKT_S5_PKT0_S8_S5_PS3_i.numbered_sgpr, 23
	.set _ZN2at6native12_GLOBAL__N_128layer_norm_grad_input_kernelIffLb0EEEvPKT_S5_PKT0_S8_S5_PS3_i.num_named_barrier, 0
	.set _ZN2at6native12_GLOBAL__N_128layer_norm_grad_input_kernelIffLb0EEEvPKT_S5_PKT0_S8_S5_PS3_i.private_seg_size, 0
	.set _ZN2at6native12_GLOBAL__N_128layer_norm_grad_input_kernelIffLb0EEEvPKT_S5_PKT0_S8_S5_PS3_i.uses_vcc, 1
	.set _ZN2at6native12_GLOBAL__N_128layer_norm_grad_input_kernelIffLb0EEEvPKT_S5_PKT0_S8_S5_PS3_i.uses_flat_scratch, 0
	.set _ZN2at6native12_GLOBAL__N_128layer_norm_grad_input_kernelIffLb0EEEvPKT_S5_PKT0_S8_S5_PS3_i.has_dyn_sized_stack, 0
	.set _ZN2at6native12_GLOBAL__N_128layer_norm_grad_input_kernelIffLb0EEEvPKT_S5_PKT0_S8_S5_PS3_i.has_recursion, 0
	.set _ZN2at6native12_GLOBAL__N_128layer_norm_grad_input_kernelIffLb0EEEvPKT_S5_PKT0_S8_S5_PS3_i.has_indirect_call, 0
	.section	.AMDGPU.csdata,"",@progbits
; Kernel info:
; codeLenInByte = 1884
; TotalNumSgprs: 25
; NumVgprs: 22
; ScratchSize: 0
; MemoryBound: 0
; FloatMode: 240
; IeeeMode: 1
; LDSByteSize: 0 bytes/workgroup (compile time only)
; SGPRBlocks: 0
; VGPRBlocks: 1
; NumSGPRsForWavesPerEU: 25
; NumVGPRsForWavesPerEU: 22
; NamedBarCnt: 0
; Occupancy: 16
; WaveLimiterHint : 0
; COMPUTE_PGM_RSRC2:SCRATCH_EN: 0
; COMPUTE_PGM_RSRC2:USER_SGPR: 2
; COMPUTE_PGM_RSRC2:TRAP_HANDLER: 0
; COMPUTE_PGM_RSRC2:TGID_X_EN: 1
; COMPUTE_PGM_RSRC2:TGID_Y_EN: 0
; COMPUTE_PGM_RSRC2:TGID_Z_EN: 0
; COMPUTE_PGM_RSRC2:TIDIG_COMP_CNT: 0
	.section	.text._ZN2at6native12_GLOBAL__N_133GammaBetaBackwardSimpleCUDAKernelIffLb0EEEvllPKT_S5_PKT0_S8_PS3_S9_,"axG",@progbits,_ZN2at6native12_GLOBAL__N_133GammaBetaBackwardSimpleCUDAKernelIffLb0EEEvllPKT_S5_PKT0_S8_PS3_S9_,comdat
	.globl	_ZN2at6native12_GLOBAL__N_133GammaBetaBackwardSimpleCUDAKernelIffLb0EEEvllPKT_S5_PKT0_S8_PS3_S9_ ; -- Begin function _ZN2at6native12_GLOBAL__N_133GammaBetaBackwardSimpleCUDAKernelIffLb0EEEvllPKT_S5_PKT0_S8_PS3_S9_
	.p2align	8
	.type	_ZN2at6native12_GLOBAL__N_133GammaBetaBackwardSimpleCUDAKernelIffLb0EEEvllPKT_S5_PKT0_S8_PS3_S9_,@function
_ZN2at6native12_GLOBAL__N_133GammaBetaBackwardSimpleCUDAKernelIffLb0EEEvllPKT_S5_PKT0_S8_PS3_S9_: ; @_ZN2at6native12_GLOBAL__N_133GammaBetaBackwardSimpleCUDAKernelIffLb0EEEvllPKT_S5_PKT0_S8_PS3_S9_
; %bb.0:
	s_load_b32 s2, s[0:1], 0x4c
	s_bfe_u32 s20, ttmp6, 0x4000c
	s_load_b512 s[4:19], s[0:1], 0x0
	s_add_co_i32 s20, s20, 1
	s_and_b32 s3, ttmp6, 15
	s_wait_xcnt 0x0
	s_mul_i32 s1, ttmp9, s20
	s_getreg_b32 s0, hwreg(HW_REG_IB_STS2, 6, 4)
	v_mov_b32_e32 v1, 0
	s_add_co_i32 s3, s3, s1
	s_wait_kmcnt 0x0
	s_and_b32 s2, s2, 0xffff
	s_cmp_eq_u32 s0, 0
	s_cselect_b32 s0, ttmp9, s3
	s_delay_alu instid0(SALU_CYCLE_1) | instskip(SKIP_1) | instid1(VALU_DEP_1)
	v_mad_nc_u64_u32 v[2:3], s2, s0, v[0:1]
	s_mov_b32 s0, exec_lo
	v_cmpx_gt_i64_e64 s[6:7], v[2:3]
	s_cbranch_execz .LBB49_13
; %bb.1:
	v_cmp_lt_i64_e64 s0, s[4:5], 1
	v_mov_b32_e32 v0, 0
	s_and_b32 vcc_lo, exec_lo, s0
	s_cbranch_vccnz .LBB49_9
; %bb.2:
	v_lshlrev_b64_e32 v[4:5], 2, v[2:3]
	s_cmp_lg_u64 s[16:17], 0
	v_dual_mov_b32 v1, 0 :: v_dual_mov_b32 v0, 0
	s_cselect_b32 s2, -1, 0
	s_cmp_lg_u64 s[18:19], 0
	s_cselect_b32 s3, -1, 0
	s_lshl_b64 s[0:1], s[6:7], 2
	s_branch .LBB49_5
.LBB49_3:                               ;   in Loop: Header=BB49_5 Depth=1
	global_load_b32 v6, v[6:7], off
.LBB49_4:                               ;   in Loop: Header=BB49_5 Depth=1
	v_add_nc_u64_e32 v[4:5], s[0:1], v[4:5]
	s_wait_loadcnt 0x0
	s_delay_alu instid0(VALU_DEP_2)
	v_dual_add_f32 v1, v1, v8 :: v_dual_add_f32 v0, v0, v6
	s_add_nc_u64 s[4:5], s[4:5], -1
	s_add_nc_u64 s[14:15], s[14:15], 4
	s_cmp_eq_u64 s[4:5], 0
	s_add_nc_u64 s[12:13], s[12:13], 4
	s_cbranch_scc1 .LBB49_9
.LBB49_5:                               ; =>This Inner Loop Header: Depth=1
	v_add_nc_u64_e32 v[6:7], s[8:9], v[4:5]
	v_mov_b32_e32 v8, 0
	s_and_not1_b32 vcc_lo, exec_lo, s2
	s_cbranch_vccnz .LBB49_7
; %bb.6:                                ;   in Loop: Header=BB49_5 Depth=1
	v_add_nc_u64_e32 v[8:9], s[10:11], v[4:5]
	global_load_b32 v10, v[8:9], off
	global_load_b32 v11, v[6:7], off
	s_load_b32 s6, s[12:13], 0x0
	s_load_b32 s7, s[14:15], 0x0
	s_wait_loadcnt 0x1
	s_wait_kmcnt 0x0
	v_subrev_f32_e32 v8, s6, v10
	s_wait_loadcnt 0x0
	s_delay_alu instid0(VALU_DEP_1) | instskip(NEXT) | instid1(VALU_DEP_1)
	v_mul_f32_e32 v8, v11, v8
	v_mul_f32_e32 v8, s7, v8
.LBB49_7:                               ;   in Loop: Header=BB49_5 Depth=1
	s_and_not1_b32 vcc_lo, exec_lo, s3
	s_cbranch_vccz .LBB49_3
; %bb.8:                                ;   in Loop: Header=BB49_5 Depth=1
	v_mov_b32_e32 v6, 0
	s_branch .LBB49_4
.LBB49_9:
	s_cmp_lg_u64 s[16:17], 0
	s_cbranch_scc0 .LBB49_11
; %bb.10:
	v_lshl_add_u64 v[4:5], v[2:3], 2, s[16:17]
	global_store_b32 v[4:5], v1, off
.LBB49_11:
	s_cmp_eq_u64 s[18:19], 0
	s_cbranch_scc1 .LBB49_13
; %bb.12:
	v_lshl_add_u64 v[2:3], v[2:3], 2, s[18:19]
	global_store_b32 v[2:3], v0, off
.LBB49_13:
	s_endpgm
	.section	.rodata,"a",@progbits
	.p2align	6, 0x0
	.amdhsa_kernel _ZN2at6native12_GLOBAL__N_133GammaBetaBackwardSimpleCUDAKernelIffLb0EEEvllPKT_S5_PKT0_S8_PS3_S9_
		.amdhsa_group_segment_fixed_size 0
		.amdhsa_private_segment_fixed_size 0
		.amdhsa_kernarg_size 320
		.amdhsa_user_sgpr_count 2
		.amdhsa_user_sgpr_dispatch_ptr 0
		.amdhsa_user_sgpr_queue_ptr 0
		.amdhsa_user_sgpr_kernarg_segment_ptr 1
		.amdhsa_user_sgpr_dispatch_id 0
		.amdhsa_user_sgpr_kernarg_preload_length 0
		.amdhsa_user_sgpr_kernarg_preload_offset 0
		.amdhsa_user_sgpr_private_segment_size 0
		.amdhsa_wavefront_size32 1
		.amdhsa_uses_dynamic_stack 0
		.amdhsa_enable_private_segment 0
		.amdhsa_system_sgpr_workgroup_id_x 1
		.amdhsa_system_sgpr_workgroup_id_y 0
		.amdhsa_system_sgpr_workgroup_id_z 0
		.amdhsa_system_sgpr_workgroup_info 0
		.amdhsa_system_vgpr_workitem_id 0
		.amdhsa_next_free_vgpr 12
		.amdhsa_next_free_sgpr 21
		.amdhsa_named_barrier_count 0
		.amdhsa_reserve_vcc 1
		.amdhsa_float_round_mode_32 0
		.amdhsa_float_round_mode_16_64 0
		.amdhsa_float_denorm_mode_32 3
		.amdhsa_float_denorm_mode_16_64 3
		.amdhsa_fp16_overflow 0
		.amdhsa_memory_ordered 1
		.amdhsa_forward_progress 1
		.amdhsa_inst_pref_size 3
		.amdhsa_round_robin_scheduling 0
		.amdhsa_exception_fp_ieee_invalid_op 0
		.amdhsa_exception_fp_denorm_src 0
		.amdhsa_exception_fp_ieee_div_zero 0
		.amdhsa_exception_fp_ieee_overflow 0
		.amdhsa_exception_fp_ieee_underflow 0
		.amdhsa_exception_fp_ieee_inexact 0
		.amdhsa_exception_int_div_zero 0
	.end_amdhsa_kernel
	.section	.text._ZN2at6native12_GLOBAL__N_133GammaBetaBackwardSimpleCUDAKernelIffLb0EEEvllPKT_S5_PKT0_S8_PS3_S9_,"axG",@progbits,_ZN2at6native12_GLOBAL__N_133GammaBetaBackwardSimpleCUDAKernelIffLb0EEEvllPKT_S5_PKT0_S8_PS3_S9_,comdat
.Lfunc_end49:
	.size	_ZN2at6native12_GLOBAL__N_133GammaBetaBackwardSimpleCUDAKernelIffLb0EEEvllPKT_S5_PKT0_S8_PS3_S9_, .Lfunc_end49-_ZN2at6native12_GLOBAL__N_133GammaBetaBackwardSimpleCUDAKernelIffLb0EEEvllPKT_S5_PKT0_S8_PS3_S9_
                                        ; -- End function
	.set _ZN2at6native12_GLOBAL__N_133GammaBetaBackwardSimpleCUDAKernelIffLb0EEEvllPKT_S5_PKT0_S8_PS3_S9_.num_vgpr, 12
	.set _ZN2at6native12_GLOBAL__N_133GammaBetaBackwardSimpleCUDAKernelIffLb0EEEvllPKT_S5_PKT0_S8_PS3_S9_.num_agpr, 0
	.set _ZN2at6native12_GLOBAL__N_133GammaBetaBackwardSimpleCUDAKernelIffLb0EEEvllPKT_S5_PKT0_S8_PS3_S9_.numbered_sgpr, 21
	.set _ZN2at6native12_GLOBAL__N_133GammaBetaBackwardSimpleCUDAKernelIffLb0EEEvllPKT_S5_PKT0_S8_PS3_S9_.num_named_barrier, 0
	.set _ZN2at6native12_GLOBAL__N_133GammaBetaBackwardSimpleCUDAKernelIffLb0EEEvllPKT_S5_PKT0_S8_PS3_S9_.private_seg_size, 0
	.set _ZN2at6native12_GLOBAL__N_133GammaBetaBackwardSimpleCUDAKernelIffLb0EEEvllPKT_S5_PKT0_S8_PS3_S9_.uses_vcc, 1
	.set _ZN2at6native12_GLOBAL__N_133GammaBetaBackwardSimpleCUDAKernelIffLb0EEEvllPKT_S5_PKT0_S8_PS3_S9_.uses_flat_scratch, 0
	.set _ZN2at6native12_GLOBAL__N_133GammaBetaBackwardSimpleCUDAKernelIffLb0EEEvllPKT_S5_PKT0_S8_PS3_S9_.has_dyn_sized_stack, 0
	.set _ZN2at6native12_GLOBAL__N_133GammaBetaBackwardSimpleCUDAKernelIffLb0EEEvllPKT_S5_PKT0_S8_PS3_S9_.has_recursion, 0
	.set _ZN2at6native12_GLOBAL__N_133GammaBetaBackwardSimpleCUDAKernelIffLb0EEEvllPKT_S5_PKT0_S8_PS3_S9_.has_indirect_call, 0
	.section	.AMDGPU.csdata,"",@progbits
; Kernel info:
; codeLenInByte = 372
; TotalNumSgprs: 23
; NumVgprs: 12
; ScratchSize: 0
; MemoryBound: 0
; FloatMode: 240
; IeeeMode: 1
; LDSByteSize: 0 bytes/workgroup (compile time only)
; SGPRBlocks: 0
; VGPRBlocks: 0
; NumSGPRsForWavesPerEU: 23
; NumVGPRsForWavesPerEU: 12
; NamedBarCnt: 0
; Occupancy: 16
; WaveLimiterHint : 0
; COMPUTE_PGM_RSRC2:SCRATCH_EN: 0
; COMPUTE_PGM_RSRC2:USER_SGPR: 2
; COMPUTE_PGM_RSRC2:TRAP_HANDLER: 0
; COMPUTE_PGM_RSRC2:TGID_X_EN: 1
; COMPUTE_PGM_RSRC2:TGID_Y_EN: 0
; COMPUTE_PGM_RSRC2:TGID_Z_EN: 0
; COMPUTE_PGM_RSRC2:TIDIG_COMP_CNT: 0
	.section	.text._ZN2at6native12_GLOBAL__N_135GammaBetaBackwardCUDAKernelTemplateIffLj64ELj1ELj32ELb1ELb1ELb0EEEvllPKT_S5_PKT0_S8_PS3_S9_,"axG",@progbits,_ZN2at6native12_GLOBAL__N_135GammaBetaBackwardCUDAKernelTemplateIffLj64ELj1ELj32ELb1ELb1ELb0EEEvllPKT_S5_PKT0_S8_PS3_S9_,comdat
	.globl	_ZN2at6native12_GLOBAL__N_135GammaBetaBackwardCUDAKernelTemplateIffLj64ELj1ELj32ELb1ELb1ELb0EEEvllPKT_S5_PKT0_S8_PS3_S9_ ; -- Begin function _ZN2at6native12_GLOBAL__N_135GammaBetaBackwardCUDAKernelTemplateIffLj64ELj1ELj32ELb1ELb1ELb0EEEvllPKT_S5_PKT0_S8_PS3_S9_
	.p2align	8
	.type	_ZN2at6native12_GLOBAL__N_135GammaBetaBackwardCUDAKernelTemplateIffLj64ELj1ELj32ELb1ELb1ELb0EEEvllPKT_S5_PKT0_S8_PS3_S9_,@function
_ZN2at6native12_GLOBAL__N_135GammaBetaBackwardCUDAKernelTemplateIffLj64ELj1ELj32ELb1ELb1ELb0EEEvllPKT_S5_PKT0_S8_PS3_S9_: ; @_ZN2at6native12_GLOBAL__N_135GammaBetaBackwardCUDAKernelTemplateIffLj64ELj1ELj32ELb1ELb1ELb0EEEvllPKT_S5_PKT0_S8_PS3_S9_
; %bb.0:
	s_load_b128 s[12:15], s[0:1], 0x0
	s_bfe_u32 s3, ttmp6, 0x4000c
	s_bfe_u32 s4, ttmp6, 0x40010
	s_add_co_i32 s3, s3, 1
	s_add_co_i32 s4, s4, 1
	s_and_b32 s2, ttmp6, 15
	s_bfe_u32 s5, ttmp6, 0x40004
	s_mul_i32 s3, ttmp9, s3
	s_mul_i32 s4, ttmp7, s4
	s_getreg_b32 s6, hwreg(HW_REG_IB_STS2, 6, 4)
	s_add_co_i32 s2, s2, s3
	s_add_co_i32 s5, s5, s4
	s_cmp_eq_u32 s6, 0
	s_mov_b32 s3, 0
	s_cselect_b32 s17, ttmp7, s5
	s_cselect_b32 s16, ttmp9, s2
	s_lshl_b32 s2, s17, 5
	v_bfe_u32 v1, v0, 10, 10
	s_add_nc_u64 s[18:19], s[0:1], 64
	s_wait_kmcnt 0x0
	v_cmp_gt_i64_e64 s4, s[12:13], s[2:3]
	s_and_b32 vcc_lo, exec_lo, s4
	s_cbranch_vccnz .LBB50_2
; %bb.1:
	v_bfe_u32 v2, v0, 10, 10
	s_add_nc_u64 s[4:5], s[0:1], 64
	s_mov_b32 s6, s3
	s_branch .LBB50_3
.LBB50_2:
	s_mov_b32 s6, -1
                                        ; implicit-def: $sgpr4_sgpr5
                                        ; implicit-def: $vgpr2
.LBB50_3:
	v_mov_b32_e32 v11, 0
	v_and_b32_e32 v0, 0x3ff, v0
	s_and_not1_b32 vcc_lo, exec_lo, s6
	s_delay_alu instid0(VALU_DEP_2)
	v_mov_b32_e32 v10, v11
	s_cbranch_vccnz .LBB50_9
; %bb.4:
	v_dual_mov_b32 v3, 0 :: v_dual_lshlrev_b32 v2, 5, v1
	s_clause 0x2
	s_load_b32 s20, s[0:1], 0x4c
	s_load_b32 s22, s[0:1], 0x44
	s_load_b256 s[4:11], s[0:1], 0x10
	v_lshl_add_u32 v4, s16, 6, v0
	s_mov_b32 s21, 0
	v_dual_mov_b32 v12, 4 :: v_dual_mov_b32 v13, 8
	v_add_nc_u64_e32 v[6:7], s[2:3], v[2:3]
	v_dual_mov_b32 v11, v3 :: v_dual_mov_b32 v5, v3
	v_dual_mov_b32 v2, 12 :: v_dual_mov_b32 v14, 16
	;; [unrolled: 1-line block ×3, first 2 shown]
	s_delay_alu instid0(VALU_DEP_4) | instskip(NEXT) | instid1(VALU_DEP_4)
	v_mul_u64_e32 v[8:9], s[14:15], v[6:7]
	v_lshlrev_b64_e32 v[42:43], 2, v[4:5]
	v_dual_mov_b32 v17, 28 :: v_dual_mov_b32 v18, 32
	v_dual_mov_b32 v19, 36 :: v_dual_mov_b32 v20, 40
	s_wait_kmcnt 0x0
	s_and_b32 s20, s20, 0xffff
	v_dual_mov_b32 v21, 44 :: v_dual_mov_b32 v22, 48
	v_mad_u32_u24 v10, v1, s20, v0
	s_lshl_b32 s20, s22, 5
	v_dual_mov_b32 v25, 60 :: v_dual_mov_b32 v23, 52
	s_delay_alu instid0(VALU_DEP_2) | instskip(SKIP_3) | instid1(VALU_DEP_4)
	v_dual_mov_b32 v24, 56 :: v_dual_bitop2_b32 v10, 31, v10 bitop3:0x40
	v_dual_mov_b32 v26, 64 :: v_dual_mov_b32 v27, 0x44
	v_mov_b32_e32 v28, 0x48
	v_mov_b32_e32 v29, 0x4c
	v_add_nc_u64_e32 v[4:5], v[6:7], v[10:11]
	v_mov_b32_e32 v30, 0x50
	v_mov_b32_e32 v31, 0x54
	;; [unrolled: 1-line block ×12, first 2 shown]
	v_lshl_add_u64 v[6:7], v[8:9], 2, v[42:43]
	v_lshlrev_b64_e32 v[8:9], 2, v[4:5]
	v_mov_b32_e32 v10, 0
	s_mul_u64 s[22:23], s[14:15], s[20:21]
	s_lshl_b64 s[24:25], s[20:21], 2
	s_lshl_b64 s[22:23], s[22:23], 2
	;; [unrolled: 1-line block ×3, first 2 shown]
	s_branch .LBB50_6
.LBB50_5:                               ;   in Loop: Header=BB50_6 Depth=1
	s_wait_xcnt 0x0
	s_or_b32 exec_lo, exec_lo, s28
	v_add_nc_u64_e32 v[44:45], s[6:7], v[6:7]
	v_add_nc_u64_e32 v[46:47], s[4:5], v[6:7]
	s_wait_loadcnt 0x1
	ds_bpermute_b32 v56, v3, v43
	ds_bpermute_b32 v57, v12, v43
	s_add_nc_u64 s[2:3], s[2:3], s[20:21]
	v_add_nc_u64_e32 v[6:7], s[22:23], v[6:7]
	v_cmp_lt_i64_e64 s28, s[2:3], s[12:13]
	global_load_b32 v49, v[44:45], off
	global_load_b32 v48, v[46:47], off
	s_wait_xcnt 0x1
	v_add_nc_u64_e32 v[44:45], s[26:27], v[44:45]
	s_wait_xcnt 0x0
	v_add_nc_u64_e32 v[46:47], s[26:27], v[46:47]
	v_add_nc_u64_e32 v[8:9], s[24:25], v[8:9]
	;; [unrolled: 1-line block ×3, first 2 shown]
	s_and_b32 vcc_lo, exec_lo, s28
	global_load_b32 v51, v[44:45], off
	global_load_b32 v50, v[46:47], off
	s_wait_xcnt 0x1
	v_add_nc_u64_e32 v[44:45], s[26:27], v[44:45]
	s_wait_xcnt 0x0
	v_add_nc_u64_e32 v[46:47], s[26:27], v[46:47]
	global_load_b32 v53, v[44:45], off
	global_load_b32 v52, v[46:47], off
	s_wait_xcnt 0x1
	v_add_nc_u64_e32 v[44:45], s[26:27], v[44:45]
	s_wait_xcnt 0x0
	v_add_nc_u64_e32 v[46:47], s[26:27], v[46:47]
	;; [unrolled: 6-line block ×3, first 2 shown]
	s_wait_loadcnt_dscnt 0x701
	v_sub_f32_e32 v49, v49, v56
	ds_bpermute_b32 v56, v3, v42
	s_wait_loadcnt 0x6
	v_mul_f32_e32 v49, v48, v49
	s_wait_dscnt 0x0
	s_delay_alu instid0(VALU_DEP_1)
	v_mul_f32_e32 v49, v49, v56
	global_load_b32 v56, v[44:45], off
	s_wait_xcnt 0x0
	v_add_nc_u64_e32 v[44:45], s[26:27], v[44:45]
	v_pk_add_f32 v[10:11], v[10:11], v[48:49]
	s_wait_loadcnt 0x6
	v_sub_f32_e32 v49, v51, v57
	ds_bpermute_b32 v51, v12, v42
	global_load_b32 v48, v[46:47], off
	global_load_b32 v57, v[44:45], off
	s_wait_xcnt 0x1
	v_add_nc_u64_e32 v[46:47], s[26:27], v[46:47]
	s_wait_loadcnt 0x7
	v_mul_f32_e32 v49, v50, v49
	s_wait_xcnt 0x0
	v_add_nc_u64_e32 v[44:45], s[26:27], v[44:45]
	global_load_b32 v58, v[44:45], off
	s_wait_xcnt 0x0
	v_add_nc_u64_e32 v[44:45], s[26:27], v[44:45]
	global_load_b32 v59, v[44:45], off
	s_wait_dscnt 0x0
	v_mul_f32_e32 v51, v49, v51
	ds_bpermute_b32 v49, v13, v43
	s_wait_xcnt 0x0
	v_add_nc_u64_e32 v[44:45], s[26:27], v[44:45]
	s_wait_loadcnt_dscnt 0x800
	v_sub_f32_e32 v49, v53, v49
	s_wait_loadcnt 0x7
	s_delay_alu instid0(VALU_DEP_1)
	v_mul_f32_e32 v49, v52, v49
	v_pk_add_f32 v[10:11], v[10:11], v[50:51]
	global_load_b32 v50, v[46:47], off
	ds_bpermute_b32 v51, v13, v42
	s_wait_xcnt 0x0
	v_add_nc_u64_e32 v[46:47], s[26:27], v[46:47]
	s_wait_dscnt 0x0
	v_mul_f32_e32 v53, v49, v51
	ds_bpermute_b32 v49, v2, v43
	ds_bpermute_b32 v51, v2, v42
	s_wait_loadcnt_dscnt 0x701
	v_sub_f32_e32 v49, v55, v49
	v_pk_add_f32 v[10:11], v[10:11], v[52:53]
	global_load_b32 v52, v[46:47], off
	s_wait_xcnt 0x0
	v_add_nc_u64_e32 v[46:47], s[26:27], v[46:47]
	s_wait_loadcnt 0x7
	v_mul_f32_e32 v49, v54, v49
	s_wait_dscnt 0x0
	s_delay_alu instid0(VALU_DEP_1)
	v_mul_f32_e32 v55, v49, v51
	ds_bpermute_b32 v49, v14, v43
	ds_bpermute_b32 v51, v14, v42
	s_wait_loadcnt_dscnt 0x601
	v_sub_f32_e32 v49, v56, v49
	v_pk_add_f32 v[10:11], v[10:11], v[54:55]
	global_load_b32 v54, v[46:47], off
	s_wait_xcnt 0x0
	v_add_nc_u64_e32 v[46:47], s[26:27], v[46:47]
	global_load_b32 v56, v[44:45], off
	s_wait_xcnt 0x0
	v_add_nc_u64_e32 v[44:45], s[26:27], v[44:45]
	s_wait_loadcnt 0x7
	v_mul_f32_e32 v49, v48, v49
	s_wait_dscnt 0x0
	s_delay_alu instid0(VALU_DEP_1)
	v_mul_f32_e32 v49, v49, v51
	ds_bpermute_b32 v51, v15, v43
	v_pk_add_f32 v[10:11], v[10:11], v[48:49]
	global_load_b32 v48, v[46:47], off
	s_wait_xcnt 0x0
	v_add_nc_u64_e32 v[46:47], s[26:27], v[46:47]
	s_wait_loadcnt_dscnt 0x700
	v_sub_f32_e32 v49, v57, v51
	ds_bpermute_b32 v51, v15, v42
	global_load_b32 v57, v[44:45], off
	s_wait_xcnt 0x0
	v_add_nc_u64_e32 v[44:45], s[26:27], v[44:45]
	s_wait_loadcnt 0x5
	v_mul_f32_e32 v49, v50, v49
	s_wait_dscnt 0x0
	s_delay_alu instid0(VALU_DEP_1)
	v_mul_f32_e32 v51, v49, v51
	ds_bpermute_b32 v49, v16, v43
	s_wait_dscnt 0x0
	v_sub_f32_e32 v49, v58, v49
	v_pk_add_f32 v[10:11], v[10:11], v[50:51]
	global_load_b32 v50, v[46:47], off
	ds_bpermute_b32 v51, v16, v42
	global_load_b32 v58, v[44:45], off
	s_wait_xcnt 0x1
	v_add_nc_u64_e32 v[46:47], s[26:27], v[46:47]
	s_wait_xcnt 0x0
	v_add_nc_u64_e32 v[44:45], s[26:27], v[44:45]
	s_wait_loadcnt 0x6
	v_mul_f32_e32 v49, v52, v49
	s_wait_dscnt 0x0
	s_delay_alu instid0(VALU_DEP_1)
	v_mul_f32_e32 v53, v49, v51
	ds_bpermute_b32 v49, v17, v43
	ds_bpermute_b32 v51, v17, v42
	s_wait_dscnt 0x1
	v_sub_f32_e32 v49, v59, v49
	v_pk_add_f32 v[10:11], v[10:11], v[52:53]
	global_load_b32 v52, v[46:47], off
	global_load_b32 v59, v[44:45], off
	s_wait_xcnt 0x1
	v_add_nc_u64_e32 v[46:47], s[26:27], v[46:47]
	s_wait_xcnt 0x0
	v_add_nc_u64_e32 v[44:45], s[26:27], v[44:45]
	s_wait_loadcnt 0x7
	v_mul_f32_e32 v49, v54, v49
	s_wait_dscnt 0x0
	s_delay_alu instid0(VALU_DEP_1)
	v_mul_f32_e32 v55, v49, v51
	ds_bpermute_b32 v49, v18, v43
	ds_bpermute_b32 v51, v18, v42
	s_wait_loadcnt_dscnt 0x601
	v_sub_f32_e32 v49, v56, v49
	v_pk_add_f32 v[10:11], v[10:11], v[54:55]
	global_load_b32 v54, v[46:47], off
	s_wait_xcnt 0x0
	v_add_nc_u64_e32 v[46:47], s[26:27], v[46:47]
	global_load_b32 v56, v[44:45], off
	s_wait_loadcnt 0x7
	v_mul_f32_e32 v49, v48, v49
	s_wait_xcnt 0x0
	v_add_nc_u64_e32 v[44:45], s[26:27], v[44:45]
	s_wait_dscnt 0x0
	s_delay_alu instid0(VALU_DEP_2)
	v_mul_f32_e32 v49, v49, v51
	ds_bpermute_b32 v51, v19, v43
	v_pk_add_f32 v[10:11], v[10:11], v[48:49]
	global_load_b32 v48, v[46:47], off
	s_wait_xcnt 0x0
	v_add_nc_u64_e32 v[46:47], s[26:27], v[46:47]
	s_wait_loadcnt_dscnt 0x700
	v_sub_f32_e32 v49, v57, v51
	ds_bpermute_b32 v51, v19, v42
	global_load_b32 v57, v[44:45], off
	s_wait_xcnt 0x0
	v_add_nc_u64_e32 v[44:45], s[26:27], v[44:45]
	s_wait_loadcnt 0x7
	v_mul_f32_e32 v49, v50, v49
	s_wait_dscnt 0x0
	s_delay_alu instid0(VALU_DEP_1)
	v_mul_f32_e32 v51, v49, v51
	ds_bpermute_b32 v49, v20, v43
	s_wait_loadcnt_dscnt 0x600
	v_sub_f32_e32 v49, v58, v49
	v_pk_add_f32 v[10:11], v[10:11], v[50:51]
	global_load_b32 v50, v[46:47], off
	ds_bpermute_b32 v51, v20, v42
	global_load_b32 v58, v[44:45], off
	s_wait_xcnt 0x1
	v_add_nc_u64_e32 v[46:47], s[26:27], v[46:47]
	s_wait_xcnt 0x0
	v_add_nc_u64_e32 v[44:45], s[26:27], v[44:45]
	s_wait_loadcnt 0x7
	v_mul_f32_e32 v49, v52, v49
	s_wait_dscnt 0x0
	s_delay_alu instid0(VALU_DEP_1)
	v_mul_f32_e32 v53, v49, v51
	ds_bpermute_b32 v49, v21, v43
	ds_bpermute_b32 v51, v21, v42
	s_wait_loadcnt_dscnt 0x601
	v_sub_f32_e32 v49, v59, v49
	v_pk_add_f32 v[10:11], v[10:11], v[52:53]
	global_load_b32 v52, v[46:47], off
	global_load_b32 v59, v[44:45], off
	s_wait_xcnt 0x1
	v_add_nc_u64_e32 v[46:47], s[26:27], v[46:47]
	s_wait_xcnt 0x0
	v_add_nc_u64_e32 v[44:45], s[26:27], v[44:45]
	s_wait_loadcnt 0x7
	v_mul_f32_e32 v49, v54, v49
	s_wait_dscnt 0x0
	s_delay_alu instid0(VALU_DEP_1)
	v_mul_f32_e32 v55, v49, v51
	ds_bpermute_b32 v49, v22, v43
	ds_bpermute_b32 v51, v22, v42
	s_wait_loadcnt_dscnt 0x601
	v_sub_f32_e32 v49, v56, v49
	v_pk_add_f32 v[10:11], v[10:11], v[54:55]
	global_load_b32 v54, v[46:47], off
	s_wait_xcnt 0x0
	v_add_nc_u64_e32 v[46:47], s[26:27], v[46:47]
	global_load_b32 v56, v[44:45], off
	s_wait_loadcnt 0x7
	v_mul_f32_e32 v49, v48, v49
	s_wait_xcnt 0x0
	v_add_nc_u64_e32 v[44:45], s[26:27], v[44:45]
	s_wait_dscnt 0x0
	s_delay_alu instid0(VALU_DEP_2)
	v_mul_f32_e32 v49, v49, v51
	ds_bpermute_b32 v51, v23, v43
	v_pk_add_f32 v[10:11], v[10:11], v[48:49]
	global_load_b32 v48, v[46:47], off
	s_wait_xcnt 0x0
	v_add_nc_u64_e32 v[46:47], s[26:27], v[46:47]
	s_wait_loadcnt_dscnt 0x700
	v_sub_f32_e32 v49, v57, v51
	ds_bpermute_b32 v51, v23, v42
	global_load_b32 v57, v[44:45], off
	s_wait_xcnt 0x0
	v_add_nc_u64_e32 v[44:45], s[26:27], v[44:45]
	s_wait_loadcnt 0x7
	v_mul_f32_e32 v49, v50, v49
	s_wait_dscnt 0x0
	s_delay_alu instid0(VALU_DEP_1)
	v_mul_f32_e32 v51, v49, v51
	ds_bpermute_b32 v49, v24, v43
	s_wait_loadcnt_dscnt 0x600
	v_sub_f32_e32 v49, v58, v49
	v_pk_add_f32 v[10:11], v[10:11], v[50:51]
	global_load_b32 v50, v[46:47], off
	ds_bpermute_b32 v51, v24, v42
	global_load_b32 v58, v[44:45], off
	s_wait_xcnt 0x1
	v_add_nc_u64_e32 v[46:47], s[26:27], v[46:47]
	s_wait_xcnt 0x0
	v_add_nc_u64_e32 v[44:45], s[26:27], v[44:45]
	s_wait_loadcnt 0x7
	v_mul_f32_e32 v49, v52, v49
	s_wait_dscnt 0x0
	s_delay_alu instid0(VALU_DEP_1)
	v_mul_f32_e32 v53, v49, v51
	ds_bpermute_b32 v49, v25, v43
	ds_bpermute_b32 v51, v25, v42
	s_wait_loadcnt_dscnt 0x601
	v_sub_f32_e32 v49, v59, v49
	v_pk_add_f32 v[10:11], v[10:11], v[52:53]
	global_load_b32 v52, v[46:47], off
	global_load_b32 v59, v[44:45], off
	s_wait_xcnt 0x1
	v_add_nc_u64_e32 v[46:47], s[26:27], v[46:47]
	s_wait_xcnt 0x0
	v_add_nc_u64_e32 v[44:45], s[26:27], v[44:45]
	s_wait_loadcnt 0x7
	v_mul_f32_e32 v49, v54, v49
	s_wait_dscnt 0x0
	s_delay_alu instid0(VALU_DEP_1)
	v_mul_f32_e32 v55, v49, v51
	ds_bpermute_b32 v49, v26, v43
	ds_bpermute_b32 v51, v26, v42
	s_wait_loadcnt_dscnt 0x601
	v_sub_f32_e32 v49, v56, v49
	v_pk_add_f32 v[10:11], v[10:11], v[54:55]
	global_load_b32 v54, v[46:47], off
	s_wait_xcnt 0x0
	v_add_nc_u64_e32 v[46:47], s[26:27], v[46:47]
	global_load_b32 v56, v[44:45], off
	s_wait_loadcnt 0x7
	v_mul_f32_e32 v49, v48, v49
	s_wait_xcnt 0x0
	v_add_nc_u64_e32 v[44:45], s[26:27], v[44:45]
	s_wait_dscnt 0x0
	s_delay_alu instid0(VALU_DEP_2)
	v_mul_f32_e32 v49, v49, v51
	ds_bpermute_b32 v51, v27, v43
	v_pk_add_f32 v[10:11], v[10:11], v[48:49]
	global_load_b32 v48, v[46:47], off
	s_wait_xcnt 0x0
	v_add_nc_u64_e32 v[46:47], s[26:27], v[46:47]
	s_wait_loadcnt_dscnt 0x700
	v_sub_f32_e32 v49, v57, v51
	ds_bpermute_b32 v51, v27, v42
	global_load_b32 v57, v[44:45], off
	s_wait_xcnt 0x0
	v_add_nc_u64_e32 v[44:45], s[26:27], v[44:45]
	s_wait_loadcnt 0x7
	v_mul_f32_e32 v49, v50, v49
	s_wait_dscnt 0x0
	s_delay_alu instid0(VALU_DEP_1)
	v_mul_f32_e32 v51, v49, v51
	ds_bpermute_b32 v49, v28, v43
	s_wait_loadcnt_dscnt 0x600
	v_sub_f32_e32 v49, v58, v49
	v_pk_add_f32 v[10:11], v[10:11], v[50:51]
	ds_bpermute_b32 v51, v28, v42
	global_load_b32 v50, v[46:47], off
	s_wait_xcnt 0x0
	v_add_nc_u64_e32 v[46:47], s[26:27], v[46:47]
	global_load_b32 v58, v[44:45], off
	s_wait_xcnt 0x0
	v_add_nc_u64_e32 v[44:45], s[26:27], v[44:45]
	s_wait_loadcnt 0x7
	v_mul_f32_e32 v49, v52, v49
	s_wait_dscnt 0x0
	s_delay_alu instid0(VALU_DEP_1)
	v_mul_f32_e32 v53, v49, v51
	ds_bpermute_b32 v49, v29, v43
	ds_bpermute_b32 v51, v29, v42
	s_wait_loadcnt_dscnt 0x601
	v_sub_f32_e32 v49, v59, v49
	v_pk_add_f32 v[10:11], v[10:11], v[52:53]
	global_load_b32 v52, v[46:47], off
	s_wait_xcnt 0x0
	v_add_nc_u64_e32 v[46:47], s[26:27], v[46:47]
	ds_bpermute_b32 v53, v31, v42
	s_wait_loadcnt 0x6
	v_mul_f32_e32 v49, v54, v49
	s_wait_dscnt 0x1
	s_delay_alu instid0(VALU_DEP_1)
	v_mul_f32_e32 v55, v49, v51
	ds_bpermute_b32 v49, v30, v43
	ds_bpermute_b32 v51, v30, v42
	s_wait_loadcnt_dscnt 0x501
	v_sub_f32_e32 v49, v56, v49
	global_load_b32 v56, v[44:45], off
	v_pk_add_f32 v[10:11], v[10:11], v[54:55]
	global_load_b32 v54, v[46:47], off
	s_wait_xcnt 0x1
	v_add_nc_u64_e32 v[44:45], s[26:27], v[44:45]
	s_wait_loadcnt 0x6
	v_mul_f32_e32 v49, v48, v49
	s_wait_xcnt 0x0
	v_add_nc_u64_e32 v[46:47], s[26:27], v[46:47]
	s_wait_dscnt 0x0
	s_delay_alu instid0(VALU_DEP_2)
	v_mul_f32_e32 v49, v49, v51
	ds_bpermute_b32 v51, v31, v43
	v_pk_add_f32 v[10:11], v[10:11], v[48:49]
	global_load_b32 v48, v[46:47], off
	s_wait_xcnt 0x0
	v_add_nc_u64_e32 v[46:47], s[26:27], v[46:47]
	s_wait_loadcnt_dscnt 0x600
	v_sub_f32_e32 v51, v57, v51
	global_load_b32 v57, v[44:45], off
	s_wait_xcnt 0x0
	v_add_nc_u64_e32 v[44:45], s[26:27], v[44:45]
	s_wait_loadcnt 0x6
	v_mul_f32_e32 v49, v50, v51
	s_delay_alu instid0(VALU_DEP_1)
	v_mul_f32_e32 v51, v49, v53
	ds_bpermute_b32 v49, v32, v43
	ds_bpermute_b32 v53, v32, v42
	s_wait_loadcnt_dscnt 0x501
	v_sub_f32_e32 v49, v58, v49
	global_load_b32 v58, v[44:45], off
	s_wait_xcnt 0x0
	v_add_nc_u64_e32 v[44:45], s[26:27], v[44:45]
	s_wait_loadcnt 0x5
	v_mul_f32_e32 v49, v52, v49
	s_wait_dscnt 0x0
	s_delay_alu instid0(VALU_DEP_1)
	v_mul_f32_e32 v53, v49, v53
	v_pk_add_f32 v[10:11], v[10:11], v[50:51]
	global_load_b32 v50, v[46:47], off
	global_load_b32 v51, v[44:45], off
	ds_bpermute_b32 v49, v33, v43
	s_wait_xcnt 0x0
	v_add_nc_u64_e32 v[44:45], s[26:27], v[44:45]
	v_pk_add_f32 v[10:11], v[10:11], v[52:53]
	ds_bpermute_b32 v53, v33, v42
	v_add_nc_u64_e32 v[46:47], s[26:27], v[46:47]
	global_load_b32 v59, v[44:45], off
	s_wait_xcnt 0x0
	v_add_nc_u64_e32 v[44:45], s[26:27], v[44:45]
	global_load_b32 v52, v[46:47], off
	s_wait_xcnt 0x0
	v_add_nc_u64_e32 v[46:47], s[26:27], v[46:47]
	global_load_b32 v60, v[44:45], off
	s_wait_loadcnt_dscnt 0x901
	v_sub_f32_e32 v49, v56, v49
	s_wait_loadcnt 0x8
	s_delay_alu instid0(VALU_DEP_1) | instskip(SKIP_1) | instid1(VALU_DEP_1)
	v_mul_f32_e32 v49, v54, v49
	s_wait_dscnt 0x0
	v_mul_f32_e32 v55, v49, v53
	ds_bpermute_b32 v49, v34, v43
	ds_bpermute_b32 v53, v34, v42
	s_wait_loadcnt_dscnt 0x601
	v_sub_f32_e32 v49, v57, v49
	s_delay_alu instid0(VALU_DEP_1) | instskip(SKIP_1) | instid1(VALU_DEP_1)
	v_mul_f32_e32 v49, v48, v49
	s_wait_dscnt 0x0
	v_mul_f32_e32 v49, v49, v53
	v_pk_add_f32 v[10:11], v[10:11], v[54:55]
	v_add_nc_u64_e32 v[54:55], s[26:27], v[44:45]
	ds_bpermute_b32 v53, v35, v43
	v_pk_add_f32 v[10:11], v[10:11], v[48:49]
	ds_bpermute_b32 v49, v35, v42
	v_add_nc_u64_e32 v[56:57], s[26:27], v[54:55]
	global_load_b32 v61, v[54:55], off
	global_load_b32 v62, v[56:57], off
	s_wait_xcnt 0x2
	v_add_nc_u64_e32 v[44:45], s[26:27], v[56:57]
	global_load_b32 v57, v[44:45], off
	s_wait_xcnt 0x0
	ds_bpermute_b32 v45, v36, v43
	global_load_b32 v44, v[46:47], off
	s_wait_xcnt 0x0
	v_add_nc_u64_e32 v[46:47], s[26:27], v[46:47]
	s_wait_loadcnt_dscnt 0x902
	v_sub_f32_e32 v48, v58, v53
	ds_bpermute_b32 v53, v36, v42
	s_wait_loadcnt_dscnt 0x701
	v_dual_mul_f32 v48, v50, v48 :: v_dual_sub_f32 v45, v51, v45
	s_delay_alu instid0(VALU_DEP_1)
	v_mul_f32_e32 v51, v48, v49
	v_add_nc_u64_e32 v[48:49], s[26:27], v[46:47]
	global_load_b32 v46, v[46:47], off
	s_wait_xcnt 0x0
	ds_bpermute_b32 v47, v37, v42
	v_pk_add_f32 v[10:11], v[10:11], v[50:51]
	v_add_nc_u64_e32 v[50:51], s[26:27], v[48:49]
	global_load_b32 v48, v[48:49], off
	s_wait_loadcnt 0x7
	v_mul_f32_e32 v45, v52, v45
	s_wait_xcnt 0x0
	ds_bpermute_b32 v49, v38, v43
	v_add_nc_u64_e32 v[54:55], s[26:27], v[50:51]
	global_load_b32 v56, v[50:51], off
	global_load_b32 v58, v[54:55], off
	s_wait_dscnt 0x2
	v_mul_f32_e32 v53, v45, v53
	ds_bpermute_b32 v45, v37, v43
	s_wait_xcnt 0x1
	ds_bpermute_b32 v50, v38, v42
	ds_bpermute_b32 v51, v40, v42
	v_pk_add_f32 v[10:11], v[10:11], v[52:53]
	s_wait_loadcnt_dscnt 0x803
	v_sub_f32_e32 v49, v60, v49
	s_wait_dscnt 0x2
	v_sub_f32_e32 v45, v59, v45
	s_wait_loadcnt 0x4
	s_delay_alu instid0(VALU_DEP_1) | instskip(NEXT) | instid1(VALU_DEP_1)
	v_mul_f32_e32 v45, v44, v45
	v_mul_f32_e32 v45, v45, v47
	ds_bpermute_b32 v47, v39, v43
	v_pk_add_f32 v[10:11], v[10:11], v[44:45]
	ds_bpermute_b32 v44, v40, v43
	ds_bpermute_b32 v45, v39, v42
	;; [unrolled: 1-line block ×4, first 2 shown]
	s_wait_dscnt 0x3
	v_dual_sub_f32 v52, v61, v47 :: v_dual_sub_f32 v44, v62, v44
	s_wait_loadcnt_dscnt 0x301
	v_dual_sub_f32 v43, v57, v43 :: v_dual_mul_f32 v49, v46, v49
	s_wait_loadcnt 0x2
	s_delay_alu instid0(VALU_DEP_1) | instskip(NEXT) | instid1(VALU_DEP_1)
	v_dual_mul_f32 v47, v49, v50 :: v_dual_mul_f32 v49, v48, v52
	v_pk_add_f32 v[10:11], v[10:11], v[46:47]
	s_delay_alu instid0(VALU_DEP_2) | instskip(NEXT) | instid1(VALU_DEP_1)
	v_mul_f32_e32 v49, v49, v45
	v_pk_add_f32 v[10:11], v[10:11], v[48:49]
	s_wait_loadcnt 0x0
	v_dual_mul_f32 v44, v56, v44 :: v_dual_mul_f32 v43, v58, v43
	s_wait_dscnt 0x0
	s_delay_alu instid0(VALU_DEP_1) | instskip(NEXT) | instid1(VALU_DEP_1)
	v_dual_mul_f32 v57, v44, v51 :: v_dual_mul_f32 v59, v43, v42
	v_pk_add_f32 v[10:11], v[10:11], v[56:57]
	s_delay_alu instid0(VALU_DEP_1)
	v_pk_add_f32 v[10:11], v[10:11], v[58:59]
	s_cbranch_vccz .LBB50_8
.LBB50_6:                               ; =>This Inner Loop Header: Depth=1
	v_dual_mov_b32 v42, 0 :: v_dual_mov_b32 v43, 0
	s_mov_b32 s28, exec_lo
	v_cmpx_gt_i64_e64 s[12:13], v[4:5]
	s_cbranch_execz .LBB50_5
; %bb.7:                                ;   in Loop: Header=BB50_6 Depth=1
	v_add_nc_u64_e32 v[44:45], s[8:9], v[8:9]
	v_add_nc_u64_e32 v[46:47], s[10:11], v[8:9]
	global_load_b32 v43, v[44:45], off
	global_load_b32 v42, v[46:47], off
	s_branch .LBB50_5
.LBB50_8:
	v_mov_b32_e32 v2, v1
	s_mov_b64 s[4:5], s[18:19]
.LBB50_9:
	s_load_b128 s[0:3], s[0:1], 0x30
	s_nop 0
	s_load_u16 s4, s[4:5], 0xe
	v_mov_b32_e32 v1, 0
	s_delay_alu instid0(VALU_DEP_1) | instskip(SKIP_1) | instid1(VALU_DEP_1)
	v_mov_b32_e32 v3, v1
	s_wait_kmcnt 0x0
	v_mad_nc_u64_u32 v[2:3], s4, s17, v[2:3]
	s_mov_b32 s17, 0
	s_delay_alu instid0(SALU_CYCLE_1) | instskip(SKIP_2) | instid1(VALU_DEP_2)
	s_lshl_b64 s[4:5], s[16:17], 6
	s_cmp_eq_u64 s[0:1], 0
	v_add_nc_u64_e32 v[0:1], s[4:5], v[0:1]
	v_mul_u64_e32 v[2:3], s[14:15], v[2:3]
	s_cbranch_scc1 .LBB50_11
; %bb.10:
	s_delay_alu instid0(VALU_DEP_1) | instskip(NEXT) | instid1(VALU_DEP_1)
	v_lshl_add_u64 v[4:5], v[2:3], 2, s[0:1]
	v_lshl_add_u64 v[4:5], v[0:1], 2, v[4:5]
	global_store_b32 v[4:5], v11, off
.LBB50_11:
	s_cmp_eq_u64 s[2:3], 0
	s_cbranch_scc1 .LBB50_13
; %bb.12:
	s_delay_alu instid0(VALU_DEP_1) | instskip(NEXT) | instid1(VALU_DEP_1)
	v_lshl_add_u64 v[2:3], v[2:3], 2, s[2:3]
	v_lshl_add_u64 v[0:1], v[0:1], 2, v[2:3]
	global_store_b32 v[0:1], v10, off
.LBB50_13:
	s_endpgm
	.section	.rodata,"a",@progbits
	.p2align	6, 0x0
	.amdhsa_kernel _ZN2at6native12_GLOBAL__N_135GammaBetaBackwardCUDAKernelTemplateIffLj64ELj1ELj32ELb1ELb1ELb0EEEvllPKT_S5_PKT0_S8_PS3_S9_
		.amdhsa_group_segment_fixed_size 0
		.amdhsa_private_segment_fixed_size 0
		.amdhsa_kernarg_size 320
		.amdhsa_user_sgpr_count 2
		.amdhsa_user_sgpr_dispatch_ptr 0
		.amdhsa_user_sgpr_queue_ptr 0
		.amdhsa_user_sgpr_kernarg_segment_ptr 1
		.amdhsa_user_sgpr_dispatch_id 0
		.amdhsa_user_sgpr_kernarg_preload_length 0
		.amdhsa_user_sgpr_kernarg_preload_offset 0
		.amdhsa_user_sgpr_private_segment_size 0
		.amdhsa_wavefront_size32 1
		.amdhsa_uses_dynamic_stack 0
		.amdhsa_enable_private_segment 0
		.amdhsa_system_sgpr_workgroup_id_x 1
		.amdhsa_system_sgpr_workgroup_id_y 1
		.amdhsa_system_sgpr_workgroup_id_z 0
		.amdhsa_system_sgpr_workgroup_info 0
		.amdhsa_system_vgpr_workitem_id 1
		.amdhsa_next_free_vgpr 63
		.amdhsa_next_free_sgpr 29
		.amdhsa_named_barrier_count 0
		.amdhsa_reserve_vcc 1
		.amdhsa_float_round_mode_32 0
		.amdhsa_float_round_mode_16_64 0
		.amdhsa_float_denorm_mode_32 3
		.amdhsa_float_denorm_mode_16_64 3
		.amdhsa_fp16_overflow 0
		.amdhsa_memory_ordered 1
		.amdhsa_forward_progress 1
		.amdhsa_inst_pref_size 29
		.amdhsa_round_robin_scheduling 0
		.amdhsa_exception_fp_ieee_invalid_op 0
		.amdhsa_exception_fp_denorm_src 0
		.amdhsa_exception_fp_ieee_div_zero 0
		.amdhsa_exception_fp_ieee_overflow 0
		.amdhsa_exception_fp_ieee_underflow 0
		.amdhsa_exception_fp_ieee_inexact 0
		.amdhsa_exception_int_div_zero 0
	.end_amdhsa_kernel
	.section	.text._ZN2at6native12_GLOBAL__N_135GammaBetaBackwardCUDAKernelTemplateIffLj64ELj1ELj32ELb1ELb1ELb0EEEvllPKT_S5_PKT0_S8_PS3_S9_,"axG",@progbits,_ZN2at6native12_GLOBAL__N_135GammaBetaBackwardCUDAKernelTemplateIffLj64ELj1ELj32ELb1ELb1ELb0EEEvllPKT_S5_PKT0_S8_PS3_S9_,comdat
.Lfunc_end50:
	.size	_ZN2at6native12_GLOBAL__N_135GammaBetaBackwardCUDAKernelTemplateIffLj64ELj1ELj32ELb1ELb1ELb0EEEvllPKT_S5_PKT0_S8_PS3_S9_, .Lfunc_end50-_ZN2at6native12_GLOBAL__N_135GammaBetaBackwardCUDAKernelTemplateIffLj64ELj1ELj32ELb1ELb1ELb0EEEvllPKT_S5_PKT0_S8_PS3_S9_
                                        ; -- End function
	.set _ZN2at6native12_GLOBAL__N_135GammaBetaBackwardCUDAKernelTemplateIffLj64ELj1ELj32ELb1ELb1ELb0EEEvllPKT_S5_PKT0_S8_PS3_S9_.num_vgpr, 63
	.set _ZN2at6native12_GLOBAL__N_135GammaBetaBackwardCUDAKernelTemplateIffLj64ELj1ELj32ELb1ELb1ELb0EEEvllPKT_S5_PKT0_S8_PS3_S9_.num_agpr, 0
	.set _ZN2at6native12_GLOBAL__N_135GammaBetaBackwardCUDAKernelTemplateIffLj64ELj1ELj32ELb1ELb1ELb0EEEvllPKT_S5_PKT0_S8_PS3_S9_.numbered_sgpr, 29
	.set _ZN2at6native12_GLOBAL__N_135GammaBetaBackwardCUDAKernelTemplateIffLj64ELj1ELj32ELb1ELb1ELb0EEEvllPKT_S5_PKT0_S8_PS3_S9_.num_named_barrier, 0
	.set _ZN2at6native12_GLOBAL__N_135GammaBetaBackwardCUDAKernelTemplateIffLj64ELj1ELj32ELb1ELb1ELb0EEEvllPKT_S5_PKT0_S8_PS3_S9_.private_seg_size, 0
	.set _ZN2at6native12_GLOBAL__N_135GammaBetaBackwardCUDAKernelTemplateIffLj64ELj1ELj32ELb1ELb1ELb0EEEvllPKT_S5_PKT0_S8_PS3_S9_.uses_vcc, 1
	.set _ZN2at6native12_GLOBAL__N_135GammaBetaBackwardCUDAKernelTemplateIffLj64ELj1ELj32ELb1ELb1ELb0EEEvllPKT_S5_PKT0_S8_PS3_S9_.uses_flat_scratch, 0
	.set _ZN2at6native12_GLOBAL__N_135GammaBetaBackwardCUDAKernelTemplateIffLj64ELj1ELj32ELb1ELb1ELb0EEEvllPKT_S5_PKT0_S8_PS3_S9_.has_dyn_sized_stack, 0
	.set _ZN2at6native12_GLOBAL__N_135GammaBetaBackwardCUDAKernelTemplateIffLj64ELj1ELj32ELb1ELb1ELb0EEEvllPKT_S5_PKT0_S8_PS3_S9_.has_recursion, 0
	.set _ZN2at6native12_GLOBAL__N_135GammaBetaBackwardCUDAKernelTemplateIffLj64ELj1ELj32ELb1ELb1ELb0EEEvllPKT_S5_PKT0_S8_PS3_S9_.has_indirect_call, 0
	.section	.AMDGPU.csdata,"",@progbits
; Kernel info:
; codeLenInByte = 3664
; TotalNumSgprs: 31
; NumVgprs: 63
; ScratchSize: 0
; MemoryBound: 0
; FloatMode: 240
; IeeeMode: 1
; LDSByteSize: 0 bytes/workgroup (compile time only)
; SGPRBlocks: 0
; VGPRBlocks: 3
; NumSGPRsForWavesPerEU: 31
; NumVGPRsForWavesPerEU: 63
; NamedBarCnt: 0
; Occupancy: 16
; WaveLimiterHint : 0
; COMPUTE_PGM_RSRC2:SCRATCH_EN: 0
; COMPUTE_PGM_RSRC2:USER_SGPR: 2
; COMPUTE_PGM_RSRC2:TRAP_HANDLER: 0
; COMPUTE_PGM_RSRC2:TGID_X_EN: 1
; COMPUTE_PGM_RSRC2:TGID_Y_EN: 1
; COMPUTE_PGM_RSRC2:TGID_Z_EN: 0
; COMPUTE_PGM_RSRC2:TIDIG_COMP_CNT: 1
	.section	.text._ZN2at6native12_GLOBAL__N_135GammaBetaBackwardCUDAKernelTemplateIffLj64ELj1ELj32ELb1ELb0ELb0EEEvllPKT_S5_PKT0_S8_PS3_S9_,"axG",@progbits,_ZN2at6native12_GLOBAL__N_135GammaBetaBackwardCUDAKernelTemplateIffLj64ELj1ELj32ELb1ELb0ELb0EEEvllPKT_S5_PKT0_S8_PS3_S9_,comdat
	.globl	_ZN2at6native12_GLOBAL__N_135GammaBetaBackwardCUDAKernelTemplateIffLj64ELj1ELj32ELb1ELb0ELb0EEEvllPKT_S5_PKT0_S8_PS3_S9_ ; -- Begin function _ZN2at6native12_GLOBAL__N_135GammaBetaBackwardCUDAKernelTemplateIffLj64ELj1ELj32ELb1ELb0ELb0EEEvllPKT_S5_PKT0_S8_PS3_S9_
	.p2align	8
	.type	_ZN2at6native12_GLOBAL__N_135GammaBetaBackwardCUDAKernelTemplateIffLj64ELj1ELj32ELb1ELb0ELb0EEEvllPKT_S5_PKT0_S8_PS3_S9_,@function
_ZN2at6native12_GLOBAL__N_135GammaBetaBackwardCUDAKernelTemplateIffLj64ELj1ELj32ELb1ELb0ELb0EEEvllPKT_S5_PKT0_S8_PS3_S9_: ; @_ZN2at6native12_GLOBAL__N_135GammaBetaBackwardCUDAKernelTemplateIffLj64ELj1ELj32ELb1ELb0ELb0EEEvllPKT_S5_PKT0_S8_PS3_S9_
; %bb.0:
	s_load_b256 s[4:11], s[0:1], 0x0
	s_bfe_u32 s3, ttmp6, 0x4000c
	s_bfe_u32 s12, ttmp6, 0x40010
	s_add_co_i32 s3, s3, 1
	s_add_co_i32 s12, s12, 1
	s_and_b32 s2, ttmp6, 15
	s_bfe_u32 s13, ttmp6, 0x40004
	s_mul_i32 s3, ttmp9, s3
	s_mul_i32 s12, ttmp7, s12
	s_getreg_b32 s14, hwreg(HW_REG_IB_STS2, 6, 4)
	s_add_co_i32 s2, s2, s3
	s_add_co_i32 s3, s13, s12
	s_cmp_eq_u32 s14, 0
	s_mov_b32 s19, 0
	s_cselect_b32 s16, ttmp9, s2
	s_cselect_b32 s33, ttmp7, s3
	s_lshl_b32 s3, s16, 6
	s_load_b128 s[12:15], s[0:1], 0x20
	s_or_b32 s18, s3, 63
	s_wait_kmcnt 0x0
	v_cmp_le_i64_e64 s2, s[6:7], s[18:19]
	s_lshl_b32 s18, s33, 5
	s_delay_alu instid0(SALU_CYCLE_1) | instskip(SKIP_2) | instid1(VALU_DEP_1)
	v_cmp_gt_i64_e64 s17, s[4:5], s[18:19]
	s_and_b32 vcc_lo, exec_lo, s2
	v_cndmask_b32_e64 v1, 0, 1, s17
	v_cmp_ne_u32_e64 s2, 1, v1
	s_cbranch_vccz .LBB51_140
; %bb.1:
	v_mov_b32_e32 v37, 0
	s_and_b32 vcc_lo, exec_lo, s2
	s_delay_alu instid0(VALU_DEP_1)
	v_mov_b32_e32 v36, v37
	s_cbranch_vccnz .LBB51_141
; %bb.2:
	v_bfe_u32 v1, v0, 10, 10
	v_mov_b32_e32 v2, 0
	v_and_b32_e32 v174, 0x3ff, v0
	s_load_b32 s20, s[0:1], 0x44
	s_mov_b32 s21, 0
	s_delay_alu instid0(VALU_DEP_2) | instskip(NEXT) | instid1(VALU_DEP_2)
	v_dual_mov_b32 v39, v2 :: v_dual_lshlrev_b32 v38, 5, v1
	v_dual_mov_b32 v7, v2 :: v_dual_add_nc_u32 v6, s3, v174
	s_mov_b32 s25, s21
	s_add_nc_u64 s[22:23], s[0:1], 64
	s_delay_alu instid0(VALU_DEP_2) | instskip(SKIP_2) | instid1(VALU_DEP_1)
	v_add_nc_u64_e32 v[4:5], s[18:19], v[38:39]
	s_mov_b64 s[28:29], 31
	s_mov_b64 s[30:31], s[18:19]
	v_mul_u64_e32 v[8:9], s[6:7], v[4:5]
	v_add_nc_u64_e32 v[10:11], 31, v[4:5]
	v_add_nc_u64_e32 v[12:13], 30, v[4:5]
	v_add_nc_u64_e32 v[14:15], 29, v[4:5]
	v_add_nc_u64_e32 v[16:17], 28, v[4:5]
	v_add_nc_u64_e32 v[24:25], 23, v[4:5]
	v_add_nc_u64_e32 v[26:27], 22, v[4:5]
	v_add_nc_u64_e32 v[28:29], 21, v[4:5]
	v_mul_u64_e32 v[10:11], s[6:7], v[10:11]
	v_mul_u64_e32 v[12:13], s[6:7], v[12:13]
	;; [unrolled: 1-line block ×6, first 2 shown]
	v_add_nc_u64_e32 v[18:19], 27, v[4:5]
	v_add_nc_u64_e32 v[22:23], 25, v[4:5]
	;; [unrolled: 1-line block ×3, first 2 shown]
	v_mul_u64_e32 v[28:29], s[6:7], v[28:29]
	v_add_nc_u64_e32 v[30:31], 20, v[4:5]
	v_add_nc_u64_e32 v[34:35], 18, v[4:5]
	;; [unrolled: 1-line block ×3, first 2 shown]
	v_mul_u64_e32 v[18:19], s[6:7], v[18:19]
	v_mul_u64_e32 v[22:23], s[6:7], v[22:23]
	;; [unrolled: 1-line block ×3, first 2 shown]
	s_wait_kmcnt 0x0
	s_lshl_b32 s24, s20, 5
	v_mul_u64_e32 v[30:31], s[6:7], v[30:31]
	v_mul_u64_e32 v[34:35], s[6:7], v[34:35]
	;; [unrolled: 1-line block ×3, first 2 shown]
	s_mul_u64 s[26:27], s[6:7], s[24:25]
	s_delay_alu instid0(SALU_CYCLE_1) | instskip(SKIP_2) | instid1(VALU_DEP_2)
	s_lshl_b64 s[26:27], s[26:27], 2
	v_lshlrev_b64_e32 v[36:37], 2, v[8:9]
	v_add_nc_u64_e32 v[8:9], s[6:7], v[8:9]
	v_add_nc_u64_e32 v[42:43], s[8:9], v[36:37]
	;; [unrolled: 1-line block ×3, first 2 shown]
	v_mov_b32_e32 v37, v2
	v_cmp_gt_i64_e64 s2, s[6:7], v[6:7]
	v_lshlrev_b64_e32 v[40:41], 2, v[6:7]
	v_add_nc_u64_e32 v[6:7], 24, v[4:5]
	v_lshlrev_b64_e32 v[10:11], 2, v[10:11]
	v_lshlrev_b64_e32 v[12:13], 2, v[12:13]
	;; [unrolled: 1-line block ×5, first 2 shown]
	v_mov_b32_e32 v36, v2
	v_mul_u64_e32 v[6:7], s[6:7], v[6:7]
	v_add_nc_u64_e32 v[46:47], s[8:9], v[10:11]
	v_add_nc_u64_e32 v[48:49], s[10:11], v[10:11]
	;; [unrolled: 1-line block ×9, first 2 shown]
	v_lshlrev_b64_e32 v[12:13], 2, v[24:25]
	v_mul_u64_e32 v[10:11], s[6:7], v[10:11]
	v_add_nc_u64_e32 v[14:15], 16, v[4:5]
	v_lshlrev_b64_e32 v[16:17], 2, v[26:27]
	v_lshlrev_b64_e32 v[18:19], 2, v[18:19]
	;; [unrolled: 1-line block ×3, first 2 shown]
	v_add_nc_u64_e32 v[24:25], 11, v[4:5]
	v_add_nc_u64_e32 v[78:79], s[8:9], v[12:13]
	v_add_nc_u64_e32 v[80:81], s[10:11], v[12:13]
	v_mul_u64_e32 v[12:13], s[6:7], v[14:15]
	v_add_nc_u64_e32 v[82:83], s[8:9], v[16:17]
	v_add_nc_u64_e32 v[84:85], s[10:11], v[16:17]
	;; [unrolled: 1-line block ×8, first 2 shown]
	v_lshlrev_b64_e32 v[18:19], 2, v[30:31]
	v_mul_u64_e32 v[16:17], s[6:7], v[16:17]
	v_lshlrev_b64_e32 v[22:23], 2, v[34:35]
	v_add_nc_u64_e32 v[26:27], 9, v[4:5]
	v_lshlrev_b64_e32 v[6:7], 2, v[6:7]
	v_lshlrev_b64_e32 v[20:21], 2, v[20:21]
	v_mul_u64_e32 v[14:15], s[6:7], v[14:15]
	v_add_nc_u64_e32 v[90:91], s[8:9], v[18:19]
	v_add_nc_u64_e32 v[92:93], s[10:11], v[18:19]
	;; [unrolled: 1-line block ×6, first 2 shown]
	v_lshlrev_b64_e32 v[6:7], 2, v[28:29]
	v_mul_u64_e32 v[24:25], s[6:7], v[24:25]
	v_lshlrev_b64_e32 v[10:11], 2, v[10:11]
	v_add_nc_u64_e32 v[28:29], 8, v[4:5]
	v_add_nc_u64_e32 v[100:101], s[10:11], v[22:23]
	v_mul_u64_e32 v[22:23], s[6:7], v[26:27]
	v_add_nc_u64_e32 v[26:27], 6, v[4:5]
	v_add_nc_u64_e32 v[86:87], s[8:9], v[6:7]
	;; [unrolled: 1-line block ×3, first 2 shown]
	v_lshlrev_b64_e32 v[6:7], 2, v[32:33]
	v_add_nc_u64_e32 v[66:67], s[8:9], v[20:21]
	v_add_nc_u64_e32 v[68:69], s[10:11], v[20:21]
	v_add_nc_u64_e32 v[20:21], 13, v[4:5]
	v_mul_u64_e32 v[18:19], s[6:7], v[18:19]
	v_add_nc_u64_e32 v[30:31], 7, v[4:5]
	v_lshlrev_b64_e32 v[12:13], 2, v[12:13]
	v_add_nc_u64_e32 v[94:95], s[8:9], v[6:7]
	v_add_nc_u64_e32 v[96:97], s[10:11], v[6:7]
	;; [unrolled: 1-line block ×3, first 2 shown]
	v_mul_u64_e32 v[28:29], s[6:7], v[28:29]
	v_add_nc_u64_e32 v[102:103], s[8:9], v[10:11]
	v_add_nc_u64_e32 v[32:33], 5, v[4:5]
	;; [unrolled: 1-line block ×3, first 2 shown]
	v_mul_u64_e32 v[10:11], s[6:7], v[26:27]
	v_add_nc_u64_e32 v[26:27], 4, v[4:5]
	v_mul_u64_e32 v[6:7], s[6:7], v[6:7]
	v_add_nc_u64_e32 v[34:35], 3, v[4:5]
	v_add_nc_u64_e32 v[4:5], 2, v[4:5]
	v_mul_u64_e32 v[20:21], s[6:7], v[20:21]
	v_mul_u64_e32 v[30:31], s[6:7], v[30:31]
	v_add_nc_u64_e32 v[106:107], s[8:9], v[12:13]
	v_mul_u64_e32 v[32:33], s[6:7], v[32:33]
	v_add_nc_u64_e32 v[108:109], s[10:11], v[12:13]
	v_lshlrev_b64_e32 v[12:13], 2, v[16:17]
	v_mul_u64_e32 v[16:17], s[6:7], v[26:27]
	v_mul_u64_e32 v[26:27], s[6:7], v[34:35]
	;; [unrolled: 1-line block ×3, first 2 shown]
	v_lshlrev_b64_e32 v[14:15], 2, v[14:15]
	v_add_nc_u64_e32 v[166:167], s[8:9], v[8:9]
	v_add_nc_u64_e32 v[168:169], s[10:11], v[8:9]
	;; [unrolled: 1-line block ×4, first 2 shown]
	v_lshlrev_b64_e32 v[12:13], 2, v[24:25]
	v_add_nc_u64_e32 v[110:111], s[8:9], v[14:15]
	v_add_nc_u64_e32 v[112:113], s[10:11], v[14:15]
	v_lshlrev_b64_e32 v[14:15], 2, v[18:19]
	s_delay_alu instid0(VALU_DEP_4) | instskip(SKIP_2) | instid1(VALU_DEP_4)
	v_add_nc_u64_e32 v[126:127], s[8:9], v[12:13]
	v_add_nc_u64_e32 v[128:129], s[10:11], v[12:13]
	v_lshlrev_b64_e32 v[12:13], 2, v[28:29]
	v_add_nc_u64_e32 v[122:123], s[8:9], v[14:15]
	v_add_nc_u64_e32 v[124:125], s[10:11], v[14:15]
	v_lshlrev_b64_e32 v[14:15], 2, v[22:23]
	v_lshlrev_b64_e32 v[6:7], 2, v[6:7]
	v_add_nc_u64_e32 v[138:139], s[8:9], v[12:13]
	v_add_nc_u64_e32 v[140:141], s[10:11], v[12:13]
	v_lshlrev_b64_e32 v[20:21], 2, v[20:21]
	v_lshlrev_b64_e32 v[18:19], 2, v[30:31]
	v_add_nc_u64_e32 v[134:135], s[8:9], v[14:15]
	v_add_nc_u64_e32 v[136:137], s[10:11], v[14:15]
	;; [unrolled: 1-line block ×4, first 2 shown]
	v_lshlrev_b64_e32 v[6:7], 2, v[10:11]
	v_lshlrev_b64_e32 v[10:11], 2, v[32:33]
	;; [unrolled: 1-line block ×4, first 2 shown]
	v_add_nc_u64_e32 v[118:119], s[8:9], v[20:21]
	v_add_nc_u64_e32 v[120:121], s[10:11], v[20:21]
	;; [unrolled: 1-line block ×5, first 2 shown]
	v_lshlrev_b64_e32 v[6:7], 2, v[26:27]
	v_add_nc_u64_e32 v[144:145], s[10:11], v[18:19]
	v_add_nc_u64_e32 v[150:151], s[8:9], v[10:11]
	;; [unrolled: 1-line block ×9, first 2 shown]
	s_branch .LBB51_5
.LBB51_3:                               ;   in Loop: Header=BB51_5 Depth=1
	s_wait_xcnt 0x0
	s_or_b32 exec_lo, exec_lo, s20
	s_wait_loadcnt 0x1
	ds_bpermute_b32 v204, v2, v170
	ds_bpermute_b32 v206, v2, v170 offset:4
	s_wait_loadcnt 0x0
	ds_bpermute_b32 v205, v2, v171
	ds_bpermute_b32 v209, v2, v170 offset:8
	ds_bpermute_b32 v207, v2, v171 offset:4
	;; [unrolled: 1-line block ×17, first 2 shown]
	s_wait_dscnt 0x12
	v_dual_sub_f32 v204, v172, v204 :: v_dual_sub_f32 v175, v175, v206
	s_wait_dscnt 0x10
	v_dual_mov_b32 v172, v4 :: v_dual_sub_f32 v209, v173, v209
	ds_bpermute_b32 v222, v2, v171 offset:36
	v_dual_mul_f32 v206, v4, v204 :: v_dual_mov_b32 v4, v5
	v_dual_mov_b32 v204, v6 :: v_dual_mul_f32 v5, v5, v175
	ds_bpermute_b32 v224, v2, v171 offset:40
	v_dual_mul_f32 v173, v206, v205 :: v_dual_mov_b32 v206, v7
	s_wait_dscnt 0x10
	v_dual_sub_f32 v175, v177, v211 :: v_dual_mul_f32 v177, v6, v209
	v_dual_mul_f32 v5, v5, v207 :: v_dual_mov_b32 v6, v8
	s_delay_alu instid0(VALU_DEP_3) | instskip(SKIP_1) | instid1(VALU_DEP_3)
	v_pk_add_f32 v[36:37], v[36:37], v[172:173]
	s_wait_dscnt 0xe
	v_dual_sub_f32 v172, v176, v213 :: v_dual_mul_f32 v7, v7, v175
	v_mul_f32_e32 v205, v177, v208
	s_delay_alu instid0(VALU_DEP_3) | instskip(NEXT) | instid1(VALU_DEP_3)
	v_pk_add_f32 v[4:5], v[4:5], v[36:37]
	v_dual_mov_b32 v36, v9 :: v_dual_mul_f32 v172, v8, v172
	s_wait_dscnt 0xc
	v_sub_f32_e32 v37, v179, v215
	v_dual_mul_f32 v207, v7, v210 :: v_dual_mov_b32 v8, v10
	v_pk_add_f32 v[4:5], v[204:205], v[4:5]
	s_wait_dscnt 0xa
	v_dual_sub_f32 v173, v178, v217 :: v_dual_mul_f32 v7, v172, v212
	v_mul_f32_e32 v9, v9, v37
	s_wait_dscnt 0x8
	v_sub_f32_e32 v175, v181, v219
	v_pk_add_f32 v[4:5], v[206:207], v[4:5]
	v_mul_f32_e32 v10, v10, v173
	ds_bpermute_b32 v172, v2, v170 offset:44
	v_mul_f32_e32 v173, v11, v175
	v_pk_add_f32 v[4:5], v[6:7], v[4:5]
	s_wait_dscnt 0x8
	v_dual_sub_f32 v7, v183, v223 :: v_dual_mul_f32 v37, v9, v214
	s_wait_dscnt 0x6
	v_dual_sub_f32 v6, v180, v221 :: v_dual_mul_f32 v9, v10, v216
	s_wait_dscnt 0x4
	v_sub_f32_e32 v10, v182, v225
	ds_bpermute_b32 v175, v2, v171 offset:48
	v_pk_add_f32 v[4:5], v[36:37], v[4:5]
	v_dual_mul_f32 v36, v12, v6 :: v_dual_mul_f32 v37, v13, v7
	v_dual_mov_b32 v6, v11 :: v_dual_mul_f32 v7, v173, v218
	s_delay_alu instid0(VALU_DEP_3)
	v_pk_add_f32 v[4:5], v[8:9], v[4:5]
	ds_bpermute_b32 v173, v2, v170 offset:48
	s_wait_dscnt 0x4
	v_dual_mul_f32 v9, v36, v220 :: v_dual_mul_f32 v11, v37, v222
	v_mov_b32_e32 v8, v12
	v_pk_add_f32 v[4:5], v[6:7], v[4:5]
	ds_bpermute_b32 v12, v2, v170 offset:52
	ds_bpermute_b32 v37, v2, v170 offset:56
	v_dual_mul_f32 v36, v14, v10 :: v_dual_mov_b32 v10, v13
	ds_bpermute_b32 v13, v2, v171 offset:44
	v_pk_add_f32 v[4:5], v[8:9], v[4:5]
	ds_bpermute_b32 v8, v2, v170 offset:60
	s_wait_dscnt 0x7
	v_dual_mul_f32 v7, v36, v224 :: v_dual_mov_b32 v6, v14
	ds_bpermute_b32 v14, v2, v171 offset:56
	v_pk_add_f32 v[4:5], v[10:11], v[4:5]
	ds_bpermute_b32 v11, v2, v171 offset:52
	s_wait_dscnt 0x8
	v_sub_f32_e32 v9, v185, v172
	ds_bpermute_b32 v36, v2, v170 offset:64
	s_wait_dscnt 0x7
	v_sub_f32_e32 v10, v184, v173
	v_pk_add_f32 v[4:5], v[6:7], v[4:5]
	v_dual_mul_f32 v9, v15, v9 :: v_dual_mov_b32 v6, v15
	ds_bpermute_b32 v15, v2, v171 offset:64
	v_mul_f32_e32 v10, v16, v10
	s_wait_dscnt 0x6
	v_dual_sub_f32 v12, v188, v12 :: v_dual_sub_f32 v37, v187, v37
	ds_bpermute_b32 v173, v2, v170 offset:72
	s_wait_dscnt 0x6
	v_dual_mul_f32 v7, v9, v13 :: v_dual_mul_f32 v9, v10, v175
	v_dual_mul_f32 v10, v17, v12 :: v_dual_mul_f32 v12, v18, v37
	ds_bpermute_b32 v13, v2, v171 offset:60
	ds_bpermute_b32 v37, v2, v170 offset:68
	s_wait_dscnt 0x7
	v_sub_f32_e32 v172, v189, v8
	v_pk_add_f32 v[4:5], v[6:7], v[4:5]
	s_wait_dscnt 0x5
	v_dual_mov_b32 v8, v16 :: v_dual_mul_f32 v7, v10, v11
	s_delay_alu instid0(VALU_DEP_3)
	v_dual_mul_f32 v11, v12, v14 :: v_dual_mul_f32 v12, v19, v172
	ds_bpermute_b32 v14, v2, v170 offset:76
	s_wait_dscnt 0x5
	v_dual_sub_f32 v10, v186, v36 :: v_dual_mov_b32 v6, v17
	v_pk_add_f32 v[4:5], v[8:9], v[4:5]
	ds_bpermute_b32 v16, v2, v171 offset:68
	ds_bpermute_b32 v17, v2, v171 offset:72
	v_dual_mul_f32 v8, v20, v10 :: v_dual_mov_b32 v10, v18
	v_pk_add_f32 v[4:5], v[6:7], v[4:5]
	ds_bpermute_b32 v18, v2, v170 offset:80
	s_wait_dscnt 0x7
	v_dual_mov_b32 v6, v19 :: v_dual_mul_f32 v9, v8, v15
	s_wait_dscnt 0x5
	v_mul_f32_e32 v7, v12, v13
	s_wait_dscnt 0x4
	v_sub_f32_e32 v8, v191, v37
	v_pk_add_f32 v[4:5], v[10:11], v[4:5]
	v_sub_f32_e32 v10, v190, v173
	ds_bpermute_b32 v11, v2, v171 offset:76
	ds_bpermute_b32 v13, v2, v170 offset:84
	v_mul_f32_e32 v12, v21, v8
	v_pk_add_f32 v[4:5], v[6:7], v[4:5]
	v_dual_mov_b32 v8, v20 :: v_dual_mul_f32 v10, v22, v10
	ds_bpermute_b32 v15, v2, v171 offset:80
	s_wait_dscnt 0x5
	v_dual_sub_f32 v14, v194, v14 :: v_dual_mul_f32 v7, v12, v16
	v_pk_add_f32 v[4:5], v[8:9], v[4:5]
	s_wait_dscnt 0x4
	v_dual_mov_b32 v6, v21 :: v_dual_mul_f32 v9, v10, v17
	s_delay_alu instid0(VALU_DEP_3)
	v_dual_mul_f32 v10, v23, v14 :: v_dual_mov_b32 v8, v22
	ds_bpermute_b32 v14, v2, v171 offset:84
	ds_bpermute_b32 v16, v2, v170 offset:88
	;; [unrolled: 1-line block ×3, first 2 shown]
	s_wait_dscnt 0x6
	v_sub_f32_e32 v12, v192, v18
	v_pk_add_f32 v[4:5], v[6:7], v[4:5]
	ds_bpermute_b32 v18, v2, v171 offset:108
	s_wait_dscnt 0x5
	v_dual_mul_f32 v7, v10, v11 :: v_dual_sub_f32 v11, v195, v13
	v_mul_f32_e32 v10, v24, v12
	v_pk_add_f32 v[4:5], v[8:9], v[4:5]
	v_mov_b32_e32 v6, v23
	ds_bpermute_b32 v12, v2, v170 offset:96
	ds_bpermute_b32 v13, v2, v171 offset:92
	s_wait_dscnt 0x6
	v_mul_f32_e32 v9, v10, v15
	v_dual_mul_f32 v10, v25, v11 :: v_dual_mov_b32 v8, v24
	ds_bpermute_b32 v11, v2, v171 offset:88
	v_pk_add_f32 v[4:5], v[6:7], v[4:5]
	ds_bpermute_b32 v15, v2, v170 offset:100
	s_wait_dscnt 0x7
	v_dual_mov_b32 v6, v25 :: v_dual_mul_f32 v7, v10, v14
	ds_bpermute_b32 v10, v2, v171 offset:96
	v_pk_add_f32 v[4:5], v[8:9], v[4:5]
	s_wait_dscnt 0x6
	v_dual_sub_f32 v8, v193, v16 :: v_dual_sub_f32 v9, v198, v17
	ds_bpermute_b32 v14, v2, v170 offset:104
	ds_bpermute_b32 v16, v2, v171 offset:100
	;; [unrolled: 1-line block ×3, first 2 shown]
	v_dual_mul_f32 v8, v26, v8 :: v_dual_mul_f32 v9, v27, v9
	v_pk_add_f32 v[4:5], v[6:7], v[4:5]
	s_wait_dscnt 0x7
	v_dual_sub_f32 v12, v196, v12 :: v_dual_mov_b32 v6, v26
	ds_bpermute_b32 v19, v2, v170 offset:116
	s_wait_dscnt 0x7
	v_mul_f32_e32 v9, v9, v13
	ds_bpermute_b32 v13, v2, v170 offset:112
	s_wait_dscnt 0x7
	v_mul_f32_e32 v7, v8, v11
	s_wait_dscnt 0x6
	v_dual_mul_f32 v11, v28, v12 :: v_dual_sub_f32 v12, v199, v15
	ds_bpermute_b32 v15, v2, v171 offset:104
	v_mov_b32_e32 v8, v27
	v_pk_add_f32 v[4:5], v[6:7], v[4:5]
	s_wait_dscnt 0x6
	v_dual_mul_f32 v7, v11, v10 :: v_dual_mov_b32 v6, v28
	v_mul_f32_e32 v12, v29, v12
	s_wait_dscnt 0x5
	v_sub_f32_e32 v10, v197, v14
	v_pk_add_f32 v[4:5], v[8:9], v[4:5]
	ds_bpermute_b32 v11, v2, v171 offset:112
	ds_bpermute_b32 v14, v2, v170 offset:120
	s_wait_dscnt 0x5
	v_dual_mul_f32 v9, v12, v16 :: v_dual_sub_f32 v12, v201, v17
	v_mul_f32_e32 v10, v30, v10
	v_pk_add_f32 v[4:5], v[6:7], v[4:5]
	v_mov_b32_e32 v8, v29
	ds_bpermute_b32 v16, v2, v171 offset:116
	s_wait_dscnt 0x4
	v_dual_sub_f32 v13, v200, v13 :: v_dual_mul_f32 v12, v31, v12
	v_mov_b32_e32 v6, v30
	v_pk_add_f32 v[4:5], v[8:9], v[4:5]
	s_wait_dscnt 0x3
	s_delay_alu instid0(VALU_DEP_3)
	v_dual_mul_f32 v7, v10, v15 :: v_dual_mul_f32 v10, v32, v13
	ds_bpermute_b32 v13, v2, v171 offset:120
	v_dual_mul_f32 v9, v12, v18 :: v_dual_sub_f32 v12, v203, v19
	v_pk_add_f32 v[4:5], v[6:7], v[4:5]
	v_dual_mov_b32 v8, v31 :: v_dual_mov_b32 v6, v32
	s_wait_dscnt 0x3
	s_delay_alu instid0(VALU_DEP_3)
	v_dual_mul_f32 v7, v10, v11 :: v_dual_mul_f32 v10, v33, v12
	ds_bpermute_b32 v175, v2, v171 offset:124
	v_pk_add_f32 v[8:9], v[8:9], v[4:5]
	s_wait_dscnt 0x3
	v_sub_f32_e32 v5, v202, v14
	ds_bpermute_b32 v4, v2, v170 offset:124
	s_wait_dscnt 0x3
	v_mul_f32_e32 v11, v10, v16
	v_pk_add_f32 v[6:7], v[6:7], v[8:9]
	v_dual_mov_b32 v10, v33 :: v_dual_mul_f32 v5, v34, v5
	s_wait_dscnt 0x2
	s_delay_alu instid0(VALU_DEP_1) | instskip(NEXT) | instid1(VALU_DEP_2)
	v_dual_mov_b32 v8, v34 :: v_dual_mul_f32 v9, v5, v13
	v_pk_add_f32 v[6:7], v[10:11], v[6:7]
	s_delay_alu instid0(VALU_DEP_1)
	v_pk_add_f32 v[172:173], v[8:9], v[6:7]
.LBB51_4:                               ;   in Loop: Header=BB51_5 Depth=1
	s_wait_dscnt 0x0
	v_sub_f32_e32 v3, v3, v4
	v_mov_b32_e32 v4, v35
	s_add_nc_u64 s[30:31], s[30:31], s[24:25]
	v_add_nc_u64_e32 v[42:43], s[26:27], v[42:43]
	v_cmp_lt_i64_e64 s20, s[30:31], s[4:5]
	v_mul_f32_e32 v3, v35, v3
	v_add_nc_u64_e32 v[44:45], s[26:27], v[44:45]
	v_add_nc_u64_e32 v[46:47], s[26:27], v[46:47]
	;; [unrolled: 1-line block ×4, first 2 shown]
	v_mul_f32_e32 v5, v3, v175
	v_add_nc_u64_e32 v[52:53], s[26:27], v[52:53]
	v_add_nc_u64_e32 v[54:55], s[26:27], v[54:55]
	;; [unrolled: 1-line block ×60, first 2 shown]
	v_pk_add_f32 v[36:37], v[172:173], v[4:5]
	s_and_b32 vcc_lo, exec_lo, s20
	s_add_nc_u64 s[28:29], s[28:29], s[24:25]
	s_cbranch_vccz .LBB51_141
.LBB51_5:                               ; =>This Inner Loop Header: Depth=1
	s_add_nc_u64 s[34:35], s[18:19], s[28:29]
	s_delay_alu instid0(VALU_DEP_2)
	v_add_nc_u64_e32 v[170:171], s[18:19], v[38:39]
	v_cmp_ge_i64_e64 s20, s[34:35], s[4:5]
                                        ; implicit-def: $vgpr4_vgpr5_vgpr6_vgpr7_vgpr8_vgpr9_vgpr10_vgpr11_vgpr12_vgpr13_vgpr14_vgpr15_vgpr16_vgpr17_vgpr18_vgpr19_vgpr20_vgpr21_vgpr22_vgpr23_vgpr24_vgpr25_vgpr26_vgpr27_vgpr28_vgpr29_vgpr30_vgpr31_vgpr32_vgpr33_vgpr34_vgpr35
                                        ; implicit-def: $vgpr172_vgpr173
                                        ; implicit-def: $vgpr175
                                        ; implicit-def: $vgpr3
                                        ; implicit-def: $vgpr4
	s_and_b32 vcc_lo, exec_lo, s20
	s_mov_b32 s20, -1
	s_cbranch_vccz .LBB51_73
; %bb.6:                                ;   in Loop: Header=BB51_5 Depth=1
	s_load_b32 s20, s[22:23], 0xc
	v_dual_mov_b32 v175, 0 :: v_dual_mov_b32 v173, 0
	v_mov_b32_e32 v172, 0
	s_wait_kmcnt 0x0
	s_and_b32 s20, s20, 0xffff
	s_delay_alu instid0(SALU_CYCLE_1) | instskip(SKIP_2) | instid1(VALU_DEP_2)
	v_mad_u32_u24 v3, v1, s20, v174
	v_mov_b32_e32 v5, v2
	s_mov_b32 s20, exec_lo
	v_and_b32_e32 v4, 31, v3
	s_delay_alu instid0(VALU_DEP_1) | instskip(NEXT) | instid1(VALU_DEP_1)
	v_add_nc_u64_e32 v[4:5], v[170:171], v[4:5]
	v_cmpx_gt_i64_e64 s[4:5], v[4:5]
	s_cbranch_execz .LBB51_8
; %bb.7:                                ;   in Loop: Header=BB51_5 Depth=1
	v_lshlrev_b64_e32 v[4:5], 2, v[4:5]
	s_delay_alu instid0(VALU_DEP_1)
	v_add_nc_u64_e32 v[6:7], s[12:13], v[4:5]
	v_add_nc_u64_e32 v[4:5], s[14:15], v[4:5]
	global_load_b32 v172, v[6:7], off
	global_load_b32 v173, v[4:5], off
.LBB51_8:                               ;   in Loop: Header=BB51_5 Depth=1
	s_wait_xcnt 0x0
	s_or_b32 exec_lo, exec_lo, s20
	v_dual_mov_b32 v31, v2 :: v_dual_mov_b32 v32, v2
	v_dual_mov_b32 v33, v2 :: v_dual_mov_b32 v3, v2
	;; [unrolled: 1-line block ×15, first 2 shown]
	v_mov_b32_e32 v30, v2
	v_cmp_gt_i64_e32 vcc_lo, s[4:5], v[170:171]
	v_mov_b64_e32 v[34:35], v[32:33]
	s_delay_alu instid0(VALU_DEP_3)
	v_mov_b64_e32 v[32:33], v[30:31]
	v_mov_b64_e32 v[30:31], v[28:29]
	;; [unrolled: 1-line block ×15, first 2 shown]
	s_and_b32 s34, s2, vcc_lo
	s_delay_alu instid0(SALU_CYCLE_1)
	s_and_saveexec_b32 s20, s34
	s_cbranch_execz .LBB51_10
; %bb.9:                                ;   in Loop: Header=BB51_5 Depth=1
	v_add_nc_u64_e32 v[6:7], v[42:43], v[40:41]
	v_add_nc_u64_e32 v[8:9], v[44:45], v[40:41]
	v_dual_mov_b32 v5, v2 :: v_dual_mov_b32 v11, v2
	v_dual_mov_b32 v12, v2 :: v_dual_mov_b32 v13, v2
	v_mov_b32_e32 v14, v2
	global_load_b32 v4, v[6:7], off
	global_load_b32 v175, v[8:9], off
	s_wait_xcnt 0x1
	v_dual_mov_b32 v6, v2 :: v_dual_mov_b32 v7, v2
	s_wait_xcnt 0x0
	v_dual_mov_b32 v8, v2 :: v_dual_mov_b32 v9, v2
	v_dual_mov_b32 v10, v2 :: v_dual_mov_b32 v15, v2
	v_dual_mov_b32 v16, v2 :: v_dual_mov_b32 v17, v2
	v_dual_mov_b32 v18, v2 :: v_dual_mov_b32 v19, v2
	v_dual_mov_b32 v20, v2 :: v_dual_mov_b32 v21, v2
	v_dual_mov_b32 v22, v2 :: v_dual_mov_b32 v23, v2
	v_dual_mov_b32 v24, v2 :: v_dual_mov_b32 v25, v2
	v_dual_mov_b32 v26, v2 :: v_dual_mov_b32 v27, v2
	v_dual_mov_b32 v28, v2 :: v_dual_mov_b32 v29, v2
	v_dual_mov_b32 v30, v2 :: v_dual_mov_b32 v31, v2
	v_dual_mov_b32 v32, v2 :: v_dual_mov_b32 v33, v2
	v_dual_mov_b32 v34, v2 :: v_dual_mov_b32 v35, v2
.LBB51_10:                              ;   in Loop: Header=BB51_5 Depth=1
	s_or_b32 exec_lo, exec_lo, s20
	v_add_nc_u64_e32 v[176:177], 1, v[170:171]
	s_delay_alu instid0(VALU_DEP_1) | instskip(SKIP_2) | instid1(SALU_CYCLE_1)
	v_cmp_gt_i64_e32 vcc_lo, s[4:5], v[176:177]
	v_dual_mov_b32 v176, 0 :: v_dual_mov_b32 v177, 0
	s_and_b32 s34, s2, vcc_lo
	s_and_saveexec_b32 s20, s34
	s_cbranch_execz .LBB51_12
; %bb.11:                               ;   in Loop: Header=BB51_5 Depth=1
	v_add_nc_u64_e32 v[178:179], v[166:167], v[40:41]
	v_add_nc_u64_e32 v[180:181], v[168:169], v[40:41]
	global_load_b32 v5, v[178:179], off
	global_load_b32 v177, v[180:181], off
.LBB51_12:                              ;   in Loop: Header=BB51_5 Depth=1
	s_wait_xcnt 0x0
	s_or_b32 exec_lo, exec_lo, s20
	v_add_nc_u64_e32 v[178:179], 2, v[170:171]
	s_delay_alu instid0(VALU_DEP_1) | instskip(SKIP_1) | instid1(SALU_CYCLE_1)
	v_cmp_gt_i64_e32 vcc_lo, s[4:5], v[178:179]
	s_and_b32 s34, s2, vcc_lo
	s_and_saveexec_b32 s20, s34
	s_cbranch_execz .LBB51_14
; %bb.13:                               ;   in Loop: Header=BB51_5 Depth=1
	v_add_nc_u64_e32 v[178:179], v[162:163], v[40:41]
	v_add_nc_u64_e32 v[180:181], v[164:165], v[40:41]
	global_load_b32 v6, v[178:179], off
	global_load_b32 v176, v[180:181], off
.LBB51_14:                              ;   in Loop: Header=BB51_5 Depth=1
	s_wait_xcnt 0x0
	s_or_b32 exec_lo, exec_lo, s20
	v_add_nc_u64_e32 v[178:179], 3, v[170:171]
	s_delay_alu instid0(VALU_DEP_1) | instskip(SKIP_2) | instid1(SALU_CYCLE_1)
	v_cmp_gt_i64_e32 vcc_lo, s[4:5], v[178:179]
	v_dual_mov_b32 v178, 0 :: v_dual_mov_b32 v179, 0
	s_and_b32 s34, s2, vcc_lo
	s_and_saveexec_b32 s20, s34
	s_cbranch_execz .LBB51_16
; %bb.15:                               ;   in Loop: Header=BB51_5 Depth=1
	v_add_nc_u64_e32 v[180:181], v[158:159], v[40:41]
	v_add_nc_u64_e32 v[182:183], v[160:161], v[40:41]
	global_load_b32 v7, v[180:181], off
	global_load_b32 v179, v[182:183], off
.LBB51_16:                              ;   in Loop: Header=BB51_5 Depth=1
	s_wait_xcnt 0x0
	s_or_b32 exec_lo, exec_lo, s20
	v_add_nc_u64_e32 v[180:181], 4, v[170:171]
	s_delay_alu instid0(VALU_DEP_1) | instskip(SKIP_1) | instid1(SALU_CYCLE_1)
	v_cmp_gt_i64_e32 vcc_lo, s[4:5], v[180:181]
	s_and_b32 s34, s2, vcc_lo
	s_and_saveexec_b32 s20, s34
	s_cbranch_execz .LBB51_18
; %bb.17:                               ;   in Loop: Header=BB51_5 Depth=1
	v_add_nc_u64_e32 v[180:181], v[154:155], v[40:41]
	v_add_nc_u64_e32 v[182:183], v[156:157], v[40:41]
	global_load_b32 v8, v[180:181], off
	global_load_b32 v178, v[182:183], off
.LBB51_18:                              ;   in Loop: Header=BB51_5 Depth=1
	s_wait_xcnt 0x0
	;; [unrolled: 29-line block ×9, first 2 shown]
	s_or_b32 exec_lo, exec_lo, s20
	v_add_nc_u64_e32 v[194:195], 19, v[170:171]
	v_mov_b32_e32 v196, 0
	s_delay_alu instid0(VALU_DEP_2) | instskip(SKIP_2) | instid1(SALU_CYCLE_1)
	v_cmp_gt_i64_e32 vcc_lo, s[4:5], v[194:195]
	v_mov_b32_e32 v194, 0
	s_and_b32 s34, s2, vcc_lo
	s_and_saveexec_b32 s20, s34
	s_cbranch_execz .LBB51_48
; %bb.47:                               ;   in Loop: Header=BB51_5 Depth=1
	v_add_nc_u64_e32 v[198:199], v[94:95], v[40:41]
	v_add_nc_u64_e32 v[200:201], v[96:97], v[40:41]
	global_load_b32 v23, v[198:199], off
	global_load_b32 v196, v[200:201], off
.LBB51_48:                              ;   in Loop: Header=BB51_5 Depth=1
	s_wait_xcnt 0x0
	s_or_b32 exec_lo, exec_lo, s20
	v_add_nc_u64_e32 v[198:199], 20, v[170:171]
	s_delay_alu instid0(VALU_DEP_1) | instskip(SKIP_1) | instid1(SALU_CYCLE_1)
	v_cmp_gt_i64_e32 vcc_lo, s[4:5], v[198:199]
	s_and_b32 s34, s2, vcc_lo
	s_and_saveexec_b32 s20, s34
	s_cbranch_execz .LBB51_50
; %bb.49:                               ;   in Loop: Header=BB51_5 Depth=1
	v_add_nc_u64_e32 v[198:199], v[90:91], v[40:41]
	v_add_nc_u64_e32 v[200:201], v[92:93], v[40:41]
	global_load_b32 v24, v[198:199], off
	global_load_b32 v194, v[200:201], off
.LBB51_50:                              ;   in Loop: Header=BB51_5 Depth=1
	s_wait_xcnt 0x0
	s_or_b32 exec_lo, exec_lo, s20
	v_add_nc_u64_e32 v[198:199], 21, v[170:171]
	v_dual_mov_b32 v195, 0 :: v_dual_mov_b32 v197, 0
	s_delay_alu instid0(VALU_DEP_2) | instskip(SKIP_1) | instid1(SALU_CYCLE_1)
	v_cmp_gt_i64_e32 vcc_lo, s[4:5], v[198:199]
	s_and_b32 s34, s2, vcc_lo
	s_and_saveexec_b32 s20, s34
	s_cbranch_execz .LBB51_52
; %bb.51:                               ;   in Loop: Header=BB51_5 Depth=1
	v_add_nc_u64_e32 v[198:199], v[86:87], v[40:41]
	v_add_nc_u64_e32 v[200:201], v[88:89], v[40:41]
	global_load_b32 v25, v[198:199], off
	global_load_b32 v197, v[200:201], off
.LBB51_52:                              ;   in Loop: Header=BB51_5 Depth=1
	s_wait_xcnt 0x0
	s_or_b32 exec_lo, exec_lo, s20
	v_add_nc_u64_e32 v[198:199], 22, v[170:171]
	s_delay_alu instid0(VALU_DEP_1) | instskip(SKIP_1) | instid1(SALU_CYCLE_1)
	v_cmp_gt_i64_e32 vcc_lo, s[4:5], v[198:199]
	s_and_b32 s34, s2, vcc_lo
	s_and_saveexec_b32 s20, s34
	s_cbranch_execz .LBB51_54
; %bb.53:                               ;   in Loop: Header=BB51_5 Depth=1
	v_add_nc_u64_e32 v[198:199], v[82:83], v[40:41]
	v_add_nc_u64_e32 v[200:201], v[84:85], v[40:41]
	global_load_b32 v26, v[198:199], off
	global_load_b32 v195, v[200:201], off
.LBB51_54:                              ;   in Loop: Header=BB51_5 Depth=1
	s_wait_xcnt 0x0
	s_or_b32 exec_lo, exec_lo, s20
	v_add_nc_u64_e32 v[198:199], 23, v[170:171]
	s_delay_alu instid0(VALU_DEP_1) | instskip(SKIP_2) | instid1(SALU_CYCLE_1)
	v_cmp_gt_i64_e32 vcc_lo, s[4:5], v[198:199]
	v_dual_mov_b32 v198, 0 :: v_dual_mov_b32 v199, 0
	s_and_b32 s34, s2, vcc_lo
	s_and_saveexec_b32 s20, s34
	s_cbranch_execz .LBB51_56
; %bb.55:                               ;   in Loop: Header=BB51_5 Depth=1
	v_add_nc_u64_e32 v[200:201], v[78:79], v[40:41]
	v_add_nc_u64_e32 v[202:203], v[80:81], v[40:41]
	global_load_b32 v27, v[200:201], off
	global_load_b32 v199, v[202:203], off
.LBB51_56:                              ;   in Loop: Header=BB51_5 Depth=1
	s_wait_xcnt 0x0
	s_or_b32 exec_lo, exec_lo, s20
	v_add_nc_u64_e32 v[200:201], 24, v[170:171]
	s_delay_alu instid0(VALU_DEP_1) | instskip(SKIP_1) | instid1(SALU_CYCLE_1)
	v_cmp_gt_i64_e32 vcc_lo, s[4:5], v[200:201]
	s_and_b32 s34, s2, vcc_lo
	s_and_saveexec_b32 s20, s34
	s_cbranch_execz .LBB51_58
; %bb.57:                               ;   in Loop: Header=BB51_5 Depth=1
	v_add_nc_u64_e32 v[200:201], v[74:75], v[40:41]
	v_add_nc_u64_e32 v[202:203], v[76:77], v[40:41]
	global_load_b32 v28, v[200:201], off
	global_load_b32 v198, v[202:203], off
.LBB51_58:                              ;   in Loop: Header=BB51_5 Depth=1
	s_wait_xcnt 0x0
	s_or_b32 exec_lo, exec_lo, s20
	v_add_nc_u64_e32 v[200:201], 25, v[170:171]
	s_delay_alu instid0(VALU_DEP_1) | instskip(SKIP_2) | instid1(SALU_CYCLE_1)
	v_cmp_gt_i64_e32 vcc_lo, s[4:5], v[200:201]
	v_dual_mov_b32 v200, 0 :: v_dual_mov_b32 v201, 0
	;; [unrolled: 29-line block ×4, first 2 shown]
	s_and_b32 s34, s2, vcc_lo
	s_and_saveexec_b32 s20, s34
	s_cbranch_execz .LBB51_68
; %bb.67:                               ;   in Loop: Header=BB51_5 Depth=1
	v_add_nc_u64_e32 v[206:207], v[54:55], v[40:41]
	v_add_nc_u64_e32 v[208:209], v[56:57], v[40:41]
	global_load_b32 v33, v[206:207], off
	global_load_b32 v205, v[208:209], off
.LBB51_68:                              ;   in Loop: Header=BB51_5 Depth=1
	s_wait_xcnt 0x0
	s_or_b32 exec_lo, exec_lo, s20
	v_add_nc_u64_e32 v[206:207], 30, v[170:171]
	s_delay_alu instid0(VALU_DEP_1) | instskip(SKIP_1) | instid1(SALU_CYCLE_1)
	v_cmp_gt_i64_e32 vcc_lo, s[4:5], v[206:207]
	s_and_b32 s34, s2, vcc_lo
	s_and_saveexec_b32 s20, s34
	s_cbranch_execz .LBB51_70
; %bb.69:                               ;   in Loop: Header=BB51_5 Depth=1
	v_add_nc_u64_e32 v[206:207], v[50:51], v[40:41]
	v_add_nc_u64_e32 v[208:209], v[52:53], v[40:41]
	global_load_b32 v34, v[206:207], off
	global_load_b32 v204, v[208:209], off
.LBB51_70:                              ;   in Loop: Header=BB51_5 Depth=1
	s_wait_xcnt 0x0
	s_or_b32 exec_lo, exec_lo, s20
	v_add_nc_u64_e32 v[206:207], 31, v[170:171]
	v_mov_b32_e32 v3, 0
	s_delay_alu instid0(VALU_DEP_2) | instskip(SKIP_1) | instid1(SALU_CYCLE_1)
	v_cmp_gt_i64_e32 vcc_lo, s[4:5], v[206:207]
	s_and_b32 s34, s2, vcc_lo
	s_and_saveexec_b32 s20, s34
	s_cbranch_execz .LBB51_72
; %bb.71:                               ;   in Loop: Header=BB51_5 Depth=1
	v_add_nc_u64_e32 v[206:207], v[46:47], v[40:41]
	v_add_nc_u64_e32 v[208:209], v[48:49], v[40:41]
	global_load_b32 v35, v[206:207], off
	global_load_b32 v3, v[208:209], off
.LBB51_72:                              ;   in Loop: Header=BB51_5 Depth=1
	s_wait_xcnt 0x0
	s_or_b32 exec_lo, exec_lo, s20
	s_wait_loadcnt 0x1
	ds_bpermute_b32 v206, v2, v172
	ds_bpermute_b32 v208, v2, v172 offset:4
	s_wait_loadcnt 0x0
	ds_bpermute_b32 v207, v2, v173
	ds_bpermute_b32 v211, v2, v172 offset:8
	ds_bpermute_b32 v209, v2, v173 offset:4
	;; [unrolled: 1-line block ×17, first 2 shown]
	s_wait_dscnt 0x13
	v_dual_sub_f32 v175, v175, v206 :: v_dual_mov_b32 v206, v4
	s_wait_dscnt 0x12
	v_sub_f32_e32 v177, v177, v208
	ds_bpermute_b32 v224, v2, v173 offset:36
	ds_bpermute_b32 v226, v2, v173 offset:40
	v_dual_mul_f32 v175, v4, v175 :: v_dual_mov_b32 v4, v5
	s_wait_dscnt 0x12
	v_dual_mov_b32 v208, v6 :: v_dual_sub_f32 v211, v176, v211
	s_delay_alu instid0(VALU_DEP_2) | instskip(SKIP_2) | instid1(VALU_DEP_3)
	v_dual_mul_f32 v5, v5, v177 :: v_dual_mul_f32 v207, v175, v207
	v_mov_b32_e32 v176, v7
	s_wait_dscnt 0x10
	v_dual_sub_f32 v175, v179, v213 :: v_dual_mul_f32 v177, v6, v211
	s_delay_alu instid0(VALU_DEP_3)
	v_mul_f32_e32 v5, v5, v209
	v_pk_add_f32 v[206:207], v[36:37], v[206:207]
	s_wait_dscnt 0xe
	v_dual_mov_b32 v6, v8 :: v_dual_sub_f32 v179, v178, v215
	v_dual_mul_f32 v209, v177, v210 :: v_dual_mul_f32 v7, v7, v175
	v_mov_b32_e32 v178, v9
	v_pk_add_f32 v[4:5], v[4:5], v[206:207]
	s_wait_dscnt 0xc
	v_dual_sub_f32 v175, v181, v217 :: v_dual_mul_f32 v179, v8, v179
	v_dual_mul_f32 v177, v7, v212 :: v_dual_mov_b32 v8, v10
	s_delay_alu instid0(VALU_DEP_3) | instskip(SKIP_1) | instid1(VALU_DEP_3)
	v_pk_add_f32 v[4:5], v[208:209], v[4:5]
	s_wait_dscnt 0xa
	v_dual_sub_f32 v180, v180, v219 :: v_dual_mul_f32 v7, v179, v214
	v_mul_f32_e32 v9, v9, v175
	ds_bpermute_b32 v175, v2, v172 offset:44
	v_pk_add_f32 v[4:5], v[176:177], v[4:5]
	s_wait_dscnt 0x9
	v_dual_sub_f32 v176, v183, v221 :: v_dual_mul_f32 v10, v10, v180
	v_mul_f32_e32 v179, v9, v216
	s_mov_b32 s20, 0
	v_pk_add_f32 v[4:5], v[6:7], v[4:5]
	s_wait_dscnt 0x6
	v_dual_sub_f32 v6, v182, v223 :: v_dual_sub_f32 v7, v185, v225
	v_dual_mul_f32 v176, v11, v176 :: v_dual_mul_f32 v9, v10, v218
	s_delay_alu instid0(VALU_DEP_3)
	v_pk_add_f32 v[4:5], v[178:179], v[4:5]
	s_wait_dscnt 0x4
	v_sub_f32_e32 v10, v184, v227
	v_dual_mul_f32 v177, v12, v6 :: v_dual_mul_f32 v178, v13, v7
	v_mul_f32_e32 v7, v176, v220
	v_pk_add_f32 v[4:5], v[8:9], v[4:5]
	v_mov_b32_e32 v6, v11
	ds_bpermute_b32 v176, v2, v172 offset:48
	s_wait_dscnt 0x3
	v_dual_mul_f32 v9, v177, v222 :: v_dual_mul_f32 v11, v178, v224
	v_mov_b32_e32 v8, v12
	v_pk_add_f32 v[4:5], v[6:7], v[4:5]
	ds_bpermute_b32 v12, v2, v172 offset:52
	ds_bpermute_b32 v178, v2, v172 offset:56
	v_dual_mul_f32 v177, v14, v10 :: v_dual_mov_b32 v10, v13
	ds_bpermute_b32 v13, v2, v173 offset:44
	ds_bpermute_b32 v179, v2, v173 offset:48
	v_pk_add_f32 v[4:5], v[8:9], v[4:5]
	s_wait_dscnt 0x5
	v_dual_mul_f32 v7, v177, v226 :: v_dual_sub_f32 v9, v187, v175
	ds_bpermute_b32 v8, v2, v172 offset:60
	v_mov_b32_e32 v6, v14
	v_pk_add_f32 v[4:5], v[10:11], v[4:5]
	ds_bpermute_b32 v11, v2, v173 offset:52
	ds_bpermute_b32 v14, v2, v173 offset:56
	;; [unrolled: 1-line block ×3, first 2 shown]
	s_wait_dscnt 0x8
	v_dual_sub_f32 v10, v186, v176 :: v_dual_mul_f32 v9, v15, v9
	v_pk_add_f32 v[4:5], v[6:7], v[4:5]
	v_mov_b32_e32 v6, v15
	ds_bpermute_b32 v15, v2, v173 offset:64
	s_wait_dscnt 0x7
	v_dual_sub_f32 v12, v189, v12 :: v_dual_sub_f32 v176, v188, v178
	v_mul_f32_e32 v10, v16, v10
	ds_bpermute_b32 v178, v2, v172 offset:72
	s_wait_dscnt 0x7
	v_mul_f32_e32 v7, v9, v13
	ds_bpermute_b32 v13, v2, v173 offset:60
	s_wait_dscnt 0x7
	v_dual_mul_f32 v9, v10, v179 :: v_dual_mul_f32 v10, v17, v12
	v_mul_f32_e32 v12, v18, v176
	ds_bpermute_b32 v176, v2, v172 offset:68
	s_wait_dscnt 0x7
	v_sub_f32_e32 v177, v191, v8
	v_pk_add_f32 v[4:5], v[6:7], v[4:5]
	s_wait_dscnt 0x6
	v_dual_mov_b32 v8, v16 :: v_dual_mul_f32 v7, v10, v11
	s_wait_dscnt 0x5
	v_dual_mul_f32 v11, v12, v14 :: v_dual_mul_f32 v12, v19, v177
	ds_bpermute_b32 v14, v2, v172 offset:76
	s_wait_dscnt 0x5
	v_dual_sub_f32 v10, v190, v175 :: v_dual_mov_b32 v6, v17
	v_pk_add_f32 v[4:5], v[8:9], v[4:5]
	ds_bpermute_b32 v16, v2, v173 offset:68
	ds_bpermute_b32 v17, v2, v173 offset:72
	v_dual_mul_f32 v8, v20, v10 :: v_dual_mov_b32 v10, v18
	v_pk_add_f32 v[4:5], v[6:7], v[4:5]
	ds_bpermute_b32 v18, v2, v172 offset:80
	s_wait_dscnt 0x5
	v_mul_f32_e32 v7, v12, v13
	v_dual_mul_f32 v9, v8, v15 :: v_dual_mov_b32 v6, v19
	s_wait_dscnt 0x4
	v_sub_f32_e32 v8, v193, v176
	v_pk_add_f32 v[4:5], v[10:11], v[4:5]
	v_sub_f32_e32 v10, v192, v178
	ds_bpermute_b32 v11, v2, v173 offset:76
	ds_bpermute_b32 v13, v2, v172 offset:84
	v_mul_f32_e32 v12, v21, v8
	v_pk_add_f32 v[4:5], v[6:7], v[4:5]
	v_dual_mov_b32 v8, v20 :: v_dual_mul_f32 v10, v22, v10
	ds_bpermute_b32 v15, v2, v173 offset:80
	s_wait_dscnt 0x6
	v_dual_sub_f32 v14, v196, v14 :: v_dual_mov_b32 v6, v21
	s_wait_dscnt 0x5
	v_mul_f32_e32 v7, v12, v16
	v_pk_add_f32 v[4:5], v[8:9], v[4:5]
	s_wait_dscnt 0x4
	v_dual_mul_f32 v9, v10, v17 :: v_dual_mul_f32 v10, v23, v14
	v_mov_b32_e32 v8, v22
	ds_bpermute_b32 v14, v2, v173 offset:84
	ds_bpermute_b32 v16, v2, v172 offset:88
	;; [unrolled: 1-line block ×3, first 2 shown]
	s_wait_dscnt 0x6
	v_sub_f32_e32 v12, v194, v18
	v_pk_add_f32 v[4:5], v[6:7], v[4:5]
	ds_bpermute_b32 v18, v2, v173 offset:108
	s_wait_dscnt 0x5
	v_dual_mul_f32 v7, v10, v11 :: v_dual_sub_f32 v11, v197, v13
	v_mul_f32_e32 v10, v24, v12
	v_pk_add_f32 v[4:5], v[8:9], v[4:5]
	v_mov_b32_e32 v6, v23
	ds_bpermute_b32 v12, v2, v172 offset:96
	ds_bpermute_b32 v13, v2, v173 offset:92
	s_wait_dscnt 0x6
	v_mul_f32_e32 v9, v10, v15
	v_dual_mul_f32 v10, v25, v11 :: v_dual_mov_b32 v8, v24
	ds_bpermute_b32 v11, v2, v173 offset:88
	v_pk_add_f32 v[4:5], v[6:7], v[4:5]
	ds_bpermute_b32 v15, v2, v172 offset:100
	s_wait_dscnt 0x7
	v_dual_mov_b32 v6, v25 :: v_dual_mul_f32 v7, v10, v14
	ds_bpermute_b32 v10, v2, v173 offset:96
	v_pk_add_f32 v[4:5], v[8:9], v[4:5]
	s_wait_dscnt 0x7
	v_sub_f32_e32 v8, v195, v16
	s_wait_dscnt 0x6
	v_sub_f32_e32 v9, v199, v17
	ds_bpermute_b32 v14, v2, v172 offset:104
	ds_bpermute_b32 v16, v2, v173 offset:100
	;; [unrolled: 1-line block ×3, first 2 shown]
	v_dual_mul_f32 v8, v26, v8 :: v_dual_mul_f32 v9, v27, v9
	v_pk_add_f32 v[4:5], v[6:7], v[4:5]
	s_wait_dscnt 0x7
	v_sub_f32_e32 v12, v198, v12
	v_mov_b32_e32 v6, v26
	ds_bpermute_b32 v19, v2, v172 offset:116
	s_wait_dscnt 0x7
	v_mul_f32_e32 v9, v9, v13
	ds_bpermute_b32 v13, v2, v172 offset:112
	s_wait_dscnt 0x7
	v_mul_f32_e32 v7, v8, v11
	s_wait_dscnt 0x6
	v_dual_mul_f32 v11, v28, v12 :: v_dual_sub_f32 v12, v201, v15
	ds_bpermute_b32 v15, v2, v173 offset:104
	v_mov_b32_e32 v8, v27
	v_pk_add_f32 v[4:5], v[6:7], v[4:5]
	s_wait_dscnt 0x6
	v_dual_mul_f32 v7, v11, v10 :: v_dual_mov_b32 v6, v28
	s_wait_dscnt 0x5
	v_dual_mul_f32 v12, v29, v12 :: v_dual_sub_f32 v10, v200, v14
	v_pk_add_f32 v[4:5], v[8:9], v[4:5]
	ds_bpermute_b32 v11, v2, v173 offset:112
	ds_bpermute_b32 v14, v2, v172 offset:120
	s_wait_dscnt 0x5
	v_dual_mul_f32 v9, v12, v16 :: v_dual_sub_f32 v12, v203, v17
	v_mul_f32_e32 v10, v30, v10
	v_pk_add_f32 v[4:5], v[6:7], v[4:5]
	v_mov_b32_e32 v8, v29
	ds_bpermute_b32 v16, v2, v173 offset:116
	s_wait_dscnt 0x4
	v_dual_mul_f32 v12, v31, v12 :: v_dual_sub_f32 v13, v202, v13
	v_mov_b32_e32 v6, v30
	v_pk_add_f32 v[4:5], v[8:9], v[4:5]
	ds_bpermute_b32 v175, v2, v173 offset:124
	s_wait_dscnt 0x4
	v_dual_mul_f32 v9, v12, v18 :: v_dual_mul_f32 v7, v10, v15
	v_mul_f32_e32 v10, v32, v13
	ds_bpermute_b32 v13, v2, v173 offset:120
	v_dual_sub_f32 v12, v205, v19 :: v_dual_mov_b32 v8, v31
	v_pk_add_f32 v[4:5], v[6:7], v[4:5]
	s_wait_dscnt 0x4
	v_dual_mul_f32 v7, v10, v11 :: v_dual_mov_b32 v6, v32
	s_delay_alu instid0(VALU_DEP_3) | instskip(NEXT) | instid1(VALU_DEP_3)
	v_mul_f32_e32 v10, v33, v12
	v_pk_add_f32 v[8:9], v[8:9], v[4:5]
	s_wait_dscnt 0x3
	v_sub_f32_e32 v5, v204, v14
	ds_bpermute_b32 v4, v2, v172 offset:124
	s_wait_dscnt 0x3
	v_dual_mul_f32 v11, v10, v16 :: v_dual_mov_b32 v10, v33
	v_pk_add_f32 v[6:7], v[6:7], v[8:9]
	v_dual_mul_f32 v5, v34, v5 :: v_dual_mov_b32 v8, v34
	s_delay_alu instid0(VALU_DEP_2) | instskip(SKIP_1) | instid1(VALU_DEP_2)
	v_pk_add_f32 v[6:7], v[10:11], v[6:7]
	s_wait_dscnt 0x1
	v_mul_f32_e32 v9, v5, v13
	s_delay_alu instid0(VALU_DEP_1)
	v_pk_add_f32 v[172:173], v[8:9], v[6:7]
.LBB51_73:                              ;   in Loop: Header=BB51_5 Depth=1
	s_and_b32 vcc_lo, exec_lo, s20
	s_cbranch_vccz .LBB51_4
; %bb.74:                               ;   in Loop: Header=BB51_5 Depth=1
	s_load_b32 s20, s[22:23], 0x0
	v_mov_b32_e32 v172, 0
	s_wait_kmcnt 0x0
	s_cmp_lt_u32 s16, s20
	s_cselect_b32 s20, 12, 18
	s_delay_alu instid0(SALU_CYCLE_1)
	s_add_nc_u64 s[34:35], s[22:23], s[20:21]
	s_load_u16 s20, s[34:35], 0x0
	s_wait_kmcnt 0x0
	v_mad_u32_u24 v3, v1, s20, v174
	v_mov_b32_e32 v5, v2
	s_mov_b32 s20, exec_lo
	s_wait_dscnt 0x0
	s_delay_alu instid0(VALU_DEP_2) | instskip(NEXT) | instid1(VALU_DEP_1)
	v_and_b32_e32 v4, 31, v3
	v_add_nc_u64_e32 v[4:5], v[170:171], v[4:5]
	v_dual_mov_b32 v171, 0 :: v_dual_mov_b32 v170, 0
	s_delay_alu instid0(VALU_DEP_2)
	v_cmpx_gt_i64_e64 s[4:5], v[4:5]
	s_cbranch_execz .LBB51_76
; %bb.75:                               ;   in Loop: Header=BB51_5 Depth=1
	v_lshlrev_b64_e32 v[4:5], 2, v[4:5]
	s_delay_alu instid0(VALU_DEP_1)
	v_add_nc_u64_e32 v[6:7], s[12:13], v[4:5]
	v_add_nc_u64_e32 v[4:5], s[14:15], v[4:5]
	global_load_b32 v170, v[6:7], off
	global_load_b32 v171, v[4:5], off
.LBB51_76:                              ;   in Loop: Header=BB51_5 Depth=1
	s_wait_xcnt 0x0
	s_or_b32 exec_lo, exec_lo, s20
	v_dual_mov_b32 v31, v2 :: v_dual_mov_b32 v32, v2
	v_dual_mov_b32 v33, v2 :: v_dual_mov_b32 v3, v2
	;; [unrolled: 1-line block ×15, first 2 shown]
	v_mov_b32_e32 v30, v2
	v_mov_b64_e32 v[34:35], v[32:33]
	s_delay_alu instid0(VALU_DEP_2) | instskip(NEXT) | instid1(VALU_DEP_4)
	v_mov_b64_e32 v[32:33], v[30:31]
	v_mov_b64_e32 v[30:31], v[28:29]
	;; [unrolled: 1-line block ×15, first 2 shown]
	s_and_saveexec_b32 s20, s2
	s_cbranch_execz .LBB51_78
; %bb.77:                               ;   in Loop: Header=BB51_5 Depth=1
	v_add_nc_u64_e32 v[6:7], v[42:43], v[40:41]
	v_add_nc_u64_e32 v[8:9], v[44:45], v[40:41]
	v_dual_mov_b32 v5, v2 :: v_dual_mov_b32 v11, v2
	v_dual_mov_b32 v12, v2 :: v_dual_mov_b32 v13, v2
	v_mov_b32_e32 v14, v2
	global_load_b32 v4, v[6:7], off
	global_load_b32 v172, v[8:9], off
	s_wait_xcnt 0x1
	v_dual_mov_b32 v6, v2 :: v_dual_mov_b32 v7, v2
	s_wait_xcnt 0x0
	v_dual_mov_b32 v8, v2 :: v_dual_mov_b32 v9, v2
	v_dual_mov_b32 v10, v2 :: v_dual_mov_b32 v15, v2
	;; [unrolled: 1-line block ×12, first 2 shown]
.LBB51_78:                              ;   in Loop: Header=BB51_5 Depth=1
	s_or_b32 exec_lo, exec_lo, s20
	v_dual_mov_b32 v173, 0 :: v_dual_mov_b32 v175, 0
	s_and_saveexec_b32 s20, s2
	s_cbranch_execz .LBB51_80
; %bb.79:                               ;   in Loop: Header=BB51_5 Depth=1
	v_add_nc_u64_e32 v[176:177], v[166:167], v[40:41]
	v_add_nc_u64_e32 v[178:179], v[168:169], v[40:41]
	global_load_b32 v5, v[176:177], off
	global_load_b32 v175, v[178:179], off
.LBB51_80:                              ;   in Loop: Header=BB51_5 Depth=1
	s_wait_xcnt 0x0
	s_or_b32 exec_lo, exec_lo, s20
	s_and_saveexec_b32 s20, s2
	s_cbranch_execz .LBB51_82
; %bb.81:                               ;   in Loop: Header=BB51_5 Depth=1
	v_add_nc_u64_e32 v[176:177], v[162:163], v[40:41]
	v_add_nc_u64_e32 v[178:179], v[164:165], v[40:41]
	global_load_b32 v6, v[176:177], off
	global_load_b32 v173, v[178:179], off
.LBB51_82:                              ;   in Loop: Header=BB51_5 Depth=1
	s_wait_xcnt 0x0
	s_or_b32 exec_lo, exec_lo, s20
	v_dual_mov_b32 v176, 0 :: v_dual_mov_b32 v177, 0
	s_and_saveexec_b32 s20, s2
	s_cbranch_execz .LBB51_84
; %bb.83:                               ;   in Loop: Header=BB51_5 Depth=1
	v_add_nc_u64_e32 v[178:179], v[158:159], v[40:41]
	v_add_nc_u64_e32 v[180:181], v[160:161], v[40:41]
	global_load_b32 v7, v[178:179], off
	global_load_b32 v177, v[180:181], off
.LBB51_84:                              ;   in Loop: Header=BB51_5 Depth=1
	s_wait_xcnt 0x0
	s_or_b32 exec_lo, exec_lo, s20
	s_and_saveexec_b32 s20, s2
	s_cbranch_execz .LBB51_86
; %bb.85:                               ;   in Loop: Header=BB51_5 Depth=1
	v_add_nc_u64_e32 v[178:179], v[154:155], v[40:41]
	v_add_nc_u64_e32 v[180:181], v[156:157], v[40:41]
	global_load_b32 v8, v[178:179], off
	global_load_b32 v176, v[180:181], off
.LBB51_86:                              ;   in Loop: Header=BB51_5 Depth=1
	s_wait_xcnt 0x0
	;; [unrolled: 21-line block ×5, first 2 shown]
	s_or_b32 exec_lo, exec_lo, s20
	v_dual_mov_b32 v184, 0 :: v_dual_mov_b32 v185, 0
	s_and_saveexec_b32 s20, s2
	s_cbranch_execz .LBB51_100
; %bb.99:                               ;   in Loop: Header=BB51_5 Depth=1
	v_add_nc_u64_e32 v[186:187], v[126:127], v[40:41]
	v_add_nc_u64_e32 v[188:189], v[128:129], v[40:41]
	global_load_b32 v15, v[186:187], off
	global_load_b32 v185, v[188:189], off
.LBB51_100:                             ;   in Loop: Header=BB51_5 Depth=1
	s_wait_xcnt 0x0
	s_or_b32 exec_lo, exec_lo, s20
	s_and_saveexec_b32 s20, s2
	s_cbranch_execz .LBB51_102
; %bb.101:                              ;   in Loop: Header=BB51_5 Depth=1
	v_add_nc_u64_e32 v[186:187], v[122:123], v[40:41]
	v_add_nc_u64_e32 v[188:189], v[124:125], v[40:41]
	global_load_b32 v16, v[186:187], off
	global_load_b32 v184, v[188:189], off
.LBB51_102:                             ;   in Loop: Header=BB51_5 Depth=1
	s_wait_xcnt 0x0
	s_or_b32 exec_lo, exec_lo, s20
	v_dual_mov_b32 v187, 0 :: v_dual_mov_b32 v188, 0
	s_and_saveexec_b32 s20, s2
	s_cbranch_execz .LBB51_104
; %bb.103:                              ;   in Loop: Header=BB51_5 Depth=1
	v_add_nc_u64_e32 v[190:191], v[118:119], v[40:41]
	v_add_nc_u64_e32 v[192:193], v[120:121], v[40:41]
	global_load_b32 v17, v[190:191], off
	global_load_b32 v188, v[192:193], off
.LBB51_104:                             ;   in Loop: Header=BB51_5 Depth=1
	s_wait_xcnt 0x0
	s_or_b32 exec_lo, exec_lo, s20
	s_and_saveexec_b32 s20, s2
	s_cbranch_execz .LBB51_106
; %bb.105:                              ;   in Loop: Header=BB51_5 Depth=1
	v_add_nc_u64_e32 v[190:191], v[114:115], v[40:41]
	v_add_nc_u64_e32 v[192:193], v[116:117], v[40:41]
	global_load_b32 v18, v[190:191], off
	global_load_b32 v187, v[192:193], off
.LBB51_106:                             ;   in Loop: Header=BB51_5 Depth=1
	s_wait_xcnt 0x0
	s_or_b32 exec_lo, exec_lo, s20
	v_dual_mov_b32 v186, 0 :: v_dual_mov_b32 v189, 0
	s_and_saveexec_b32 s20, s2
	s_cbranch_execz .LBB51_108
; %bb.107:                              ;   in Loop: Header=BB51_5 Depth=1
	v_add_nc_u64_e32 v[190:191], v[110:111], v[40:41]
	v_add_nc_u64_e32 v[192:193], v[112:113], v[40:41]
	global_load_b32 v19, v[190:191], off
	global_load_b32 v189, v[192:193], off
.LBB51_108:                             ;   in Loop: Header=BB51_5 Depth=1
	;; [unrolled: 21-line block ×8, first 2 shown]
	s_wait_xcnt 0x0
	s_or_b32 exec_lo, exec_lo, s20
	s_and_saveexec_b32 s20, s2
	s_cbranch_execz .LBB51_134
; %bb.133:                              ;   in Loop: Header=BB51_5 Depth=1
	v_add_nc_u64_e32 v[202:203], v[58:59], v[40:41]
	v_add_nc_u64_e32 v[204:205], v[60:61], v[40:41]
	global_load_b32 v32, v[202:203], off
	global_load_b32 v200, v[204:205], off
.LBB51_134:                             ;   in Loop: Header=BB51_5 Depth=1
	s_wait_xcnt 0x0
	s_or_b32 exec_lo, exec_lo, s20
	v_dual_mov_b32 v202, 0 :: v_dual_mov_b32 v203, 0
	s_and_saveexec_b32 s20, s2
	s_cbranch_execnz .LBB51_137
; %bb.135:                              ;   in Loop: Header=BB51_5 Depth=1
	s_or_b32 exec_lo, exec_lo, s20
	s_and_saveexec_b32 s20, s2
	s_cbranch_execnz .LBB51_138
.LBB51_136:                             ;   in Loop: Header=BB51_5 Depth=1
	s_or_b32 exec_lo, exec_lo, s20
	v_mov_b32_e32 v3, 0
	s_and_saveexec_b32 s20, s2
	s_cbranch_execz .LBB51_3
	s_branch .LBB51_139
.LBB51_137:                             ;   in Loop: Header=BB51_5 Depth=1
	v_add_nc_u64_e32 v[204:205], v[54:55], v[40:41]
	v_add_nc_u64_e32 v[206:207], v[56:57], v[40:41]
	global_load_b32 v33, v[204:205], off
	global_load_b32 v203, v[206:207], off
	s_wait_xcnt 0x0
	s_or_b32 exec_lo, exec_lo, s20
	s_and_saveexec_b32 s20, s2
	s_cbranch_execz .LBB51_136
.LBB51_138:                             ;   in Loop: Header=BB51_5 Depth=1
	v_add_nc_u64_e32 v[204:205], v[50:51], v[40:41]
	v_add_nc_u64_e32 v[206:207], v[52:53], v[40:41]
	global_load_b32 v34, v[204:205], off
	global_load_b32 v202, v[206:207], off
	s_wait_xcnt 0x0
	s_or_b32 exec_lo, exec_lo, s20
	v_mov_b32_e32 v3, 0
	s_and_saveexec_b32 s20, s2
	s_cbranch_execz .LBB51_3
.LBB51_139:                             ;   in Loop: Header=BB51_5 Depth=1
	v_add_nc_u64_e32 v[204:205], v[46:47], v[40:41]
	v_add_nc_u64_e32 v[206:207], v[48:49], v[40:41]
	global_load_b32 v35, v[204:205], off
	global_load_b32 v3, v[206:207], off
	s_branch .LBB51_3
.LBB51_140:
                                        ; implicit-def: $vgpr37
	s_branch .LBB51_142
.LBB51_141:
	s_cbranch_execnz .LBB51_217
.LBB51_142:
	v_mov_b32_e32 v37, 0
	s_and_not1_b32 vcc_lo, exec_lo, s17
	s_delay_alu instid0(VALU_DEP_1)
	v_mov_b32_e32 v36, v37
	s_cbranch_vccnz .LBB51_217
; %bb.143:
	v_bfe_u32 v1, v0, 10, 10
	v_mov_b32_e32 v2, 0
	s_set_vgpr_msb 64                       ;  msbs: dst=1 src0=0 src1=0 src2=0
	v_and_b32_e32 v40 /*v296*/, 0x3ff, v0
	s_load_b32 s2, s[0:1], 0x44
	s_add_nc_u64 s[20:21], s[0:1], 64
	s_set_vgpr_msb 0                        ;  msbs: dst=0 src0=0 src1=0 src2=0
	v_dual_mov_b32 v5, v2 :: v_dual_lshlrev_b32 v4, 7, v1
	v_dual_mov_b32 v147, v2 :: v_dual_lshlrev_b32 v146, 5, v1
	s_delay_alu instid0(VALU_DEP_2) | instskip(NEXT) | instid1(VALU_DEP_1)
	v_lshl_add_u64 v[4:5], s[18:19], 2, v[4:5]
	v_add_nc_u64_e32 v[6:7], 4, v[4:5]
	v_add_nc_u64_e32 v[8:9], 8, v[4:5]
	;; [unrolled: 1-line block ×7, first 2 shown]
	v_mad_nc_u64_u32 v[38:39], s6, v6, s[8:9]
	v_mul_lo_u32 v3, s6, v7
	v_mul_lo_u32 v7, s7, v6
	v_mad_nc_u64_u32 v[40:41], s6, v6, s[10:11]
	v_mad_nc_u64_u32 v[42:43], s6, v8, s[8:9]
	v_mul_lo_u32 v6, s6, v9
	v_mul_lo_u32 v9, s7, v8
	v_mad_nc_u64_u32 v[46:47], s6, v8, s[10:11]
	;; [unrolled: 4-line block ×4, first 2 shown]
	v_mad_nc_u64_u32 v[54:55], s6, v14, s[8:9]
	v_mul_lo_u32 v12, s6, v15
	v_add3_u32 v39, v7, v39, v3
	v_add3_u32 v41, v7, v41, v3
	v_mul_lo_u32 v3, s7, v14
	v_mad_nc_u64_u32 v[56:57], s6, v14, s[10:11]
	v_add3_u32 v43, v9, v43, v6
	v_add3_u32 v47, v9, v47, v6
	v_add_nc_u64_e32 v[6:7], 32, v[4:5]
	v_mul_lo_u32 v14, s7, v16
	v_mad_nc_u64_u32 v[58:59], s6, v16, s[8:9]
	v_mad_nc_u64_u32 v[60:61], s6, v16, s[10:11]
	v_mul_lo_u32 v15, s6, v19
	v_mul_lo_u32 v16, s7, v18
	v_mad_nc_u64_u32 v[62:63], s6, v18, s[8:9]
	v_mad_nc_u64_u32 v[64:65], s6, v18, s[10:11]
	v_add3_u32 v45, v11, v45, v8
	v_add3_u32 v49, v11, v49, v8
	;; [unrolled: 1-line block ×6, first 2 shown]
	v_mul_lo_u32 v3, s6, v7
	v_mul_lo_u32 v12, s7, v6
	v_mad_nc_u64_u32 v[66:67], s6, v6, s[8:9]
	v_add_nc_u64_e32 v[10:11], 40, v[4:5]
	v_mad_nc_u64_u32 v[68:69], s6, v6, s[10:11]
	v_add_nc_u64_e32 v[6:7], 44, v[4:5]
	v_add3_u32 v63, v16, v63, v15
	v_add3_u32 v65, v16, v65, v15
	v_mul_lo_u32 v9, s6, v17
	s_wait_kmcnt 0x0
	s_lshl_b32 s22, s2, 5
	v_mul_lo_u32 v11, s6, v11
	v_mul_lo_u32 v15, s7, v10
	v_mad_nc_u64_u32 v[74:75], s6, v10, s[8:9]
	v_mad_nc_u64_u32 v[76:77], s6, v10, s[10:11]
	v_mul_lo_u32 v10, s6, v7
	v_mul_lo_u32 v16, s7, v6
	v_mad_nc_u64_u32 v[78:79], s6, v6, s[8:9]
	v_mad_nc_u64_u32 v[80:81], s6, v6, s[10:11]
	v_add_nc_u64_e32 v[6:7], 52, v[4:5]
	v_add3_u32 v67, v12, v67, v3
	v_add3_u32 v69, v12, v69, v3
	;; [unrolled: 1-line block ×6, first 2 shown]
	v_mul_lo_u32 v3, s6, v7
	v_mul_lo_u32 v12, s7, v6
	v_add3_u32 v79, v16, v79, v10
	v_add3_u32 v81, v16, v81, v10
	v_mad_nc_u64_u32 v[86:87], s6, v6, s[8:9]
	v_add_nc_u64_e32 v[10:11], 60, v[4:5]
	v_mad_nc_u64_u32 v[88:89], s6, v6, s[10:11]
	v_add_nc_u64_e32 v[6:7], 64, v[4:5]
	v_add_nc_u64_e32 v[8:9], 36, v[4:5]
	s_delay_alu instid0(VALU_DEP_4)
	v_mul_lo_u32 v11, s6, v11
	v_mul_lo_u32 v15, s7, v10
	v_mad_nc_u64_u32 v[94:95], s6, v10, s[8:9]
	v_mad_nc_u64_u32 v[96:97], s6, v10, s[10:11]
	v_mul_lo_u32 v10, s6, v7
	v_mul_lo_u32 v16, s7, v6
	v_mad_nc_u64_u32 v[98:99], s6, v6, s[8:9]
	v_mad_nc_u64_u32 v[100:101], s6, v6, s[10:11]
	v_add_nc_u64_e32 v[6:7], 0x48, v[4:5]
	v_add3_u32 v87, v12, v87, v3
	v_add3_u32 v89, v12, v89, v3
	v_mul_lo_u32 v13, s6, v9
	v_mul_lo_u32 v14, s7, v8
	v_add3_u32 v95, v15, v95, v11
	v_add3_u32 v97, v15, v97, v11
	v_mul_lo_u32 v3, s6, v7
	v_mul_lo_u32 v12, s7, v6
	v_add3_u32 v99, v16, v99, v10
	v_add3_u32 v101, v16, v101, v10
	v_mad_nc_u64_u32 v[106:107], s6, v6, s[8:9]
	v_add_nc_u64_e32 v[10:11], 0x50, v[4:5]
	v_mad_nc_u64_u32 v[108:109], s6, v6, s[10:11]
	v_add_nc_u64_e32 v[6:7], 0x54, v[4:5]
	v_mad_nc_u64_u32 v[70:71], s6, v8, s[8:9]
	v_mad_nc_u64_u32 v[72:73], s6, v8, s[10:11]
	v_add_nc_u64_e32 v[8:9], 48, v[4:5]
	v_mul_lo_u32 v11, s6, v11
	v_mul_lo_u32 v15, s7, v10
	v_mad_nc_u64_u32 v[114:115], s6, v10, s[8:9]
	v_mad_nc_u64_u32 v[116:117], s6, v10, s[10:11]
	v_mul_lo_u32 v10, s6, v7
	v_mul_lo_u32 v16, s7, v6
	v_mad_nc_u64_u32 v[118:119], s6, v6, s[8:9]
	v_mad_nc_u64_u32 v[120:121], s6, v6, s[10:11]
	;; [unrolled: 4-line block ×3, first 2 shown]
	v_add_nc_u64_e32 v[8:9], 56, v[4:5]
	v_add_nc_u64_e32 v[6:7], 0x5c, v[4:5]
	v_add3_u32 v71, v14, v71, v13
	v_add3_u32 v73, v14, v73, v13
	;; [unrolled: 1-line block ×5, first 2 shown]
	v_mul_lo_u32 v13, s6, v9
	v_mul_lo_u32 v14, s7, v8
	v_mad_nc_u64_u32 v[90:91], s6, v8, s[8:9]
	v_mad_nc_u64_u32 v[92:93], s6, v8, s[10:11]
	v_add_nc_u64_e32 v[8:9], 0x44, v[4:5]
	v_add3_u32 v117, v15, v117, v11
	v_add3_u32 v119, v16, v119, v10
	;; [unrolled: 1-line block ×3, first 2 shown]
	v_mul_lo_u32 v3, s6, v7
	v_mul_lo_u32 v12, s7, v6
	v_mad_nc_u64_u32 v[126:127], s6, v6, s[8:9]
	v_add_nc_u64_e32 v[10:11], 0x64, v[4:5]
	v_mad_nc_u64_u32 v[128:129], s6, v6, s[10:11]
	v_add_nc_u64_e32 v[6:7], 0x68, v[4:5]
	v_add3_u32 v83, v18, v83, v17
	v_add3_u32 v85, v18, v85, v17
	v_mul_lo_u32 v17, s6, v9
	v_mul_lo_u32 v18, s7, v8
	v_mad_nc_u64_u32 v[102:103], s6, v8, s[8:9]
	v_mad_nc_u64_u32 v[104:105], s6, v8, s[10:11]
	v_add_nc_u64_e32 v[8:9], 0x4c, v[4:5]
	v_mul_lo_u32 v15, s7, v10
	v_mad_nc_u64_u32 v[134:135], s6, v10, s[8:9]
	v_mad_nc_u64_u32 v[136:137], s6, v10, s[10:11]
	v_mul_lo_u32 v10, s6, v7
	v_mul_lo_u32 v16, s7, v6
	v_mad_nc_u64_u32 v[138:139], s6, v6, s[8:9]
	v_mad_nc_u64_u32 v[140:141], s6, v6, s[10:11]
	v_add3_u32 v91, v14, v91, v13
	v_add3_u32 v93, v14, v93, v13
	v_mul_lo_u32 v13, s6, v9
	v_mul_lo_u32 v14, s7, v8
	v_mad_nc_u64_u32 v[110:111], s6, v8, s[8:9]
	v_mad_nc_u64_u32 v[112:113], s6, v8, s[10:11]
	v_add_nc_u64_e32 v[8:9], 0x58, v[4:5]
	v_add_nc_u64_e32 v[6:7], 0x70, v[4:5]
	v_add3_u32 v103, v18, v103, v17
	v_add3_u32 v105, v18, v105, v17
	;; [unrolled: 1-line block ×5, first 2 shown]
	v_mul_lo_u32 v17, s6, v9
	v_mul_lo_u32 v18, s7, v8
	v_mad_nc_u64_u32 v[122:123], s6, v8, s[8:9]
	v_mad_nc_u64_u32 v[124:125], s6, v8, s[10:11]
	v_add_nc_u64_e32 v[8:9], 0x60, v[4:5]
	v_add3_u32 v141, v16, v141, v10
	v_mul_lo_u32 v3, s6, v7
	v_mul_lo_u32 v16, s7, v6
	v_mad_nc_u64_u32 v[148:149], s6, v6, s[8:9]
	v_mad_nc_u64_u32 v[150:151], s6, v6, s[10:11]
	v_add3_u32 v111, v14, v111, v13
	v_add3_u32 v113, v14, v113, v13
	v_mul_lo_u32 v13, s6, v9
	v_mul_lo_u32 v14, s7, v8
	v_mad_nc_u64_u32 v[130:131], s6, v8, s[8:9]
	v_mad_nc_u64_u32 v[132:133], s6, v8, s[10:11]
	v_mul_lo_u32 v11, s6, v11
	v_add_nc_u64_e32 v[8:9], 0x6c, v[4:5]
	v_add3_u32 v123, v18, v123, v17
	v_add3_u32 v149, v16, v149, v3
	;; [unrolled: 1-line block ×3, first 2 shown]
	s_set_vgpr_msb 4                        ;  msbs: dst=0 src0=0 src1=1 src2=0
	v_add_nc_u32_e32 v16, s3, v40 /*v296*/
	s_set_vgpr_msb 0                        ;  msbs: dst=0 src0=0 src1=0 src2=0
	v_add_nc_u64_e32 v[6:7], s[18:19], v[146:147]
	v_add3_u32 v125, v18, v125, v17
	v_mul_lo_u32 v17, s6, v9
	v_add3_u32 v131, v14, v131, v13
	v_add3_u32 v133, v14, v133, v13
	v_mul_lo_u32 v18, s7, v8
	v_mad_nc_u64_u32 v[142:143], s6, v8, s[8:9]
	v_add_nc_u64_e32 v[12:13], 30, v[6:7]
	v_mad_nc_u64_u32 v[144:145], s6, v8, s[10:11]
	v_add_nc_u64_e32 v[8:9], 0x74, v[4:5]
	v_add3_u32 v135, v15, v135, v11
	v_add3_u32 v137, v15, v137, v11
	v_mul_u64_e32 v[14:15], s[6:7], v[6:7]
	v_add_nc_u64_e32 v[10:11], 0x78, v[4:5]
	v_mul_u64_e32 v[12:13], s[6:7], v[12:13]
	v_add_nc_u64_e32 v[4:5], 0x7c, v[4:5]
	v_mul_lo_u32 v19, s6, v9
	v_mul_lo_u32 v20, s7, v8
	v_mad_nc_u64_u32 v[152:153], s6, v8, s[8:9]
	v_mad_nc_u64_u32 v[154:155], s6, v8, s[10:11]
	v_add_nc_u64_e32 v[8:9], 31, v[6:7]
	v_mul_lo_u32 v21, s6, v11
	v_mul_lo_u32 v22, s7, v10
	v_mad_nc_u64_u32 v[156:157], s6, v10, s[8:9]
	v_mad_nc_u64_u32 v[158:159], s6, v10, s[10:11]
	v_add_nc_u64_e32 v[10:11], 29, v[6:7]
	v_mul_lo_u32 v23, s6, v5
	v_mul_u64_e32 v[8:9], s[6:7], v[8:9]
	v_mul_lo_u32 v24, s7, v4
	v_mad_nc_u64_u32 v[160:161], s6, v4, s[8:9]
	v_mad_nc_u64_u32 v[162:163], s6, v4, s[10:11]
	v_add_nc_u64_e32 v[36:37], 17, v[6:7]
	v_mul_u64_e32 v[4:5], s[6:7], v[10:11]
	v_add_nc_u64_e32 v[10:11], 28, v[6:7]
	v_add3_u32 v143, v18, v143, v17
	v_add3_u32 v145, v18, v145, v17
	v_mov_b32_e32 v17, v2
	v_add3_u32 v153, v20, v153, v19
	v_add3_u32 v155, v20, v155, v19
	v_add_nc_u64_e32 v[18:19], 27, v[6:7]
	v_mul_u64_e32 v[10:11], s[6:7], v[10:11]
	v_add3_u32 v157, v22, v157, v21
	v_add3_u32 v159, v22, v159, v21
	;; [unrolled: 1-line block ×4, first 2 shown]
	v_add_nc_u64_e32 v[22:23], 24, v[6:7]
	v_lshlrev_b64_e32 v[12:13], 2, v[12:13]
	v_mul_u64_e32 v[18:19], s[6:7], v[18:19]
	v_lshlrev_b64_e32 v[24:25], 2, v[14:15]
	v_add_nc_u64_e32 v[26:27], 23, v[6:7]
	v_add_nc_u64_e32 v[20:21], 25, v[6:7]
	;; [unrolled: 1-line block ×3, first 2 shown]
	v_mul_u64_e32 v[22:23], s[6:7], v[22:23]
	v_add_nc_u64_e32 v[174:175], s[8:9], v[12:13]
	v_add_nc_u64_e32 v[176:177], s[10:11], v[12:13]
	v_mul_u64_e32 v[12:13], s[6:7], v[36:37]
	v_mov_b32_e32 v37, v2
	v_lshlrev_b64_e32 v[164:165], 2, v[16:17]
	v_add_nc_u64_e32 v[16:17], 26, v[6:7]
	v_add_nc_u64_e32 v[166:167], s[8:9], v[24:25]
	;; [unrolled: 1-line block ×3, first 2 shown]
	v_mul_u64_e32 v[24:25], s[6:7], v[26:27]
	v_lshlrev_b64_e32 v[8:9], 2, v[8:9]
	v_mul_u64_e32 v[20:21], s[6:7], v[20:21]
	v_add_nc_u64_e32 v[26:27], 20, v[6:7]
	v_mul_u64_e32 v[16:17], s[6:7], v[16:17]
	v_add_nc_u64_e32 v[32:33], 19, v[6:7]
	v_add_nc_u64_e32 v[30:31], 21, v[6:7]
	v_mul_u64_e32 v[28:29], s[6:7], v[28:29]
	v_add_nc_u64_e32 v[34:35], 18, v[6:7]
	;; [unrolled: 3-line block ×3, first 2 shown]
	v_mul_u64_e32 v[8:9], s[6:7], v[32:33]
	v_lshlrev_b64_e32 v[4:5], 2, v[4:5]
	v_lshlrev_b64_e32 v[10:11], 2, v[10:11]
	v_mul_u64_e32 v[30:31], s[6:7], v[30:31]
	v_mul_u64_e32 v[32:33], s[6:7], v[34:35]
	v_add_nc_u64_e32 v[34:35], 15, v[6:7]
	v_lshlrev_b64_e32 v[18:19], 2, v[18:19]
	s_mov_b32 s3, 0
	v_add_nc_u64_e32 v[178:179], s[8:9], v[4:5]
	v_add_nc_u64_e32 v[180:181], s[10:11], v[4:5]
	;; [unrolled: 1-line block ×7, first 2 shown]
	v_lshlrev_b64_e32 v[18:19], 2, v[22:23]
	v_add_nc_u64_e32 v[22:23], 14, v[6:7]
	v_mul_u64_e32 v[4:5], s[6:7], v[4:5]
	v_lshlrev_b64_e32 v[12:13], 2, v[12:13]
	s_mov_b32 s23, s3
	v_mov_b32_e32 v36, v2
	s_mul_u64 s[24:25], s[6:7], s[22:23]
	v_add_nc_u64_e32 v[198:199], s[8:9], v[18:19]
	v_mul_u64_e32 v[22:23], s[6:7], v[22:23]
	v_lshlrev_b64_e32 v[10:11], 2, v[16:17]
	v_lshlrev_b64_e32 v[16:17], 2, v[20:21]
	v_add_nc_u64_e32 v[200:201], s[10:11], v[18:19]
	v_add_nc_u64_e32 v[226:227], s[8:9], v[12:13]
	;; [unrolled: 1-line block ×4, first 2 shown]
	v_mul_u64_e32 v[20:21], s[6:7], v[34:35]
	v_add_nc_u64_e32 v[190:191], s[8:9], v[10:11]
	v_add_nc_u64_e32 v[192:193], s[10:11], v[10:11]
	v_lshlrev_b64_e32 v[10:11], 2, v[24:25]
	v_add_nc_u64_e32 v[24:25], 13, v[6:7]
	v_add_nc_u64_e32 v[194:195], s[8:9], v[16:17]
	;; [unrolled: 1-line block ×3, first 2 shown]
	v_lshlrev_b64_e32 v[16:17], 2, v[28:29]
	v_lshlrev_b64_e32 v[8:9], 2, v[8:9]
	;; [unrolled: 1-line block ×3, first 2 shown]
	v_add_nc_u64_e32 v[202:203], s[8:9], v[10:11]
	v_mul_u64_e32 v[24:25], s[6:7], v[24:25]
	v_add_nc_u64_e32 v[204:205], s[10:11], v[10:11]
	v_lshlrev_b64_e32 v[10:11], 2, v[26:27]
	v_add_nc_u64_e32 v[26:27], 11, v[6:7]
	v_add_nc_u64_e32 v[206:207], s[8:9], v[16:17]
	;; [unrolled: 1-line block ×3, first 2 shown]
	v_lshlrev_b64_e32 v[16:17], 2, v[32:33]
	v_add_nc_u64_e32 v[218:219], s[8:9], v[8:9]
	v_add_nc_u64_e32 v[28:29], 9, v[6:7]
	;; [unrolled: 1-line block ×5, first 2 shown]
	v_mul_u64_e32 v[26:27], s[6:7], v[26:27]
	v_add_nc_u64_e32 v[30:31], 8, v[6:7]
	v_add_nc_u64_e32 v[220:221], s[10:11], v[8:9]
	;; [unrolled: 1-line block ×5, first 2 shown]
	v_mul_u64_e32 v[10:11], s[6:7], v[10:11]
	v_mul_u64_e32 v[16:17], s[6:7], v[28:29]
	;; [unrolled: 1-line block ×3, first 2 shown]
	v_add_nc_u64_e32 v[30:31], 6, v[6:7]
	v_mul_u64_e32 v[8:9], s[6:7], v[8:9]
	v_add_nc_u64_e32 v[32:33], 5, v[6:7]
	v_add_nc_u64_e32 v[210:211], s[8:9], v[18:19]
	;; [unrolled: 1-line block ×4, first 2 shown]
	v_lshlrev_b64_e32 v[4:5], 2, v[4:5]
	v_mul_u64_e32 v[30:31], s[6:7], v[30:31]
	v_add_nc_u64_e32 v[34:35], 3, v[6:7]
	v_mul_u64_e32 v[32:33], s[6:7], v[32:33]
	v_add_nc_u64_e32 v[6:7], 2, v[6:7]
	v_mul_u64_e32 v[12:13], s[6:7], v[12:13]
	v_mul_u64_e32 v[18:19], s[6:7], v[18:19]
	v_add_nc_u64_e32 v[230:231], s[8:9], v[4:5]
	v_add_nc_u64_e32 v[232:233], s[10:11], v[4:5]
	v_lshlrev_b64_e32 v[4:5], 2, v[22:23]
	v_lshlrev_b64_e32 v[22:23], 2, v[24:25]
	v_mul_u64_e32 v[24:25], s[6:7], v[34:35]
	v_mul_u64_e32 v[6:7], s[6:7], v[6:7]
	v_lshlrev_b64_e32 v[20:21], 2, v[20:21]
	v_add_nc_u64_e32 v[238:239], s[8:9], v[4:5]
	v_add_nc_u64_e32 v[240:241], s[10:11], v[4:5]
	v_lshlrev_b64_e32 v[4:5], 2, v[26:27]
	v_add_nc_u64_e32 v[242:243], s[8:9], v[22:23]
	v_add_nc_u64_e32 v[234:235], s[8:9], v[20:21]
	;; [unrolled: 1-line block ×4, first 2 shown]
	v_lshlrev_b64_e32 v[10:11], 2, v[10:11]
	v_lshlrev_b64_e32 v[16:17], 2, v[16:17]
	v_add_nc_u64_e32 v[250:251], s[8:9], v[4:5]
	v_add_nc_u64_e32 v[252:253], s[10:11], v[4:5]
	v_lshlrev_b64_e32 v[4:5], 2, v[28:29]
	v_lshlrev_b64_e32 v[8:9], 2, v[8:9]
	v_add_nc_u64_e32 v[254:255], s[8:9], v[10:11]
	s_set_vgpr_msb 64                       ;  msbs: dst=1 src0=0 src1=0 src2=0
	v_add_nc_u64_e32 v[0:1] /*v[256:257]*/, s[10:11], v[10:11]
	v_add_nc_u64_e32 v[2:3] /*v[258:259]*/, s[8:9], v[16:17]
	s_set_vgpr_msb 0                        ;  msbs: dst=0 src0=0 src1=0 src2=0
	v_lshlrev_b64_e32 v[10:11], 2, v[30:31]
	s_set_vgpr_msb 64                       ;  msbs: dst=1 src0=0 src1=0 src2=0
	v_add_nc_u64_e32 v[6:7] /*v[262:263]*/, s[8:9], v[4:5]
	v_add_nc_u64_e32 v[8:9] /*v[264:265]*/, s[10:11], v[4:5]
	;; [unrolled: 1-line block ×4, first 2 shown]
	s_set_vgpr_msb 0                        ;  msbs: dst=0 src0=0 src1=0 src2=0
	v_lshlrev_b64_e32 v[4:5], 2, v[32:33]
	v_lshlrev_b64_e32 v[8:9], 2, v[12:13]
	v_add_nc_u64_e32 v[12:13], s[6:7], v[14:15]
	v_lshlrev_b64_e32 v[18:19], 2, v[18:19]
	s_set_vgpr_msb 64                       ;  msbs: dst=1 src0=0 src1=0 src2=0
	v_add_nc_u64_e32 v[14:15] /*v[270:271]*/, s[8:9], v[10:11]
	v_add_nc_u64_e32 v[16:17] /*v[272:273]*/, s[10:11], v[10:11]
	s_set_vgpr_msb 0                        ;  msbs: dst=0 src0=0 src1=0 src2=0
	v_lshlrev_b64_e32 v[10:11], 2, v[24:25]
	v_lshlrev_b64_e32 v[6:7], 2, v[6:7]
	s_set_vgpr_msb 64                       ;  msbs: dst=1 src0=0 src1=0 src2=0
	v_add_nc_u64_e32 v[18:19] /*v[274:275]*/, s[8:9], v[4:5]
	v_add_nc_u64_e32 v[20:21] /*v[276:277]*/, s[10:11], v[4:5]
	s_set_vgpr_msb 0                        ;  msbs: dst=0 src0=0 src1=0 src2=0
	v_lshlrev_b64_e32 v[4:5], 2, v[12:13]
	v_add_nc_u64_e32 v[246:247], s[8:9], v[18:19]
	v_add_nc_u64_e32 v[248:249], s[10:11], v[18:19]
	s_set_vgpr_msb 64                       ;  msbs: dst=1 src0=0 src1=0 src2=0
	v_add_nc_u64_e32 v[4:5] /*v[260:261]*/, s[10:11], v[16:17]
	v_add_nc_u64_e32 v[22:23] /*v[278:279]*/, s[8:9], v[8:9]
	;; [unrolled: 1-line block ×9, first 2 shown]
	s_lshl_b64 s[8:9], s[24:25], 2
	s_mov_b64 s[10:11], 31
	s_mov_b64 s[24:25], s[18:19]
	s_set_vgpr_msb 0                        ;  msbs: dst=0 src0=0 src1=0 src2=0
	s_branch .LBB51_146
.LBB51_144:                             ;   in Loop: Header=BB51_146 Depth=1
	s_wait_xcnt 0x0
	s_or_b32 exec_lo, exec_lo, s2
	v_add_nc_u64_e32 v[4:5], v[166:167], v[164:165]
	s_wait_loadcnt 0x1
	s_set_vgpr_msb 64                       ;  msbs: dst=1 src0=0 src1=0 src2=0
	ds_bpermute_b32 v43 /*v299*/, v2, v3
	s_wait_loadcnt 0x0
	s_set_vgpr_msb 0                        ;  msbs: dst=0 src0=0 src1=0 src2=0
	ds_bpermute_b32 v11, v2, v8
	s_set_vgpr_msb 64                       ;  msbs: dst=1 src0=0 src1=0 src2=0
	v_add_nc_u64_e32 v[74:75] /*v[330:331]*/, v[162:163], v[164:165]
	s_set_vgpr_msb 0                        ;  msbs: dst=0 src0=0 src1=0 src2=0
	global_load_b32 v6, v[4:5], off
	s_wait_xcnt 0x0
	v_add_nc_u64_e32 v[4:5], v[168:169], v[164:165]
	global_load_b32 v7, v[4:5], off
	s_wait_xcnt 0x0
	v_add_nc_u64_e32 v[4:5], v[38:39], v[164:165]
	;; [unrolled: 3-line block ×28, first 2 shown]
	s_set_vgpr_msb 64                       ;  msbs: dst=1 src0=0 src1=0 src2=0
	global_load_b32 v38 /*v294*/, v[4:5], off
	s_wait_xcnt 0x0
	s_set_vgpr_msb 0                        ;  msbs: dst=0 src0=0 src1=0 src2=0
	v_add_nc_u64_e32 v[4:5], v[92:93], v[164:165]
	s_set_vgpr_msb 64                       ;  msbs: dst=1 src0=0 src1=0 src2=0
	global_load_b32 v39 /*v295*/, v[4:5], off
	s_wait_xcnt 0x0
	s_set_vgpr_msb 0                        ;  msbs: dst=0 src0=0 src1=0 src2=0
	v_add_nc_u64_e32 v[4:5], v[94:95], v[164:165]
	s_set_vgpr_msb 64                       ;  msbs: dst=1 src0=0 src1=0 src2=0
	global_load_b32 v42 /*v298*/, v[4:5], off
	s_wait_xcnt 0x0
	s_set_vgpr_msb 0                        ;  msbs: dst=0 src0=0 src1=0 src2=0
	v_add_nc_u64_e32 v[4:5], v[96:97], v[164:165]
	s_set_vgpr_msb 64                       ;  msbs: dst=1 src0=0 src1=0 src2=0
	global_load_b32 v41 /*v297*/, v[4:5], off
	s_wait_xcnt 0x0
	s_set_vgpr_msb 0                        ;  msbs: dst=0 src0=0 src1=0 src2=0
	v_add_nc_u64_e32 v[4:5], v[98:99], v[164:165]
	s_set_vgpr_msb 64                       ;  msbs: dst=1 src0=0 src1=0 src2=0
	global_load_b32 v44 /*v300*/, v[4:5], off
	s_wait_xcnt 0x0
	s_set_vgpr_msb 0                        ;  msbs: dst=0 src0=0 src1=0 src2=0
	v_add_nc_u64_e32 v[4:5], v[100:101], v[164:165]
	s_set_vgpr_msb 64                       ;  msbs: dst=1 src0=0 src1=0 src2=0
	global_load_b32 v45 /*v301*/, v[4:5], off
	s_wait_xcnt 0x0
	s_set_vgpr_msb 0                        ;  msbs: dst=0 src0=0 src1=0 src2=0
	v_add_nc_u64_e32 v[4:5], v[102:103], v[164:165]
	s_set_vgpr_msb 64                       ;  msbs: dst=1 src0=0 src1=0 src2=0
	global_load_b32 v46 /*v302*/, v[4:5], off
	s_wait_xcnt 0x0
	s_set_vgpr_msb 0                        ;  msbs: dst=0 src0=0 src1=0 src2=0
	v_add_nc_u64_e32 v[4:5], v[104:105], v[164:165]
	s_set_vgpr_msb 64                       ;  msbs: dst=1 src0=0 src1=0 src2=0
	global_load_b32 v47 /*v303*/, v[4:5], off
	s_wait_xcnt 0x0
	s_set_vgpr_msb 0                        ;  msbs: dst=0 src0=0 src1=0 src2=0
	v_add_nc_u64_e32 v[4:5], v[106:107], v[164:165]
	s_set_vgpr_msb 64                       ;  msbs: dst=1 src0=0 src1=0 src2=0
	global_load_b32 v48 /*v304*/, v[4:5], off
	s_wait_xcnt 0x0
	s_set_vgpr_msb 0                        ;  msbs: dst=0 src0=0 src1=0 src2=0
	v_add_nc_u64_e32 v[4:5], v[108:109], v[164:165]
	s_set_vgpr_msb 64                       ;  msbs: dst=1 src0=0 src1=0 src2=0
	global_load_b32 v49 /*v305*/, v[4:5], off
	s_wait_xcnt 0x0
	s_set_vgpr_msb 0                        ;  msbs: dst=0 src0=0 src1=0 src2=0
	v_add_nc_u64_e32 v[4:5], v[110:111], v[164:165]
	s_set_vgpr_msb 64                       ;  msbs: dst=1 src0=0 src1=0 src2=0
	global_load_b32 v50 /*v306*/, v[4:5], off
	s_wait_xcnt 0x0
	s_set_vgpr_msb 0                        ;  msbs: dst=0 src0=0 src1=0 src2=0
	v_add_nc_u64_e32 v[4:5], v[112:113], v[164:165]
	s_set_vgpr_msb 64                       ;  msbs: dst=1 src0=0 src1=0 src2=0
	global_load_b32 v51 /*v307*/, v[4:5], off
	s_wait_xcnt 0x0
	s_set_vgpr_msb 0                        ;  msbs: dst=0 src0=0 src1=0 src2=0
	v_add_nc_u64_e32 v[4:5], v[114:115], v[164:165]
	s_set_vgpr_msb 64                       ;  msbs: dst=1 src0=0 src1=0 src2=0
	global_load_b32 v52 /*v308*/, v[4:5], off
	s_wait_xcnt 0x0
	s_set_vgpr_msb 0                        ;  msbs: dst=0 src0=0 src1=0 src2=0
	v_add_nc_u64_e32 v[4:5], v[116:117], v[164:165]
	s_set_vgpr_msb 64                       ;  msbs: dst=1 src0=0 src1=0 src2=0
	global_load_b32 v53 /*v309*/, v[4:5], off
	s_wait_loadcnt_dscnt 0x2801
	s_set_vgpr_msb 4                        ;  msbs: dst=0 src0=0 src1=1 src2=0
	v_sub_f32_e32 v7, v7, v43 /*v299*/
	s_set_vgpr_msb 64                       ;  msbs: dst=1 src0=0 src1=0 src2=0
	ds_bpermute_b32 v43 /*v299*/, v2, v3 offset:4
	s_wait_xcnt 0x0
	s_set_vgpr_msb 0                        ;  msbs: dst=0 src0=0 src1=0 src2=0
	v_add_nc_u64_e32 v[4:5], v[118:119], v[164:165]
	s_set_vgpr_msb 64                       ;  msbs: dst=1 src0=0 src1=0 src2=0
	global_load_b32 v54 /*v310*/, v[4:5], off
	s_wait_xcnt 0x0
	s_set_vgpr_msb 0                        ;  msbs: dst=0 src0=0 src1=0 src2=0
	v_add_nc_u64_e32 v[4:5], v[120:121], v[164:165]
	s_set_vgpr_msb 64                       ;  msbs: dst=1 src0=0 src1=0 src2=0
	global_load_b32 v55 /*v311*/, v[4:5], off
	s_wait_xcnt 0x0
	s_set_vgpr_msb 0                        ;  msbs: dst=0 src0=0 src1=0 src2=0
	v_add_nc_u64_e32 v[4:5], v[122:123], v[164:165]
	s_wait_loadcnt_dscnt 0x2800
	s_set_vgpr_msb 4                        ;  msbs: dst=0 src0=0 src1=1 src2=0
	v_sub_f32_e32 v9, v9, v43 /*v299*/
	s_set_vgpr_msb 64                       ;  msbs: dst=1 src0=0 src1=0 src2=0
	ds_bpermute_b32 v43 /*v299*/, v2, v3 offset:8
	global_load_b32 v56 /*v312*/, v[4:5], off
	s_wait_xcnt 0x0
	s_set_vgpr_msb 0                        ;  msbs: dst=0 src0=0 src1=0 src2=0
	v_add_nc_u64_e32 v[4:5], v[124:125], v[164:165]
	v_mul_f32_e32 v9, v10, v9
	s_set_vgpr_msb 64                       ;  msbs: dst=1 src0=0 src1=0 src2=0
	global_load_b32 v57 /*v313*/, v[4:5], off
	s_wait_xcnt 0x0
	s_set_vgpr_msb 0                        ;  msbs: dst=0 src0=0 src1=0 src2=0
	v_add_nc_u64_e32 v[4:5], v[126:127], v[164:165]
	s_set_vgpr_msb 64                       ;  msbs: dst=1 src0=0 src1=0 src2=0
	global_load_b32 v58 /*v314*/, v[4:5], off
	s_wait_loadcnt_dscnt 0x2900
	s_set_vgpr_msb 4                        ;  msbs: dst=0 src0=0 src1=1 src2=0
	v_sub_f32_e32 v13, v13, v43 /*v299*/
	s_set_vgpr_msb 64                       ;  msbs: dst=1 src0=0 src1=0 src2=0
	ds_bpermute_b32 v43 /*v299*/, v2, v3 offset:12
	s_wait_xcnt 0x0
	s_set_vgpr_msb 0                        ;  msbs: dst=0 src0=0 src1=0 src2=0
	v_add_nc_u64_e32 v[4:5], v[128:129], v[164:165]
	s_set_vgpr_msb 64                       ;  msbs: dst=1 src0=0 src1=0 src2=0
	global_load_b32 v59 /*v315*/, v[4:5], off
	s_wait_xcnt 0x0
	s_set_vgpr_msb 0                        ;  msbs: dst=0 src0=0 src1=0 src2=0
	v_add_nc_u64_e32 v[4:5], v[130:131], v[164:165]
	s_set_vgpr_msb 64                       ;  msbs: dst=1 src0=0 src1=0 src2=0
	global_load_b32 v60 /*v316*/, v[4:5], off
	s_wait_xcnt 0x0
	s_set_vgpr_msb 0                        ;  msbs: dst=0 src0=0 src1=0 src2=0
	v_add_nc_u64_e32 v[4:5], v[132:133], v[164:165]
	s_wait_loadcnt_dscnt 0x2900
	s_set_vgpr_msb 4                        ;  msbs: dst=0 src0=0 src1=1 src2=0
	v_sub_f32_e32 v15, v15, v43 /*v299*/
	s_set_vgpr_msb 64                       ;  msbs: dst=1 src0=0 src1=0 src2=0
	ds_bpermute_b32 v43 /*v299*/, v2, v3 offset:16
	s_set_vgpr_msb 0                        ;  msbs: dst=0 src0=0 src1=0 src2=0
	v_dual_mul_f32 v7, v6, v7 :: v_dual_mul_f32 v13, v12, v13
	s_set_vgpr_msb 64                       ;  msbs: dst=1 src0=0 src1=0 src2=0
	global_load_b32 v61 /*v317*/, v[4:5], off
	s_wait_xcnt 0x0
	s_set_vgpr_msb 0                        ;  msbs: dst=0 src0=0 src1=0 src2=0
	v_add_nc_u64_e32 v[4:5], v[134:135], v[164:165]
	v_mul_f32_e32 v7, v7, v11
	ds_bpermute_b32 v11, v2, v8 offset:4
	s_set_vgpr_msb 64                       ;  msbs: dst=1 src0=0 src1=0 src2=0
	global_load_b32 v62 /*v318*/, v[4:5], off
	s_wait_xcnt 0x0
	s_set_vgpr_msb 0                        ;  msbs: dst=0 src0=0 src1=0 src2=0
	v_add_nc_u64_e32 v[4:5], v[136:137], v[164:165]
	v_pk_add_f32 v[6:7], v[36:37], v[6:7]
	s_set_vgpr_msb 64                       ;  msbs: dst=1 src0=0 src1=0 src2=0
	global_load_b32 v63 /*v319*/, v[4:5], off
	s_wait_loadcnt_dscnt 0x2a01
	s_set_vgpr_msb 4                        ;  msbs: dst=0 src0=0 src1=1 src2=0
	v_sub_f32_e32 v17, v17, v43 /*v299*/
	s_set_vgpr_msb 64                       ;  msbs: dst=1 src0=0 src1=0 src2=0
	ds_bpermute_b32 v43 /*v299*/, v2, v3 offset:20
	s_wait_xcnt 0x0
	s_set_vgpr_msb 0                        ;  msbs: dst=0 src0=0 src1=0 src2=0
	v_add_nc_u64_e32 v[4:5], v[138:139], v[164:165]
	s_set_vgpr_msb 64                       ;  msbs: dst=1 src0=0 src1=0 src2=0
	global_load_b32 v64 /*v320*/, v[4:5], off
	s_wait_xcnt 0x0
	s_set_vgpr_msb 0                        ;  msbs: dst=0 src0=0 src1=0 src2=0
	v_add_nc_u64_e32 v[4:5], v[140:141], v[164:165]
	s_set_vgpr_msb 64                       ;  msbs: dst=1 src0=0 src1=0 src2=0
	global_load_b32 v65 /*v321*/, v[4:5], off
	s_wait_xcnt 0x0
	s_set_vgpr_msb 0                        ;  msbs: dst=0 src0=0 src1=0 src2=0
	v_add_nc_u64_e32 v[4:5], v[142:143], v[164:165]
	s_wait_loadcnt_dscnt 0x2a00
	s_set_vgpr_msb 4                        ;  msbs: dst=0 src0=0 src1=1 src2=0
	v_sub_f32_e32 v19, v19, v43 /*v299*/
	s_set_vgpr_msb 0                        ;  msbs: dst=0 src0=0 src1=0 src2=0
	v_dual_mul_f32 v15, v14, v15 :: v_dual_mul_f32 v17, v16, v17
	v_mul_f32_e32 v11, v9, v11
	ds_bpermute_b32 v9, v2, v8 offset:8
	s_set_vgpr_msb 64                       ;  msbs: dst=1 src0=0 src1=0 src2=0
	ds_bpermute_b32 v43 /*v299*/, v2, v3 offset:24
	global_load_b32 v66 /*v322*/, v[4:5], off
	s_wait_xcnt 0x0
	s_set_vgpr_msb 0                        ;  msbs: dst=0 src0=0 src1=0 src2=0
	v_add_nc_u64_e32 v[4:5], v[144:145], v[164:165]
	v_mul_f32_e32 v19, v18, v19
	s_set_vgpr_msb 64                       ;  msbs: dst=1 src0=0 src1=0 src2=0
	global_load_b32 v67 /*v323*/, v[4:5], off
	s_wait_xcnt 0x0
	s_set_vgpr_msb 0                        ;  msbs: dst=0 src0=0 src1=0 src2=0
	v_add_nc_u64_e32 v[4:5], v[148:149], v[164:165]
	s_set_vgpr_msb 64                       ;  msbs: dst=1 src0=0 src1=0 src2=0
	global_load_b32 v68 /*v324*/, v[4:5], off
	s_wait_xcnt 0x0
	s_set_vgpr_msb 0                        ;  msbs: dst=0 src0=0 src1=0 src2=0
	v_add_nc_u64_e32 v[4:5], v[150:151], v[164:165]
	s_wait_dscnt 0x1
	v_mul_f32_e32 v13, v13, v9
	ds_bpermute_b32 v9, v2, v8 offset:12
	s_wait_loadcnt_dscnt 0x2b01
	s_set_vgpr_msb 4                        ;  msbs: dst=0 src0=0 src1=1 src2=0
	v_sub_f32_e32 v21, v21, v43 /*v299*/
	s_set_vgpr_msb 64                       ;  msbs: dst=1 src0=0 src1=0 src2=0
	ds_bpermute_b32 v43 /*v299*/, v2, v3 offset:28
	global_load_b32 v69 /*v325*/, v[4:5], off
	s_wait_xcnt 0x0
	s_set_vgpr_msb 0                        ;  msbs: dst=0 src0=0 src1=0 src2=0
	v_add_nc_u64_e32 v[4:5], v[152:153], v[164:165]
	s_set_vgpr_msb 64                       ;  msbs: dst=1 src0=0 src1=0 src2=0
	global_load_b32 v70 /*v326*/, v[4:5], off
	s_wait_xcnt 0x0
	s_set_vgpr_msb 0                        ;  msbs: dst=0 src0=0 src1=0 src2=0
	v_add_nc_u64_e32 v[4:5], v[154:155], v[164:165]
	s_wait_dscnt 0x1
	v_mul_f32_e32 v15, v15, v9
	ds_bpermute_b32 v9, v2, v8 offset:16
	s_wait_loadcnt_dscnt 0x2b01
	s_set_vgpr_msb 4                        ;  msbs: dst=0 src0=0 src1=1 src2=0
	v_sub_f32_e32 v23, v23, v43 /*v299*/
	s_set_vgpr_msb 0                        ;  msbs: dst=0 src0=0 src1=0 src2=0
	v_mul_f32_e32 v21, v20, v21
	s_set_vgpr_msb 64                       ;  msbs: dst=1 src0=0 src1=0 src2=0
	ds_bpermute_b32 v43 /*v299*/, v2, v3 offset:32
	s_set_vgpr_msb 0                        ;  msbs: dst=0 src0=0 src1=0 src2=0
	v_pk_add_f32 v[6:7], v[6:7], v[10:11]
	ds_bpermute_b32 v10, v2, v3 offset:44
	v_mul_f32_e32 v23, v22, v23
	s_set_vgpr_msb 64                       ;  msbs: dst=1 src0=0 src1=0 src2=0
	global_load_b32 v71 /*v327*/, v[4:5], off
	s_wait_xcnt 0x0
	s_set_vgpr_msb 0                        ;  msbs: dst=0 src0=0 src1=0 src2=0
	v_add_nc_u64_e32 v[4:5], v[156:157], v[164:165]
	v_pk_add_f32 v[6:7], v[6:7], v[12:13]
	s_delay_alu instid0(VALU_DEP_1)
	v_pk_add_f32 v[6:7], v[6:7], v[14:15]
	s_set_vgpr_msb 64                       ;  msbs: dst=1 src0=0 src1=0 src2=0
	global_load_b32 v72 /*v328*/, v[4:5], off
	s_wait_xcnt 0x0
	s_set_vgpr_msb 0                        ;  msbs: dst=0 src0=0 src1=0 src2=0
	v_add_nc_u64_e32 v[4:5], v[158:159], v[164:165]
	s_wait_dscnt 0x2
	v_mul_f32_e32 v17, v17, v9
	ds_bpermute_b32 v9, v2, v8 offset:20
	s_wait_loadcnt_dscnt 0x2b02
	s_set_vgpr_msb 4                        ;  msbs: dst=0 src0=0 src1=1 src2=0
	v_sub_f32_e32 v25, v25, v43 /*v299*/
	s_set_vgpr_msb 64                       ;  msbs: dst=1 src0=0 src1=0 src2=0
	ds_bpermute_b32 v43 /*v299*/, v2, v3 offset:36
	global_load_b32 v73 /*v329*/, v[4:5], off
	s_wait_xcnt 0x0
	s_set_vgpr_msb 0                        ;  msbs: dst=0 src0=0 src1=0 src2=0
	v_add_nc_u64_e32 v[4:5], v[160:161], v[164:165]
	s_wait_loadcnt_dscnt 0x2602
	v_sub_f32_e32 v10, v31, v10
	s_delay_alu instid0(VALU_DEP_1)
	v_mul_f32_e32 v10, v30, v10
	global_load_b32 v4, v[4:5], off
	s_set_vgpr_msb 1                        ;  msbs: dst=0 src0=1 src1=0 src2=0
	global_load_b32 v5, v[74:75] /*v[330:331]*/, off
	s_wait_dscnt 0x1
	s_set_vgpr_msb 0                        ;  msbs: dst=0 src0=0 src1=0 src2=0
	v_mul_f32_e32 v19, v19, v9
	ds_bpermute_b32 v9, v2, v8 offset:24
	v_pk_add_f32 v[6:7], v[6:7], v[16:17]
	s_wait_dscnt 0x1
	s_set_vgpr_msb 4                        ;  msbs: dst=0 src0=0 src1=1 src2=0
	v_sub_f32_e32 v27, v27, v43 /*v299*/
	s_set_vgpr_msb 0                        ;  msbs: dst=0 src0=0 src1=0 src2=0
	v_mul_f32_e32 v25, v24, v25
	s_set_vgpr_msb 64                       ;  msbs: dst=1 src0=0 src1=0 src2=0
	ds_bpermute_b32 v43 /*v299*/, v2, v3 offset:40
	s_set_vgpr_msb 0                        ;  msbs: dst=0 src0=0 src1=0 src2=0
	v_pk_add_f32 v[6:7], v[6:7], v[18:19]
	s_wait_dscnt 0x1
	v_dual_mul_f32 v27, v26, v27 :: v_dual_mul_f32 v21, v21, v9
	ds_bpermute_b32 v9, v2, v8 offset:28
	s_wait_dscnt 0x1
	s_set_vgpr_msb 4                        ;  msbs: dst=0 src0=0 src1=1 src2=0
	v_sub_f32_e32 v29, v29, v43 /*v299*/
	s_set_vgpr_msb 0                        ;  msbs: dst=0 src0=0 src1=0 src2=0
	s_delay_alu instid0(VALU_DEP_1) | instskip(SKIP_4) | instid1(VALU_DEP_1)
	v_mul_f32_e32 v29, v28, v29
	s_wait_dscnt 0x0
	v_mul_f32_e32 v23, v23, v9
	ds_bpermute_b32 v9, v2, v8 offset:32
	v_pk_add_f32 v[6:7], v[6:7], v[20:21]
	v_pk_add_f32 v[6:7], v[6:7], v[22:23]
	s_wait_dscnt 0x0
	v_mul_f32_e32 v25, v25, v9
	ds_bpermute_b32 v9, v2, v8 offset:36
	s_wait_dscnt 0x0
	v_mul_f32_e32 v27, v27, v9
	ds_bpermute_b32 v9, v2, v8 offset:40
	v_pk_add_f32 v[6:7], v[6:7], v[24:25]
	s_delay_alu instid0(VALU_DEP_1)
	v_pk_add_f32 v[6:7], v[6:7], v[26:27]
	s_wait_dscnt 0x0
	v_mul_f32_e32 v29, v29, v9
	ds_bpermute_b32 v9, v2, v8 offset:44
	v_pk_add_f32 v[6:7], v[6:7], v[28:29]
	s_wait_dscnt 0x0
	v_mul_f32_e32 v31, v10, v9
	ds_bpermute_b32 v10, v2, v3 offset:48
	ds_bpermute_b32 v9, v2, v8 offset:48
	s_wait_loadcnt_dscnt 0x2601
	v_sub_f32_e32 v10, v33, v10
	v_pk_add_f32 v[6:7], v[6:7], v[30:31]
	s_delay_alu instid0(VALU_DEP_2) | instskip(SKIP_1) | instid1(VALU_DEP_1)
	v_mul_f32_e32 v10, v32, v10
	s_wait_dscnt 0x0
	v_mul_f32_e32 v33, v10, v9
	ds_bpermute_b32 v10, v2, v3 offset:52
	ds_bpermute_b32 v9, v2, v8 offset:52
	s_wait_loadcnt_dscnt 0x2401
	v_sub_f32_e32 v10, v35, v10
	v_pk_add_f32 v[6:7], v[6:7], v[32:33]
	s_delay_alu instid0(VALU_DEP_2) | instskip(SKIP_1) | instid1(VALU_DEP_1)
	v_mul_f32_e32 v10, v34, v10
	s_wait_dscnt 0x0
	v_mul_f32_e32 v35, v10, v9
	ds_bpermute_b32 v10, v2, v3 offset:56
	ds_bpermute_b32 v9, v2, v8 offset:56
	s_wait_loadcnt_dscnt 0x2201
	s_set_vgpr_msb 1                        ;  msbs: dst=0 src0=1 src1=0 src2=0
	v_sub_f32_e32 v10, v39 /*v295*/, v10
	s_delay_alu instid0(VALU_DEP_1) | instskip(SKIP_2) | instid1(VALU_DEP_1)
	v_mul_f32_e32 v10, v38 /*v294*/, v10
	s_wait_dscnt 0x0
	s_set_vgpr_msb 64                       ;  msbs: dst=1 src0=0 src1=0 src2=0
	v_mul_f32_e32 v39 /*v295*/, v10, v9
	s_set_vgpr_msb 0                        ;  msbs: dst=0 src0=0 src1=0 src2=0
	ds_bpermute_b32 v10, v2, v3 offset:60
	ds_bpermute_b32 v9, v2, v8 offset:60
	s_wait_loadcnt_dscnt 0x2001
	s_set_vgpr_msb 1                        ;  msbs: dst=0 src0=1 src1=0 src2=0
	v_sub_f32_e32 v10, v41 /*v297*/, v10
	s_delay_alu instid0(VALU_DEP_1) | instskip(SKIP_2) | instid1(VALU_DEP_1)
	v_mul_f32_e32 v10, v42 /*v298*/, v10
	s_wait_dscnt 0x0
	s_set_vgpr_msb 64                       ;  msbs: dst=1 src0=0 src1=0 src2=0
	v_mul_f32_e32 v43 /*v299*/, v10, v9
	s_set_vgpr_msb 0                        ;  msbs: dst=0 src0=0 src1=0 src2=0
	;; [unrolled: 11-line block ×16, first 2 shown]
	ds_bpermute_b32 v10, v2, v3 offset:120
	ds_bpermute_b32 v3, v2, v3 offset:124
	;; [unrolled: 1-line block ×4, first 2 shown]
	s_wait_loadcnt_dscnt 0x203
	s_set_vgpr_msb 1                        ;  msbs: dst=0 src0=1 src1=0 src2=0
	v_sub_f32_e32 v10, v73 /*v329*/, v10
	s_wait_loadcnt_dscnt 0x2
	s_set_vgpr_msb 0                        ;  msbs: dst=0 src0=0 src1=0 src2=0
	v_sub_f32_e32 v3, v5, v3
	s_set_vgpr_msb 1                        ;  msbs: dst=0 src0=1 src1=0 src2=0
	v_mul_f32_e32 v10, v72 /*v328*/, v10
	s_set_vgpr_msb 0                        ;  msbs: dst=0 src0=0 src1=0 src2=0
	s_delay_alu instid0(VALU_DEP_2)
	v_mul_f32_e32 v3, v4, v3
	s_wait_dscnt 0x1
	s_set_vgpr_msb 64                       ;  msbs: dst=1 src0=0 src1=0 src2=0
	v_mul_f32_e32 v73 /*v329*/, v10, v9
	s_wait_dscnt 0x0
	s_set_vgpr_msb 0                        ;  msbs: dst=0 src0=0 src1=0 src2=0
	v_mul_f32_e32 v5, v3, v8
	v_pk_add_f32 v[6:7], v[6:7], v[34:35]
	s_set_vgpr_msb 4                        ;  msbs: dst=0 src0=0 src1=1 src2=0
	s_delay_alu instid0(VALU_DEP_1) | instskip(NEXT) | instid1(VALU_DEP_1)
	v_pk_add_f32 v[6:7], v[6:7], v[38:39] /*v[294:295]*/
	v_pk_add_f32 v[6:7], v[6:7], v[42:43] /*v[298:299]*/
	s_delay_alu instid0(VALU_DEP_1) | instskip(NEXT) | instid1(VALU_DEP_1)
	v_pk_add_f32 v[6:7], v[6:7], v[44:45] /*v[300:301]*/
	v_pk_add_f32 v[6:7], v[6:7], v[46:47] /*v[302:303]*/
	s_delay_alu instid0(VALU_DEP_1) | instskip(NEXT) | instid1(VALU_DEP_1)
	v_pk_add_f32 v[6:7], v[6:7], v[48:49] /*v[304:305]*/
	v_pk_add_f32 v[6:7], v[6:7], v[50:51] /*v[306:307]*/
	s_delay_alu instid0(VALU_DEP_1) | instskip(NEXT) | instid1(VALU_DEP_1)
	v_pk_add_f32 v[6:7], v[6:7], v[52:53] /*v[308:309]*/
	v_pk_add_f32 v[6:7], v[6:7], v[54:55] /*v[310:311]*/
	s_delay_alu instid0(VALU_DEP_1) | instskip(NEXT) | instid1(VALU_DEP_1)
	v_pk_add_f32 v[6:7], v[6:7], v[56:57] /*v[312:313]*/
	v_pk_add_f32 v[6:7], v[6:7], v[58:59] /*v[314:315]*/
	s_delay_alu instid0(VALU_DEP_1) | instskip(NEXT) | instid1(VALU_DEP_1)
	v_pk_add_f32 v[6:7], v[6:7], v[60:61] /*v[316:317]*/
	v_pk_add_f32 v[6:7], v[6:7], v[62:63] /*v[318:319]*/
	s_delay_alu instid0(VALU_DEP_1) | instskip(NEXT) | instid1(VALU_DEP_1)
	v_pk_add_f32 v[6:7], v[6:7], v[64:65] /*v[320:321]*/
	v_pk_add_f32 v[6:7], v[6:7], v[66:67] /*v[322:323]*/
	s_delay_alu instid0(VALU_DEP_1) | instskip(NEXT) | instid1(VALU_DEP_1)
	v_pk_add_f32 v[6:7], v[6:7], v[68:69] /*v[324:325]*/
	v_pk_add_f32 v[6:7], v[6:7], v[70:71] /*v[326:327]*/
	s_delay_alu instid0(VALU_DEP_1)
	v_pk_add_f32 v[6:7], v[6:7], v[72:73] /*v[328:329]*/
.LBB51_145:                             ;   in Loop: Header=BB51_146 Depth=1
	s_add_nc_u64 s[24:25], s[24:25], s[22:23]
	s_set_vgpr_msb 0                        ;  msbs: dst=0 src0=0 src1=0 src2=0
	v_add_nc_u64_e32 v[166:167], s[8:9], v[166:167]
	v_cmp_ge_i64_e64 s2, s[24:25], s[4:5]
	v_add_nc_u64_e32 v[168:169], s[8:9], v[168:169]
	v_add_nc_u64_e32 v[38:39], s[8:9], v[38:39]
	;; [unrolled: 1-line block ×107, first 2 shown]
	s_set_vgpr_msb 0x44                     ;  msbs: dst=1 src0=0 src1=1 src2=0
	v_add_nc_u64_e32 v[0:1] /*v[256:257]*/, s[8:9], v[0:1] /*v[256:257]*/
	v_add_nc_u64_e32 v[2:3] /*v[258:259]*/, s[8:9], v[2:3] /*v[258:259]*/
	;; [unrolled: 1-line block ×19, first 2 shown]
	s_set_vgpr_msb 0                        ;  msbs: dst=0 src0=0 src1=0 src2=0
	v_pk_add_f32 v[36:37], v[6:7], v[4:5]
	s_and_b32 vcc_lo, exec_lo, s2
	s_add_nc_u64 s[10:11], s[10:11], s[22:23]
	s_cbranch_vccnz .LBB51_217
.LBB51_146:                             ; =>This Inner Loop Header: Depth=1
	s_add_nc_u64 s[26:27], s[18:19], s[10:11]
	s_set_vgpr_msb 64                       ;  msbs: dst=1 src0=0 src1=0 src2=0
	v_add_nc_u64_e32 v[38:39] /*v[294:295]*/, s[18:19], v[146:147]
	v_cmp_ge_i64_e64 s2, s[26:27], s[4:5]
                                        ; implicit-def: $vgpr6_vgpr7
                                        ; implicit-def: $vgpr4_vgpr5
	s_and_b32 vcc_lo, exec_lo, s2
	s_mov_b32 s2, -1
	s_set_vgpr_msb 0                        ;  msbs: dst=0 src0=0 src1=0 src2=0
	s_cbranch_vccz .LBB51_214
; %bb.147:                              ;   in Loop: Header=BB51_146 Depth=1
	s_load_b32 s2, s[20:21], 0xc
	s_set_vgpr_msb 64                       ;  msbs: dst=1 src0=0 src1=0 src2=0
	v_dual_mov_b32 v43 /*v299*/, 0 :: v_dual_mov_b32 v42 /*v298*/, 0
	v_mov_b32_e32 v41 /*v297*/, 0
	s_wait_kmcnt 0x0
	s_and_b32 s2, s2, 0xffff
	s_set_vgpr_msb 16                       ;  msbs: dst=0 src0=0 src1=0 src2=1
	v_mad_u32_u24 v3, v1, s2, v40 /*v296*/
	v_mov_b32_e32 v5, v2
	s_mov_b32 s2, exec_lo
	s_delay_alu instid0(VALU_DEP_2) | instskip(SKIP_1) | instid1(VALU_DEP_1)
	v_and_b32_e32 v4, 31, v3
	s_set_vgpr_msb 1                        ;  msbs: dst=0 src0=1 src1=0 src2=0
	v_add_nc_u64_e32 v[4:5], v[38:39] /*v[294:295]*/, v[4:5]
	s_delay_alu instid0(VALU_DEP_1)
	v_cmpx_gt_i64_e64 s[4:5], v[4:5]
	s_set_vgpr_msb 0                        ;  msbs: dst=0 src0=0 src1=0 src2=0
	s_cbranch_execz .LBB51_149
; %bb.148:                              ;   in Loop: Header=BB51_146 Depth=1
	v_lshlrev_b64_e32 v[4:5], 2, v[4:5]
	s_delay_alu instid0(VALU_DEP_1)
	v_add_nc_u64_e32 v[6:7], s[12:13], v[4:5]
	v_add_nc_u64_e32 v[4:5], s[14:15], v[4:5]
	s_set_vgpr_msb 64                       ;  msbs: dst=1 src0=0 src1=0 src2=0
	global_load_b32 v41 /*v297*/, v[6:7], off
	global_load_b32 v42 /*v298*/, v[4:5], off
.LBB51_149:                             ;   in Loop: Header=BB51_146 Depth=1
	s_wait_xcnt 0x0
	s_or_b32 exec_lo, exec_lo, s2
	s_set_vgpr_msb 4                        ;  msbs: dst=0 src0=0 src1=1 src2=0
	v_dual_mov_b32 v31, v2 :: v_dual_mov_b32 v32, v2
	v_dual_mov_b32 v33, v2 :: v_dual_mov_b32 v3, v2
	v_dual_mov_b32 v4, v2 :: v_dual_mov_b32 v5, v2
	v_dual_mov_b32 v6, v2 :: v_dual_mov_b32 v7, v2
	v_dual_mov_b32 v8, v2 :: v_dual_mov_b32 v9, v2
	v_dual_mov_b32 v10, v2 :: v_dual_mov_b32 v11, v2
	v_dual_mov_b32 v12, v2 :: v_dual_mov_b32 v13, v2
	v_dual_mov_b32 v14, v2 :: v_dual_mov_b32 v15, v2
	v_dual_mov_b32 v16, v2 :: v_dual_mov_b32 v17, v2
	v_dual_mov_b32 v18, v2 :: v_dual_mov_b32 v19, v2
	v_dual_mov_b32 v20, v2 :: v_dual_mov_b32 v21, v2
	v_dual_mov_b32 v22, v2 :: v_dual_mov_b32 v23, v2
	v_dual_mov_b32 v24, v2 :: v_dual_mov_b32 v25, v2
	v_dual_mov_b32 v26, v2 :: v_dual_mov_b32 v27, v2
	v_dual_mov_b32 v28, v2 :: v_dual_mov_b32 v29, v2
	v_mov_b32_e32 v30, v2
	v_mov_b64_e32 v[34:35], v[32:33]
	s_delay_alu instid0(VALU_DEP_2) | instskip(NEXT) | instid1(VALU_DEP_4)
	v_mov_b64_e32 v[32:33], v[30:31]
	v_mov_b64_e32 v[30:31], v[28:29]
	;; [unrolled: 1-line block ×15, first 2 shown]
	s_mov_b32 s2, exec_lo
	v_cmpx_gt_i64_e64 s[4:5], v[38:39] /*v[294:295]*/
	s_set_vgpr_msb 0                        ;  msbs: dst=0 src0=0 src1=0 src2=0
	s_cbranch_execz .LBB51_151
; %bb.150:                              ;   in Loop: Header=BB51_146 Depth=1
	v_add_nc_u64_e32 v[6:7], v[166:167], v[164:165]
	v_add_nc_u64_e32 v[8:9], v[168:169], v[164:165]
	v_dual_mov_b32 v5, v2 :: v_dual_mov_b32 v11, v2
	v_dual_mov_b32 v12, v2 :: v_dual_mov_b32 v13, v2
	v_mov_b32_e32 v14, v2
	global_load_b32 v4, v[6:7], off
	s_set_vgpr_msb 64                       ;  msbs: dst=1 src0=0 src1=0 src2=0
	global_load_b32 v43 /*v299*/, v[8:9], off
	s_wait_xcnt 0x1
	s_set_vgpr_msb 0                        ;  msbs: dst=0 src0=0 src1=0 src2=0
	v_dual_mov_b32 v6, v2 :: v_dual_mov_b32 v7, v2
	s_wait_xcnt 0x0
	v_dual_mov_b32 v8, v2 :: v_dual_mov_b32 v9, v2
	v_dual_mov_b32 v10, v2 :: v_dual_mov_b32 v15, v2
	;; [unrolled: 1-line block ×12, first 2 shown]
.LBB51_151:                             ;   in Loop: Header=BB51_146 Depth=1
	s_or_b32 exec_lo, exec_lo, s2
	s_set_vgpr_msb 0x44                     ;  msbs: dst=1 src0=0 src1=1 src2=0
	v_add_nc_u64_e32 v[44:45] /*v[300:301]*/, 1, v[38:39] /*v[294:295]*/
	s_set_vgpr_msb 4                        ;  msbs: dst=0 src0=0 src1=1 src2=0
	v_mov_b32_e32 v3, 0
	s_delay_alu instid0(VALU_DEP_2)
	v_cmp_gt_i64_e32 vcc_lo, s[4:5], v[44:45] /*v[300:301]*/
	s_set_vgpr_msb 64                       ;  msbs: dst=1 src0=0 src1=0 src2=0
	v_mov_b32_e32 v44 /*v300*/, 0
	s_and_saveexec_b32 s2, vcc_lo
	s_set_vgpr_msb 0                        ;  msbs: dst=0 src0=0 src1=0 src2=0
	s_cbranch_execz .LBB51_153
; %bb.152:                              ;   in Loop: Header=BB51_146 Depth=1
	s_set_vgpr_msb 0x41                     ;  msbs: dst=1 src0=1 src1=0 src2=0
	v_add_nc_u64_e32 v[46:47] /*v[302:303]*/, v[34:35] /*v[290:291]*/, v[164:165]
	v_add_nc_u64_e32 v[48:49] /*v[304:305]*/, v[36:37] /*v[292:293]*/, v[164:165]
	s_set_vgpr_msb 1                        ;  msbs: dst=0 src0=1 src1=0 src2=0
	global_load_b32 v5, v[46:47] /*v[302:303]*/, off
	s_set_vgpr_msb 0x41                     ;  msbs: dst=1 src0=1 src1=0 src2=0
	global_load_b32 v44 /*v300*/, v[48:49] /*v[304:305]*/, off
.LBB51_153:                             ;   in Loop: Header=BB51_146 Depth=1
	s_wait_xcnt 0x0
	s_or_b32 exec_lo, exec_lo, s2
	s_set_vgpr_msb 0x44                     ;  msbs: dst=1 src0=0 src1=1 src2=0
	v_add_nc_u64_e32 v[46:47] /*v[302:303]*/, 2, v[38:39] /*v[294:295]*/
	s_mov_b32 s2, exec_lo
	s_delay_alu instid0(VALU_DEP_1)
	v_cmpx_gt_i64_e64 s[4:5], v[46:47] /*v[302:303]*/
	s_set_vgpr_msb 0                        ;  msbs: dst=0 src0=0 src1=0 src2=0
	s_cbranch_execz .LBB51_155
; %bb.154:                              ;   in Loop: Header=BB51_146 Depth=1
	s_set_vgpr_msb 0x41                     ;  msbs: dst=1 src0=1 src1=0 src2=0
	v_add_nc_u64_e32 v[46:47] /*v[302:303]*/, v[30:31] /*v[286:287]*/, v[164:165]
	v_add_nc_u64_e32 v[48:49] /*v[304:305]*/, v[32:33] /*v[288:289]*/, v[164:165]
	s_set_vgpr_msb 1                        ;  msbs: dst=0 src0=1 src1=0 src2=0
	global_load_b32 v6, v[46:47] /*v[302:303]*/, off
	global_load_b32 v3, v[48:49] /*v[304:305]*/, off
.LBB51_155:                             ;   in Loop: Header=BB51_146 Depth=1
	s_wait_xcnt 0x0
	s_or_b32 exec_lo, exec_lo, s2
	s_set_vgpr_msb 0x44                     ;  msbs: dst=1 src0=0 src1=1 src2=0
	v_add_nc_u64_e32 v[46:47] /*v[302:303]*/, 3, v[38:39] /*v[294:295]*/
	v_mov_b32_e32 v45 /*v301*/, 0
	s_delay_alu instid0(VALU_DEP_2)
	v_cmp_gt_i64_e32 vcc_lo, s[4:5], v[46:47] /*v[302:303]*/
	v_mov_b32_e32 v46 /*v302*/, 0
	s_and_saveexec_b32 s2, vcc_lo
	s_set_vgpr_msb 0                        ;  msbs: dst=0 src0=0 src1=0 src2=0
	s_cbranch_execz .LBB51_157
; %bb.156:                              ;   in Loop: Header=BB51_146 Depth=1
	s_set_vgpr_msb 0x41                     ;  msbs: dst=1 src0=1 src1=0 src2=0
	v_add_nc_u64_e32 v[48:49] /*v[304:305]*/, v[26:27] /*v[282:283]*/, v[164:165]
	v_add_nc_u64_e32 v[50:51] /*v[306:307]*/, v[28:29] /*v[284:285]*/, v[164:165]
	s_set_vgpr_msb 1                        ;  msbs: dst=0 src0=1 src1=0 src2=0
	global_load_b32 v7, v[48:49] /*v[304:305]*/, off
	s_set_vgpr_msb 0x41                     ;  msbs: dst=1 src0=1 src1=0 src2=0
	global_load_b32 v46 /*v302*/, v[50:51] /*v[306:307]*/, off
.LBB51_157:                             ;   in Loop: Header=BB51_146 Depth=1
	s_wait_xcnt 0x0
	s_or_b32 exec_lo, exec_lo, s2
	s_set_vgpr_msb 0x44                     ;  msbs: dst=1 src0=0 src1=1 src2=0
	v_add_nc_u64_e32 v[48:49] /*v[304:305]*/, 4, v[38:39] /*v[294:295]*/
	s_mov_b32 s2, exec_lo
	s_delay_alu instid0(VALU_DEP_1)
	v_cmpx_gt_i64_e64 s[4:5], v[48:49] /*v[304:305]*/
	s_set_vgpr_msb 0                        ;  msbs: dst=0 src0=0 src1=0 src2=0
	s_cbranch_execz .LBB51_159
; %bb.158:                              ;   in Loop: Header=BB51_146 Depth=1
	s_set_vgpr_msb 0x41                     ;  msbs: dst=1 src0=1 src1=0 src2=0
	v_add_nc_u64_e32 v[48:49] /*v[304:305]*/, v[22:23] /*v[278:279]*/, v[164:165]
	v_add_nc_u64_e32 v[50:51] /*v[306:307]*/, v[24:25] /*v[280:281]*/, v[164:165]
	s_set_vgpr_msb 1                        ;  msbs: dst=0 src0=1 src1=0 src2=0
	global_load_b32 v8, v[48:49] /*v[304:305]*/, off
	s_set_vgpr_msb 0x41                     ;  msbs: dst=1 src0=1 src1=0 src2=0
	global_load_b32 v45 /*v301*/, v[50:51] /*v[306:307]*/, off
.LBB51_159:                             ;   in Loop: Header=BB51_146 Depth=1
	s_wait_xcnt 0x0
	s_or_b32 exec_lo, exec_lo, s2
	s_set_vgpr_msb 0x44                     ;  msbs: dst=1 src0=0 src1=1 src2=0
	v_add_nc_u64_e32 v[48:49] /*v[304:305]*/, 5, v[38:39] /*v[294:295]*/
	v_mov_b32_e32 v47 /*v303*/, 0
	s_delay_alu instid0(VALU_DEP_2)
	v_cmp_gt_i64_e32 vcc_lo, s[4:5], v[48:49] /*v[304:305]*/
	v_mov_b32_e32 v48 /*v304*/, 0
	s_and_saveexec_b32 s2, vcc_lo
	s_set_vgpr_msb 0                        ;  msbs: dst=0 src0=0 src1=0 src2=0
	s_cbranch_execz .LBB51_161
; %bb.160:                              ;   in Loop: Header=BB51_146 Depth=1
	s_set_vgpr_msb 0x41                     ;  msbs: dst=1 src0=1 src1=0 src2=0
	v_add_nc_u64_e32 v[50:51] /*v[306:307]*/, v[18:19] /*v[274:275]*/, v[164:165]
	v_add_nc_u64_e32 v[52:53] /*v[308:309]*/, v[20:21] /*v[276:277]*/, v[164:165]
	s_set_vgpr_msb 1                        ;  msbs: dst=0 src0=1 src1=0 src2=0
	global_load_b32 v9, v[50:51] /*v[306:307]*/, off
	s_set_vgpr_msb 0x41                     ;  msbs: dst=1 src0=1 src1=0 src2=0
	global_load_b32 v48 /*v304*/, v[52:53] /*v[308:309]*/, off
.LBB51_161:                             ;   in Loop: Header=BB51_146 Depth=1
	s_wait_xcnt 0x0
	s_or_b32 exec_lo, exec_lo, s2
	s_set_vgpr_msb 0x44                     ;  msbs: dst=1 src0=0 src1=1 src2=0
	v_add_nc_u64_e32 v[50:51] /*v[306:307]*/, 6, v[38:39] /*v[294:295]*/
	s_mov_b32 s2, exec_lo
	s_delay_alu instid0(VALU_DEP_1)
	v_cmpx_gt_i64_e64 s[4:5], v[50:51] /*v[306:307]*/
	s_set_vgpr_msb 0                        ;  msbs: dst=0 src0=0 src1=0 src2=0
	s_cbranch_execz .LBB51_163
; %bb.162:                              ;   in Loop: Header=BB51_146 Depth=1
	s_set_vgpr_msb 0x41                     ;  msbs: dst=1 src0=1 src1=0 src2=0
	v_add_nc_u64_e32 v[50:51] /*v[306:307]*/, v[14:15] /*v[270:271]*/, v[164:165]
	v_add_nc_u64_e32 v[52:53] /*v[308:309]*/, v[16:17] /*v[272:273]*/, v[164:165]
	s_set_vgpr_msb 1                        ;  msbs: dst=0 src0=1 src1=0 src2=0
	global_load_b32 v10, v[50:51] /*v[306:307]*/, off
	s_set_vgpr_msb 0x41                     ;  msbs: dst=1 src0=1 src1=0 src2=0
	global_load_b32 v47 /*v303*/, v[52:53] /*v[308:309]*/, off
.LBB51_163:                             ;   in Loop: Header=BB51_146 Depth=1
	;; [unrolled: 38-line block ×3, first 2 shown]
	s_wait_xcnt 0x0
	s_or_b32 exec_lo, exec_lo, s2
	s_set_vgpr_msb 0x44                     ;  msbs: dst=1 src0=0 src1=1 src2=0
	v_add_nc_u64_e32 v[54:55] /*v[310:311]*/, 9, v[38:39] /*v[294:295]*/
	v_dual_mov_b32 v56 /*v312*/, 0 :: v_dual_mov_b32 v58 /*v314*/, 0
	s_mov_b32 s2, exec_lo
	s_delay_alu instid0(VALU_DEP_2)
	v_cmpx_gt_i64_e64 s[4:5], v[54:55] /*v[310:311]*/
	s_set_vgpr_msb 0                        ;  msbs: dst=0 src0=0 src1=0 src2=0
	s_cbranch_execz .LBB51_169
; %bb.168:                              ;   in Loop: Header=BB51_146 Depth=1
	s_set_vgpr_msb 0x41                     ;  msbs: dst=1 src0=1 src1=0 src2=0
	v_add_nc_u64_e32 v[54:55] /*v[310:311]*/, v[2:3] /*v[258:259]*/, v[164:165]
	v_add_nc_u64_e32 v[60:61] /*v[316:317]*/, v[4:5] /*v[260:261]*/, v[164:165]
	s_set_vgpr_msb 1                        ;  msbs: dst=0 src0=1 src1=0 src2=0
	global_load_b32 v13, v[54:55] /*v[310:311]*/, off
	s_set_vgpr_msb 0x41                     ;  msbs: dst=1 src0=1 src1=0 src2=0
	global_load_b32 v58 /*v314*/, v[60:61] /*v[316:317]*/, off
.LBB51_169:                             ;   in Loop: Header=BB51_146 Depth=1
	s_wait_xcnt 0x0
	s_or_b32 exec_lo, exec_lo, s2
	s_set_vgpr_msb 0x44                     ;  msbs: dst=1 src0=0 src1=1 src2=0
	v_add_nc_u64_e32 v[54:55] /*v[310:311]*/, 10, v[38:39] /*v[294:295]*/
	s_mov_b32 s2, exec_lo
	s_delay_alu instid0(VALU_DEP_1)
	v_cmpx_gt_i64_e64 s[4:5], v[54:55] /*v[310:311]*/
	s_set_vgpr_msb 0                        ;  msbs: dst=0 src0=0 src1=0 src2=0
	s_cbranch_execz .LBB51_171
; %bb.170:                              ;   in Loop: Header=BB51_146 Depth=1
	s_set_vgpr_msb 64                       ;  msbs: dst=1 src0=0 src1=0 src2=0
	v_add_nc_u64_e32 v[54:55] /*v[310:311]*/, v[254:255], v[164:165]
	s_set_vgpr_msb 0x41                     ;  msbs: dst=1 src0=1 src1=0 src2=0
	v_add_nc_u64_e32 v[60:61] /*v[316:317]*/, v[0:1] /*v[256:257]*/, v[164:165]
	s_set_vgpr_msb 1                        ;  msbs: dst=0 src0=1 src1=0 src2=0
	global_load_b32 v14, v[54:55] /*v[310:311]*/, off
	s_set_vgpr_msb 0x41                     ;  msbs: dst=1 src0=1 src1=0 src2=0
	global_load_b32 v56 /*v312*/, v[60:61] /*v[316:317]*/, off
.LBB51_171:                             ;   in Loop: Header=BB51_146 Depth=1
	s_wait_xcnt 0x0
	s_or_b32 exec_lo, exec_lo, s2
	s_set_vgpr_msb 0x44                     ;  msbs: dst=1 src0=0 src1=1 src2=0
	v_add_nc_u64_e32 v[54:55] /*v[310:311]*/, 11, v[38:39] /*v[294:295]*/
	v_dual_mov_b32 v49 /*v305*/, 0 :: v_dual_mov_b32 v50 /*v306*/, 0
	s_mov_b32 s2, exec_lo
	s_delay_alu instid0(VALU_DEP_2)
	v_cmpx_gt_i64_e64 s[4:5], v[54:55] /*v[310:311]*/
	s_set_vgpr_msb 0                        ;  msbs: dst=0 src0=0 src1=0 src2=0
	s_cbranch_execz .LBB51_173
; %bb.172:                              ;   in Loop: Header=BB51_146 Depth=1
	s_set_vgpr_msb 64                       ;  msbs: dst=1 src0=0 src1=0 src2=0
	v_add_nc_u64_e32 v[54:55] /*v[310:311]*/, v[250:251], v[164:165]
	v_add_nc_u64_e32 v[60:61] /*v[316:317]*/, v[252:253], v[164:165]
	s_set_vgpr_msb 1                        ;  msbs: dst=0 src0=1 src1=0 src2=0
	global_load_b32 v15, v[54:55] /*v[310:311]*/, off
	s_set_vgpr_msb 0x41                     ;  msbs: dst=1 src0=1 src1=0 src2=0
	global_load_b32 v50 /*v306*/, v[60:61] /*v[316:317]*/, off
.LBB51_173:                             ;   in Loop: Header=BB51_146 Depth=1
	s_wait_xcnt 0x0
	s_or_b32 exec_lo, exec_lo, s2
	s_set_vgpr_msb 0x44                     ;  msbs: dst=1 src0=0 src1=1 src2=0
	v_add_nc_u64_e32 v[54:55] /*v[310:311]*/, 12, v[38:39] /*v[294:295]*/
	s_mov_b32 s2, exec_lo
	s_delay_alu instid0(VALU_DEP_1)
	v_cmpx_gt_i64_e64 s[4:5], v[54:55] /*v[310:311]*/
	s_set_vgpr_msb 0                        ;  msbs: dst=0 src0=0 src1=0 src2=0
	s_cbranch_execz .LBB51_175
; %bb.174:                              ;   in Loop: Header=BB51_146 Depth=1
	s_set_vgpr_msb 64                       ;  msbs: dst=1 src0=0 src1=0 src2=0
	v_add_nc_u64_e32 v[54:55] /*v[310:311]*/, v[246:247], v[164:165]
	v_add_nc_u64_e32 v[60:61] /*v[316:317]*/, v[248:249], v[164:165]
	s_set_vgpr_msb 1                        ;  msbs: dst=0 src0=1 src1=0 src2=0
	global_load_b32 v16, v[54:55] /*v[310:311]*/, off
	s_set_vgpr_msb 0x41                     ;  msbs: dst=1 src0=1 src1=0 src2=0
	global_load_b32 v49 /*v305*/, v[60:61] /*v[316:317]*/, off
.LBB51_175:                             ;   in Loop: Header=BB51_146 Depth=1
	s_wait_xcnt 0x0
	s_or_b32 exec_lo, exec_lo, s2
	s_set_vgpr_msb 0x44                     ;  msbs: dst=1 src0=0 src1=1 src2=0
	v_add_nc_u64_e32 v[54:55] /*v[310:311]*/, 13, v[38:39] /*v[294:295]*/
	v_mov_b32_e32 v52 /*v308*/, 0
	s_delay_alu instid0(VALU_DEP_2)
	v_cmp_gt_i64_e32 vcc_lo, s[4:5], v[54:55] /*v[310:311]*/
	v_mov_b32_e32 v54 /*v310*/, 0
	s_and_saveexec_b32 s2, vcc_lo
	s_set_vgpr_msb 0                        ;  msbs: dst=0 src0=0 src1=0 src2=0
	s_cbranch_execz .LBB51_177
; %bb.176:                              ;   in Loop: Header=BB51_146 Depth=1
	s_set_vgpr_msb 64                       ;  msbs: dst=1 src0=0 src1=0 src2=0
	v_add_nc_u64_e32 v[60:61] /*v[316:317]*/, v[242:243], v[164:165]
	v_add_nc_u64_e32 v[62:63] /*v[318:319]*/, v[244:245], v[164:165]
	s_set_vgpr_msb 1                        ;  msbs: dst=0 src0=1 src1=0 src2=0
	global_load_b32 v17, v[60:61] /*v[316:317]*/, off
	s_set_vgpr_msb 0x41                     ;  msbs: dst=1 src0=1 src1=0 src2=0
	global_load_b32 v54 /*v310*/, v[62:63] /*v[318:319]*/, off
.LBB51_177:                             ;   in Loop: Header=BB51_146 Depth=1
	s_wait_xcnt 0x0
	s_or_b32 exec_lo, exec_lo, s2
	s_set_vgpr_msb 0x44                     ;  msbs: dst=1 src0=0 src1=1 src2=0
	v_add_nc_u64_e32 v[60:61] /*v[316:317]*/, 14, v[38:39] /*v[294:295]*/
	s_mov_b32 s2, exec_lo
	s_delay_alu instid0(VALU_DEP_1)
	v_cmpx_gt_i64_e64 s[4:5], v[60:61] /*v[316:317]*/
	s_set_vgpr_msb 0                        ;  msbs: dst=0 src0=0 src1=0 src2=0
	s_cbranch_execz .LBB51_179
; %bb.178:                              ;   in Loop: Header=BB51_146 Depth=1
	s_set_vgpr_msb 64                       ;  msbs: dst=1 src0=0 src1=0 src2=0
	v_add_nc_u64_e32 v[60:61] /*v[316:317]*/, v[238:239], v[164:165]
	v_add_nc_u64_e32 v[62:63] /*v[318:319]*/, v[240:241], v[164:165]
	s_set_vgpr_msb 1                        ;  msbs: dst=0 src0=1 src1=0 src2=0
	global_load_b32 v18, v[60:61] /*v[316:317]*/, off
	s_set_vgpr_msb 0x41                     ;  msbs: dst=1 src0=1 src1=0 src2=0
	global_load_b32 v52 /*v308*/, v[62:63] /*v[318:319]*/, off
.LBB51_179:                             ;   in Loop: Header=BB51_146 Depth=1
	s_wait_xcnt 0x0
	s_or_b32 exec_lo, exec_lo, s2
	s_set_vgpr_msb 0x44                     ;  msbs: dst=1 src0=0 src1=1 src2=0
	v_add_nc_u64_e32 v[60:61] /*v[316:317]*/, 15, v[38:39] /*v[294:295]*/
	v_dual_mov_b32 v55 /*v311*/, 0 :: v_dual_mov_b32 v59 /*v315*/, 0
	s_mov_b32 s2, exec_lo
	s_delay_alu instid0(VALU_DEP_2)
	v_cmpx_gt_i64_e64 s[4:5], v[60:61] /*v[316:317]*/
	s_set_vgpr_msb 0                        ;  msbs: dst=0 src0=0 src1=0 src2=0
	s_cbranch_execz .LBB51_181
; %bb.180:                              ;   in Loop: Header=BB51_146 Depth=1
	s_set_vgpr_msb 64                       ;  msbs: dst=1 src0=0 src1=0 src2=0
	v_add_nc_u64_e32 v[60:61] /*v[316:317]*/, v[234:235], v[164:165]
	v_add_nc_u64_e32 v[62:63] /*v[318:319]*/, v[236:237], v[164:165]
	s_set_vgpr_msb 1                        ;  msbs: dst=0 src0=1 src1=0 src2=0
	global_load_b32 v19, v[60:61] /*v[316:317]*/, off
	s_set_vgpr_msb 0x41                     ;  msbs: dst=1 src0=1 src1=0 src2=0
	global_load_b32 v59 /*v315*/, v[62:63] /*v[318:319]*/, off
.LBB51_181:                             ;   in Loop: Header=BB51_146 Depth=1
	s_wait_xcnt 0x0
	s_or_b32 exec_lo, exec_lo, s2
	s_set_vgpr_msb 0x44                     ;  msbs: dst=1 src0=0 src1=1 src2=0
	v_add_nc_u64_e32 v[60:61] /*v[316:317]*/, 16, v[38:39] /*v[294:295]*/
	s_mov_b32 s2, exec_lo
	s_delay_alu instid0(VALU_DEP_1)
	v_cmpx_gt_i64_e64 s[4:5], v[60:61] /*v[316:317]*/
	s_set_vgpr_msb 0                        ;  msbs: dst=0 src0=0 src1=0 src2=0
	s_cbranch_execz .LBB51_183
; %bb.182:                              ;   in Loop: Header=BB51_146 Depth=1
	s_set_vgpr_msb 64                       ;  msbs: dst=1 src0=0 src1=0 src2=0
	v_add_nc_u64_e32 v[60:61] /*v[316:317]*/, v[230:231], v[164:165]
	v_add_nc_u64_e32 v[62:63] /*v[318:319]*/, v[232:233], v[164:165]
	s_set_vgpr_msb 1                        ;  msbs: dst=0 src0=1 src1=0 src2=0
	global_load_b32 v20, v[60:61] /*v[316:317]*/, off
	s_set_vgpr_msb 0x41                     ;  msbs: dst=1 src0=1 src1=0 src2=0
	global_load_b32 v55 /*v311*/, v[62:63] /*v[318:319]*/, off
.LBB51_183:                             ;   in Loop: Header=BB51_146 Depth=1
	s_wait_xcnt 0x0
	s_or_b32 exec_lo, exec_lo, s2
	s_set_vgpr_msb 0x44                     ;  msbs: dst=1 src0=0 src1=1 src2=0
	v_add_nc_u64_e32 v[60:61] /*v[316:317]*/, 17, v[38:39] /*v[294:295]*/
	s_delay_alu instid0(VALU_DEP_1)
	v_cmp_gt_i64_e32 vcc_lo, s[4:5], v[60:61] /*v[316:317]*/
	v_dual_mov_b32 v60 /*v316*/, 0 :: v_dual_mov_b32 v61 /*v317*/, 0
	s_and_saveexec_b32 s2, vcc_lo
	s_set_vgpr_msb 0                        ;  msbs: dst=0 src0=0 src1=0 src2=0
	s_cbranch_execz .LBB51_185
; %bb.184:                              ;   in Loop: Header=BB51_146 Depth=1
	s_set_vgpr_msb 64                       ;  msbs: dst=1 src0=0 src1=0 src2=0
	v_add_nc_u64_e32 v[62:63] /*v[318:319]*/, v[226:227], v[164:165]
	v_add_nc_u64_e32 v[64:65] /*v[320:321]*/, v[228:229], v[164:165]
	s_set_vgpr_msb 1                        ;  msbs: dst=0 src0=1 src1=0 src2=0
	global_load_b32 v21, v[62:63] /*v[318:319]*/, off
	s_set_vgpr_msb 0x41                     ;  msbs: dst=1 src0=1 src1=0 src2=0
	global_load_b32 v61 /*v317*/, v[64:65] /*v[320:321]*/, off
.LBB51_185:                             ;   in Loop: Header=BB51_146 Depth=1
	s_wait_xcnt 0x0
	s_or_b32 exec_lo, exec_lo, s2
	s_set_vgpr_msb 0x44                     ;  msbs: dst=1 src0=0 src1=1 src2=0
	v_add_nc_u64_e32 v[62:63] /*v[318:319]*/, 18, v[38:39] /*v[294:295]*/
	s_mov_b32 s2, exec_lo
	s_delay_alu instid0(VALU_DEP_1)
	v_cmpx_gt_i64_e64 s[4:5], v[62:63] /*v[318:319]*/
	s_set_vgpr_msb 0                        ;  msbs: dst=0 src0=0 src1=0 src2=0
	s_cbranch_execz .LBB51_187
; %bb.186:                              ;   in Loop: Header=BB51_146 Depth=1
	s_set_vgpr_msb 64                       ;  msbs: dst=1 src0=0 src1=0 src2=0
	v_add_nc_u64_e32 v[62:63] /*v[318:319]*/, v[222:223], v[164:165]
	v_add_nc_u64_e32 v[64:65] /*v[320:321]*/, v[224:225], v[164:165]
	s_set_vgpr_msb 1                        ;  msbs: dst=0 src0=1 src1=0 src2=0
	global_load_b32 v22, v[62:63] /*v[318:319]*/, off
	s_set_vgpr_msb 0x41                     ;  msbs: dst=1 src0=1 src1=0 src2=0
	global_load_b32 v60 /*v316*/, v[64:65] /*v[320:321]*/, off
.LBB51_187:                             ;   in Loop: Header=BB51_146 Depth=1
	s_wait_xcnt 0x0
	s_or_b32 exec_lo, exec_lo, s2
	s_set_vgpr_msb 0x44                     ;  msbs: dst=1 src0=0 src1=1 src2=0
	v_add_nc_u64_e32 v[62:63] /*v[318:319]*/, 19, v[38:39] /*v[294:295]*/
	v_dual_mov_b32 v66 /*v322*/, 0 :: v_dual_mov_b32 v67 /*v323*/, 0
	s_mov_b32 s2, exec_lo
	s_delay_alu instid0(VALU_DEP_2)
	v_cmpx_gt_i64_e64 s[4:5], v[62:63] /*v[318:319]*/
	s_set_vgpr_msb 0                        ;  msbs: dst=0 src0=0 src1=0 src2=0
	s_cbranch_execz .LBB51_189
; %bb.188:                              ;   in Loop: Header=BB51_146 Depth=1
	s_set_vgpr_msb 64                       ;  msbs: dst=1 src0=0 src1=0 src2=0
	v_add_nc_u64_e32 v[62:63] /*v[318:319]*/, v[218:219], v[164:165]
	v_add_nc_u64_e32 v[64:65] /*v[320:321]*/, v[220:221], v[164:165]
	s_set_vgpr_msb 1                        ;  msbs: dst=0 src0=1 src1=0 src2=0
	global_load_b32 v23, v[62:63] /*v[318:319]*/, off
	s_set_vgpr_msb 0x41                     ;  msbs: dst=1 src0=1 src1=0 src2=0
	global_load_b32 v67 /*v323*/, v[64:65] /*v[320:321]*/, off
.LBB51_189:                             ;   in Loop: Header=BB51_146 Depth=1
	s_wait_xcnt 0x0
	s_or_b32 exec_lo, exec_lo, s2
	s_set_vgpr_msb 0x44                     ;  msbs: dst=1 src0=0 src1=1 src2=0
	v_add_nc_u64_e32 v[62:63] /*v[318:319]*/, 20, v[38:39] /*v[294:295]*/
	s_mov_b32 s2, exec_lo
	s_delay_alu instid0(VALU_DEP_1)
	v_cmpx_gt_i64_e64 s[4:5], v[62:63] /*v[318:319]*/
	s_set_vgpr_msb 0                        ;  msbs: dst=0 src0=0 src1=0 src2=0
	s_cbranch_execz .LBB51_191
; %bb.190:                              ;   in Loop: Header=BB51_146 Depth=1
	s_set_vgpr_msb 64                       ;  msbs: dst=1 src0=0 src1=0 src2=0
	v_add_nc_u64_e32 v[62:63] /*v[318:319]*/, v[214:215], v[164:165]
	v_add_nc_u64_e32 v[64:65] /*v[320:321]*/, v[216:217], v[164:165]
	s_set_vgpr_msb 1                        ;  msbs: dst=0 src0=1 src1=0 src2=0
	global_load_b32 v24, v[62:63] /*v[318:319]*/, off
	s_set_vgpr_msb 0x41                     ;  msbs: dst=1 src0=1 src1=0 src2=0
	global_load_b32 v66 /*v322*/, v[64:65] /*v[320:321]*/, off
.LBB51_191:                             ;   in Loop: Header=BB51_146 Depth=1
	s_wait_xcnt 0x0
	s_or_b32 exec_lo, exec_lo, s2
	s_set_vgpr_msb 0x44                     ;  msbs: dst=1 src0=0 src1=1 src2=0
	v_add_nc_u64_e32 v[62:63] /*v[318:319]*/, 21, v[38:39] /*v[294:295]*/
	v_dual_mov_b32 v57 /*v313*/, 0 :: v_dual_mov_b32 v72 /*v328*/, 0
	s_mov_b32 s2, exec_lo
	s_delay_alu instid0(VALU_DEP_2)
	v_cmpx_gt_i64_e64 s[4:5], v[62:63] /*v[318:319]*/
	s_set_vgpr_msb 0                        ;  msbs: dst=0 src0=0 src1=0 src2=0
	s_cbranch_execz .LBB51_193
; %bb.192:                              ;   in Loop: Header=BB51_146 Depth=1
	s_set_vgpr_msb 64                       ;  msbs: dst=1 src0=0 src1=0 src2=0
	v_add_nc_u64_e32 v[62:63] /*v[318:319]*/, v[210:211], v[164:165]
	v_add_nc_u64_e32 v[64:65] /*v[320:321]*/, v[212:213], v[164:165]
	s_set_vgpr_msb 1                        ;  msbs: dst=0 src0=1 src1=0 src2=0
	global_load_b32 v25, v[62:63] /*v[318:319]*/, off
	s_set_vgpr_msb 0x41                     ;  msbs: dst=1 src0=1 src1=0 src2=0
	global_load_b32 v72 /*v328*/, v[64:65] /*v[320:321]*/, off
.LBB51_193:                             ;   in Loop: Header=BB51_146 Depth=1
	s_wait_xcnt 0x0
	s_or_b32 exec_lo, exec_lo, s2
	s_set_vgpr_msb 0x44                     ;  msbs: dst=1 src0=0 src1=1 src2=0
	v_add_nc_u64_e32 v[62:63] /*v[318:319]*/, 22, v[38:39] /*v[294:295]*/
	s_mov_b32 s2, exec_lo
	s_delay_alu instid0(VALU_DEP_1)
	v_cmpx_gt_i64_e64 s[4:5], v[62:63] /*v[318:319]*/
	s_set_vgpr_msb 0                        ;  msbs: dst=0 src0=0 src1=0 src2=0
	s_cbranch_execz .LBB51_195
; %bb.194:                              ;   in Loop: Header=BB51_146 Depth=1
	s_set_vgpr_msb 64                       ;  msbs: dst=1 src0=0 src1=0 src2=0
	v_add_nc_u64_e32 v[62:63] /*v[318:319]*/, v[206:207], v[164:165]
	v_add_nc_u64_e32 v[64:65] /*v[320:321]*/, v[208:209], v[164:165]
	s_set_vgpr_msb 1                        ;  msbs: dst=0 src0=1 src1=0 src2=0
	global_load_b32 v26, v[62:63] /*v[318:319]*/, off
	s_set_vgpr_msb 0x41                     ;  msbs: dst=1 src0=1 src1=0 src2=0
	global_load_b32 v57 /*v313*/, v[64:65] /*v[320:321]*/, off
.LBB51_195:                             ;   in Loop: Header=BB51_146 Depth=1
	s_wait_xcnt 0x0
	s_or_b32 exec_lo, exec_lo, s2
	s_set_vgpr_msb 0x44                     ;  msbs: dst=1 src0=0 src1=1 src2=0
	v_add_nc_u64_e32 v[62:63] /*v[318:319]*/, 23, v[38:39] /*v[294:295]*/
	s_delay_alu instid0(VALU_DEP_1)
	v_cmp_gt_i64_e32 vcc_lo, s[4:5], v[62:63] /*v[318:319]*/
	v_dual_mov_b32 v62 /*v318*/, 0 :: v_dual_mov_b32 v63 /*v319*/, 0
	s_and_saveexec_b32 s2, vcc_lo
	s_set_vgpr_msb 0                        ;  msbs: dst=0 src0=0 src1=0 src2=0
	s_cbranch_execz .LBB51_197
; %bb.196:                              ;   in Loop: Header=BB51_146 Depth=1
	s_set_vgpr_msb 64                       ;  msbs: dst=1 src0=0 src1=0 src2=0
	v_add_nc_u64_e32 v[64:65] /*v[320:321]*/, v[202:203], v[164:165]
	v_add_nc_u64_e32 v[68:69] /*v[324:325]*/, v[204:205], v[164:165]
	s_set_vgpr_msb 1                        ;  msbs: dst=0 src0=1 src1=0 src2=0
	global_load_b32 v27, v[64:65] /*v[320:321]*/, off
	s_set_vgpr_msb 0x41                     ;  msbs: dst=1 src0=1 src1=0 src2=0
	global_load_b32 v63 /*v319*/, v[68:69] /*v[324:325]*/, off
.LBB51_197:                             ;   in Loop: Header=BB51_146 Depth=1
	s_wait_xcnt 0x0
	s_or_b32 exec_lo, exec_lo, s2
	s_set_vgpr_msb 0x44                     ;  msbs: dst=1 src0=0 src1=1 src2=0
	v_add_nc_u64_e32 v[64:65] /*v[320:321]*/, 24, v[38:39] /*v[294:295]*/
	s_mov_b32 s2, exec_lo
	s_delay_alu instid0(VALU_DEP_1)
	v_cmpx_gt_i64_e64 s[4:5], v[64:65] /*v[320:321]*/
	s_set_vgpr_msb 0                        ;  msbs: dst=0 src0=0 src1=0 src2=0
	s_cbranch_execz .LBB51_199
; %bb.198:                              ;   in Loop: Header=BB51_146 Depth=1
	s_set_vgpr_msb 64                       ;  msbs: dst=1 src0=0 src1=0 src2=0
	v_add_nc_u64_e32 v[64:65] /*v[320:321]*/, v[198:199], v[164:165]
	v_add_nc_u64_e32 v[68:69] /*v[324:325]*/, v[200:201], v[164:165]
	s_set_vgpr_msb 1                        ;  msbs: dst=0 src0=1 src1=0 src2=0
	global_load_b32 v28, v[64:65] /*v[320:321]*/, off
	s_set_vgpr_msb 0x41                     ;  msbs: dst=1 src0=1 src1=0 src2=0
	global_load_b32 v62 /*v318*/, v[68:69] /*v[324:325]*/, off
.LBB51_199:                             ;   in Loop: Header=BB51_146 Depth=1
	s_wait_xcnt 0x0
	s_or_b32 exec_lo, exec_lo, s2
	s_set_vgpr_msb 0x44                     ;  msbs: dst=1 src0=0 src1=1 src2=0
	v_add_nc_u64_e32 v[64:65] /*v[320:321]*/, 25, v[38:39] /*v[294:295]*/
	v_mov_b32_e32 v68 /*v324*/, 0
	s_delay_alu instid0(VALU_DEP_2)
	v_cmp_gt_i64_e32 vcc_lo, s[4:5], v[64:65] /*v[320:321]*/
	v_mov_b32_e32 v64 /*v320*/, 0
	s_and_saveexec_b32 s2, vcc_lo
	s_set_vgpr_msb 0                        ;  msbs: dst=0 src0=0 src1=0 src2=0
	s_cbranch_execz .LBB51_201
; %bb.200:                              ;   in Loop: Header=BB51_146 Depth=1
	s_set_vgpr_msb 64                       ;  msbs: dst=1 src0=0 src1=0 src2=0
	v_add_nc_u64_e32 v[70:71] /*v[326:327]*/, v[194:195], v[164:165]
	v_add_nc_u64_e32 v[74:75] /*v[330:331]*/, v[196:197], v[164:165]
	s_set_vgpr_msb 1                        ;  msbs: dst=0 src0=1 src1=0 src2=0
	global_load_b32 v29, v[70:71] /*v[326:327]*/, off
	s_set_vgpr_msb 0x41                     ;  msbs: dst=1 src0=1 src1=0 src2=0
	global_load_b32 v68 /*v324*/, v[74:75] /*v[330:331]*/, off
.LBB51_201:                             ;   in Loop: Header=BB51_146 Depth=1
	s_wait_xcnt 0x0
	s_or_b32 exec_lo, exec_lo, s2
	s_set_vgpr_msb 0x44                     ;  msbs: dst=1 src0=0 src1=1 src2=0
	v_add_nc_u64_e32 v[70:71] /*v[326:327]*/, 26, v[38:39] /*v[294:295]*/
	s_mov_b32 s2, exec_lo
	s_delay_alu instid0(VALU_DEP_1)
	v_cmpx_gt_i64_e64 s[4:5], v[70:71] /*v[326:327]*/
	s_set_vgpr_msb 0                        ;  msbs: dst=0 src0=0 src1=0 src2=0
	s_cbranch_execz .LBB51_203
; %bb.202:                              ;   in Loop: Header=BB51_146 Depth=1
	s_set_vgpr_msb 64                       ;  msbs: dst=1 src0=0 src1=0 src2=0
	v_add_nc_u64_e32 v[70:71] /*v[326:327]*/, v[190:191], v[164:165]
	v_add_nc_u64_e32 v[74:75] /*v[330:331]*/, v[192:193], v[164:165]
	s_set_vgpr_msb 1                        ;  msbs: dst=0 src0=1 src1=0 src2=0
	global_load_b32 v30, v[70:71] /*v[326:327]*/, off
	s_set_vgpr_msb 0x41                     ;  msbs: dst=1 src0=1 src1=0 src2=0
	global_load_b32 v64 /*v320*/, v[74:75] /*v[330:331]*/, off
.LBB51_203:                             ;   in Loop: Header=BB51_146 Depth=1
	s_wait_xcnt 0x0
	s_or_b32 exec_lo, exec_lo, s2
	s_set_vgpr_msb 0x44                     ;  msbs: dst=1 src0=0 src1=1 src2=0
	v_add_nc_u64_e32 v[70:71] /*v[326:327]*/, 27, v[38:39] /*v[294:295]*/
	s_delay_alu instid0(VALU_DEP_1)
	v_cmp_gt_i64_e32 vcc_lo, s[4:5], v[70:71] /*v[326:327]*/
	v_dual_mov_b32 v70 /*v326*/, 0 :: v_dual_mov_b32 v71 /*v327*/, 0
	s_and_saveexec_b32 s2, vcc_lo
	s_set_vgpr_msb 0                        ;  msbs: dst=0 src0=0 src1=0 src2=0
	s_cbranch_execz .LBB51_205
; %bb.204:                              ;   in Loop: Header=BB51_146 Depth=1
	s_set_vgpr_msb 64                       ;  msbs: dst=1 src0=0 src1=0 src2=0
	v_add_nc_u64_e32 v[74:75] /*v[330:331]*/, v[186:187], v[164:165]
	v_add_nc_u64_e32 v[76:77] /*v[332:333]*/, v[188:189], v[164:165]
	s_set_vgpr_msb 1                        ;  msbs: dst=0 src0=1 src1=0 src2=0
	global_load_b32 v31, v[74:75] /*v[330:331]*/, off
	s_set_vgpr_msb 0x41                     ;  msbs: dst=1 src0=1 src1=0 src2=0
	global_load_b32 v71 /*v327*/, v[76:77] /*v[332:333]*/, off
.LBB51_205:                             ;   in Loop: Header=BB51_146 Depth=1
	s_wait_xcnt 0x0
	s_or_b32 exec_lo, exec_lo, s2
	s_set_vgpr_msb 0x44                     ;  msbs: dst=1 src0=0 src1=1 src2=0
	v_add_nc_u64_e32 v[74:75] /*v[330:331]*/, 28, v[38:39] /*v[294:295]*/
	s_mov_b32 s2, exec_lo
	s_delay_alu instid0(VALU_DEP_1)
	v_cmpx_gt_i64_e64 s[4:5], v[74:75] /*v[330:331]*/
	s_set_vgpr_msb 0                        ;  msbs: dst=0 src0=0 src1=0 src2=0
	s_cbranch_execz .LBB51_207
; %bb.206:                              ;   in Loop: Header=BB51_146 Depth=1
	s_set_vgpr_msb 64                       ;  msbs: dst=1 src0=0 src1=0 src2=0
	v_add_nc_u64_e32 v[74:75] /*v[330:331]*/, v[182:183], v[164:165]
	v_add_nc_u64_e32 v[76:77] /*v[332:333]*/, v[184:185], v[164:165]
	s_set_vgpr_msb 1                        ;  msbs: dst=0 src0=1 src1=0 src2=0
	global_load_b32 v32, v[74:75] /*v[330:331]*/, off
	s_set_vgpr_msb 0x41                     ;  msbs: dst=1 src0=1 src1=0 src2=0
	global_load_b32 v70 /*v326*/, v[76:77] /*v[332:333]*/, off
.LBB51_207:                             ;   in Loop: Header=BB51_146 Depth=1
	s_wait_xcnt 0x0
	s_or_b32 exec_lo, exec_lo, s2
	s_set_vgpr_msb 0x44                     ;  msbs: dst=1 src0=0 src1=1 src2=0
	v_add_nc_u64_e32 v[74:75] /*v[330:331]*/, 29, v[38:39] /*v[294:295]*/
	v_dual_mov_b32 v65 /*v321*/, 0 :: v_dual_mov_b32 v73 /*v329*/, 0
	s_mov_b32 s2, exec_lo
	s_delay_alu instid0(VALU_DEP_2)
	v_cmpx_gt_i64_e64 s[4:5], v[74:75] /*v[330:331]*/
	s_set_vgpr_msb 0                        ;  msbs: dst=0 src0=0 src1=0 src2=0
	s_cbranch_execz .LBB51_209
; %bb.208:                              ;   in Loop: Header=BB51_146 Depth=1
	s_set_vgpr_msb 64                       ;  msbs: dst=1 src0=0 src1=0 src2=0
	v_add_nc_u64_e32 v[74:75] /*v[330:331]*/, v[178:179], v[164:165]
	v_add_nc_u64_e32 v[76:77] /*v[332:333]*/, v[180:181], v[164:165]
	s_set_vgpr_msb 1                        ;  msbs: dst=0 src0=1 src1=0 src2=0
	global_load_b32 v33, v[74:75] /*v[330:331]*/, off
	s_set_vgpr_msb 0x41                     ;  msbs: dst=1 src0=1 src1=0 src2=0
	global_load_b32 v73 /*v329*/, v[76:77] /*v[332:333]*/, off
.LBB51_209:                             ;   in Loop: Header=BB51_146 Depth=1
	s_wait_xcnt 0x0
	s_or_b32 exec_lo, exec_lo, s2
	s_set_vgpr_msb 0x44                     ;  msbs: dst=1 src0=0 src1=1 src2=0
	v_add_nc_u64_e32 v[74:75] /*v[330:331]*/, 30, v[38:39] /*v[294:295]*/
	s_mov_b32 s2, exec_lo
	s_delay_alu instid0(VALU_DEP_1)
	v_cmpx_gt_i64_e64 s[4:5], v[74:75] /*v[330:331]*/
	s_set_vgpr_msb 0                        ;  msbs: dst=0 src0=0 src1=0 src2=0
	s_cbranch_execz .LBB51_211
; %bb.210:                              ;   in Loop: Header=BB51_146 Depth=1
	s_set_vgpr_msb 64                       ;  msbs: dst=1 src0=0 src1=0 src2=0
	v_add_nc_u64_e32 v[74:75] /*v[330:331]*/, v[174:175], v[164:165]
	v_add_nc_u64_e32 v[76:77] /*v[332:333]*/, v[176:177], v[164:165]
	s_set_vgpr_msb 1                        ;  msbs: dst=0 src0=1 src1=0 src2=0
	global_load_b32 v34, v[74:75] /*v[330:331]*/, off
	s_set_vgpr_msb 0x41                     ;  msbs: dst=1 src0=1 src1=0 src2=0
	global_load_b32 v65 /*v321*/, v[76:77] /*v[332:333]*/, off
.LBB51_211:                             ;   in Loop: Header=BB51_146 Depth=1
	s_wait_xcnt 0x0
	s_or_b32 exec_lo, exec_lo, s2
	s_set_vgpr_msb 0x44                     ;  msbs: dst=1 src0=0 src1=1 src2=0
	v_add_nc_u64_e32 v[74:75] /*v[330:331]*/, 31, v[38:39] /*v[294:295]*/
	v_mov_b32_e32 v69 /*v325*/, 0
	s_mov_b32 s2, exec_lo
	s_delay_alu instid0(VALU_DEP_2)
	v_cmpx_gt_i64_e64 s[4:5], v[74:75] /*v[330:331]*/
	s_set_vgpr_msb 0                        ;  msbs: dst=0 src0=0 src1=0 src2=0
	s_cbranch_execz .LBB51_213
; %bb.212:                              ;   in Loop: Header=BB51_146 Depth=1
	s_set_vgpr_msb 64                       ;  msbs: dst=1 src0=0 src1=0 src2=0
	v_add_nc_u64_e32 v[74:75] /*v[330:331]*/, v[170:171], v[164:165]
	v_add_nc_u64_e32 v[76:77] /*v[332:333]*/, v[172:173], v[164:165]
	s_set_vgpr_msb 1                        ;  msbs: dst=0 src0=1 src1=0 src2=0
	global_load_b32 v35, v[74:75] /*v[330:331]*/, off
	s_set_vgpr_msb 0x41                     ;  msbs: dst=1 src0=1 src1=0 src2=0
	global_load_b32 v69 /*v325*/, v[76:77] /*v[332:333]*/, off
.LBB51_213:                             ;   in Loop: Header=BB51_146 Depth=1
	s_wait_xcnt 0x0
	s_or_b32 exec_lo, exec_lo, s2
	s_wait_loadcnt 0x1
	s_set_vgpr_msb 0x44                     ;  msbs: dst=1 src0=0 src1=1 src2=0
	ds_bpermute_b32 v75 /*v331*/, v2, v41 /*v297*/
	s_wait_loadcnt 0x0
	ds_bpermute_b32 v74 /*v330*/, v2, v42 /*v298*/
	v_dual_mov_b32 v78 /*v334*/, v6 :: v_dual_mov_b32 v86 /*v342*/, v12
	v_dual_mov_b32 v88 /*v344*/, v13 :: v_dual_mov_b32 v90 /*v346*/, v14
	s_mov_b32 s2, 0
	v_dual_mov_b32 v80 /*v336*/, v7 :: v_dual_mov_b32 v76 /*v332*/, v5
	v_dual_mov_b32 v82 /*v338*/, v9 :: v_dual_mov_b32 v84 /*v340*/, v11
	s_wait_dscnt 0x1
	s_set_vgpr_msb 0x45                     ;  msbs: dst=1 src0=1 src1=1 src2=0
	v_sub_f32_e32 v43 /*v299*/, v43 /*v299*/, v75 /*v331*/
	s_set_vgpr_msb 0x44                     ;  msbs: dst=1 src0=0 src1=1 src2=0
	s_delay_alu instid0(VALU_DEP_1) | instskip(SKIP_2) | instid1(VALU_DEP_1)
	v_mul_f32_e32 v43 /*v299*/, v4, v43 /*v299*/
	s_wait_dscnt 0x0
	s_set_vgpr_msb 0x45                     ;  msbs: dst=1 src0=1 src1=1 src2=0
	v_mul_f32_e32 v75 /*v331*/, v43 /*v299*/, v74 /*v330*/
	s_set_vgpr_msb 0x44                     ;  msbs: dst=1 src0=0 src1=1 src2=0
	ds_bpermute_b32 v74 /*v330*/, v2, v41 /*v297*/ offset:4
	ds_bpermute_b32 v43 /*v299*/, v2, v42 /*v298*/ offset:4
	s_wait_dscnt 0x1
	s_set_vgpr_msb 0x45                     ;  msbs: dst=1 src0=1 src1=1 src2=0
	v_sub_f32_e32 v44 /*v300*/, v44 /*v300*/, v74 /*v330*/
	s_set_vgpr_msb 0x44                     ;  msbs: dst=1 src0=0 src1=1 src2=0
	s_delay_alu instid0(VALU_DEP_1) | instskip(SKIP_2) | instid1(VALU_DEP_1)
	v_dual_mov_b32 v74 /*v330*/, v4 :: v_dual_mul_f32 v44 /*v300*/, v5, v44 /*v300*/
	s_wait_dscnt 0x0
	s_set_vgpr_msb 0x45                     ;  msbs: dst=1 src0=1 src1=1 src2=0
	v_mul_f32_e32 v77 /*v333*/, v44 /*v300*/, v43 /*v299*/
	s_set_vgpr_msb 0x44                     ;  msbs: dst=1 src0=0 src1=1 src2=0
	ds_bpermute_b32 v44 /*v300*/, v2, v41 /*v297*/ offset:8
	ds_bpermute_b32 v43 /*v299*/, v2, v42 /*v298*/ offset:8
	v_pk_add_f32 v[74:75] /*v[330:331]*/, v[36:37], v[74:75] /*v[330:331]*/
	s_set_vgpr_msb 5                        ;  msbs: dst=0 src0=1 src1=1 src2=0
	s_delay_alu instid0(VALU_DEP_1)
	v_pk_add_f32 v[4:5], v[76:77] /*v[332:333]*/, v[74:75] /*v[330:331]*/
	s_wait_dscnt 0x1
	s_set_vgpr_msb 4                        ;  msbs: dst=0 src0=0 src1=1 src2=0
	v_sub_f32_e32 v3, v3, v44 /*v300*/
	s_set_vgpr_msb 64                       ;  msbs: dst=1 src0=0 src1=0 src2=0
	v_mov_b32_e32 v44 /*v300*/, v8
	s_set_vgpr_msb 0                        ;  msbs: dst=0 src0=0 src1=0 src2=0
	s_delay_alu instid0(VALU_DEP_2)
	v_mul_f32_e32 v3, v6, v3
	s_set_vgpr_msb 4                        ;  msbs: dst=0 src0=0 src1=1 src2=0
	ds_bpermute_b32 v6, v2, v41 /*v297*/ offset:44
	s_wait_dscnt 0x0
	s_set_vgpr_msb 1                        ;  msbs: dst=0 src0=1 src1=0 src2=0
	v_sub_f32_e32 v6, v50 /*v306*/, v6
	s_set_vgpr_msb 64                       ;  msbs: dst=1 src0=0 src1=0 src2=0
	v_mov_b32_e32 v50 /*v306*/, v22
	s_set_vgpr_msb 0                        ;  msbs: dst=0 src0=0 src1=0 src2=0
	s_delay_alu instid0(VALU_DEP_2)
	v_mul_f32_e32 v6, v15, v6
	s_set_vgpr_msb 0x44                     ;  msbs: dst=1 src0=0 src1=1 src2=0
	v_mul_f32_e32 v79 /*v335*/, v3, v43 /*v299*/
	ds_bpermute_b32 v43 /*v299*/, v2, v41 /*v297*/ offset:12
	s_set_vgpr_msb 4                        ;  msbs: dst=0 src0=0 src1=1 src2=0
	ds_bpermute_b32 v3, v2, v42 /*v298*/ offset:12
	s_wait_dscnt 0x1
	s_set_vgpr_msb 0x45                     ;  msbs: dst=1 src0=1 src1=1 src2=0
	v_sub_f32_e32 v43 /*v299*/, v46 /*v302*/, v43 /*v299*/
	s_set_vgpr_msb 0x44                     ;  msbs: dst=1 src0=0 src1=1 src2=0
	s_delay_alu instid0(VALU_DEP_1) | instskip(SKIP_2) | instid1(VALU_DEP_1)
	v_dual_mov_b32 v46 /*v302*/, v10 :: v_dual_mul_f32 v43 /*v299*/, v7, v43 /*v299*/
	s_wait_dscnt 0x0
	s_set_vgpr_msb 0x41                     ;  msbs: dst=1 src0=1 src1=0 src2=0
	v_mul_f32_e32 v81 /*v337*/, v43 /*v299*/, v3
	s_set_vgpr_msb 0x44                     ;  msbs: dst=1 src0=0 src1=1 src2=0
	ds_bpermute_b32 v43 /*v299*/, v2, v41 /*v297*/ offset:16
	s_set_vgpr_msb 4                        ;  msbs: dst=0 src0=0 src1=1 src2=0
	ds_bpermute_b32 v3, v2, v42 /*v298*/ offset:16
	s_wait_dscnt 0x1
	s_set_vgpr_msb 0x45                     ;  msbs: dst=1 src0=1 src1=1 src2=0
	v_sub_f32_e32 v43 /*v299*/, v45 /*v301*/, v43 /*v299*/
	s_set_vgpr_msb 0x44                     ;  msbs: dst=1 src0=0 src1=1 src2=0
	s_delay_alu instid0(VALU_DEP_1)
	v_mul_f32_e32 v43 /*v299*/, v8, v43 /*v299*/
	s_set_vgpr_msb 1                        ;  msbs: dst=0 src0=1 src1=0 src2=0
	v_pk_add_f32 v[4:5], v[78:79] /*v[334:335]*/, v[4:5]
	s_set_vgpr_msb 0                        ;  msbs: dst=0 src0=0 src1=0 src2=0
	v_mov_b32_e32 v8, v16
	s_wait_dscnt 0x0
	s_set_vgpr_msb 0x41                     ;  msbs: dst=1 src0=1 src1=0 src2=0
	v_mul_f32_e32 v45 /*v301*/, v43 /*v299*/, v3
	s_set_vgpr_msb 0x44                     ;  msbs: dst=1 src0=0 src1=1 src2=0
	ds_bpermute_b32 v43 /*v299*/, v2, v41 /*v297*/ offset:20
	s_set_vgpr_msb 4                        ;  msbs: dst=0 src0=0 src1=1 src2=0
	ds_bpermute_b32 v3, v2, v42 /*v298*/ offset:20
	s_set_vgpr_msb 1                        ;  msbs: dst=0 src0=1 src1=0 src2=0
	v_pk_add_f32 v[4:5], v[80:81] /*v[336:337]*/, v[4:5]
	s_delay_alu instid0(VALU_DEP_1)
	v_pk_add_f32 v[4:5], v[44:45] /*v[300:301]*/, v[4:5]
	s_set_vgpr_msb 64                       ;  msbs: dst=1 src0=0 src1=0 src2=0
	v_mov_b32_e32 v44 /*v300*/, v19
	s_wait_dscnt 0x1
	s_set_vgpr_msb 0x45                     ;  msbs: dst=1 src0=1 src1=1 src2=0
	v_sub_f32_e32 v43 /*v299*/, v48 /*v304*/, v43 /*v299*/
	s_set_vgpr_msb 0x44                     ;  msbs: dst=1 src0=0 src1=1 src2=0
	v_mov_b32_e32 v48 /*v304*/, v21
	s_delay_alu instid0(VALU_DEP_2) | instskip(SKIP_2) | instid1(VALU_DEP_1)
	v_mul_f32_e32 v43 /*v299*/, v9, v43 /*v299*/
	s_wait_dscnt 0x0
	s_set_vgpr_msb 0x41                     ;  msbs: dst=1 src0=1 src1=0 src2=0
	v_mul_f32_e32 v83 /*v339*/, v43 /*v299*/, v3
	s_set_vgpr_msb 0x44                     ;  msbs: dst=1 src0=0 src1=1 src2=0
	ds_bpermute_b32 v43 /*v299*/, v2, v41 /*v297*/ offset:24
	s_set_vgpr_msb 4                        ;  msbs: dst=0 src0=0 src1=1 src2=0
	ds_bpermute_b32 v3, v2, v42 /*v298*/ offset:24
	s_wait_dscnt 0x1
	s_set_vgpr_msb 0x45                     ;  msbs: dst=1 src0=1 src1=1 src2=0
	v_sub_f32_e32 v43 /*v299*/, v47 /*v303*/, v43 /*v299*/
	s_set_vgpr_msb 0x44                     ;  msbs: dst=1 src0=0 src1=1 src2=0
	s_delay_alu instid0(VALU_DEP_1)
	v_mul_f32_e32 v43 /*v299*/, v10, v43 /*v299*/
	s_set_vgpr_msb 0                        ;  msbs: dst=0 src0=0 src1=0 src2=0
	v_mov_b32_e32 v10, v17
	s_wait_dscnt 0x0
	s_set_vgpr_msb 0x41                     ;  msbs: dst=1 src0=1 src1=0 src2=0
	v_mul_f32_e32 v47 /*v303*/, v43 /*v299*/, v3
	s_set_vgpr_msb 0x44                     ;  msbs: dst=1 src0=0 src1=1 src2=0
	ds_bpermute_b32 v43 /*v299*/, v2, v41 /*v297*/ offset:28
	s_set_vgpr_msb 4                        ;  msbs: dst=0 src0=0 src1=1 src2=0
	ds_bpermute_b32 v3, v2, v42 /*v298*/ offset:28
	s_set_vgpr_msb 1                        ;  msbs: dst=0 src0=1 src1=0 src2=0
	v_pk_add_f32 v[4:5], v[82:83] /*v[338:339]*/, v[4:5]
	s_delay_alu instid0(VALU_DEP_1)
	v_pk_add_f32 v[4:5], v[46:47] /*v[302:303]*/, v[4:5]
	s_set_vgpr_msb 64                       ;  msbs: dst=1 src0=0 src1=0 src2=0
	v_mov_b32_e32 v46 /*v302*/, v20
	s_wait_dscnt 0x1
	s_set_vgpr_msb 0x45                     ;  msbs: dst=1 src0=1 src1=1 src2=0
	v_sub_f32_e32 v43 /*v299*/, v53 /*v309*/, v43 /*v299*/
	s_set_vgpr_msb 0x44                     ;  msbs: dst=1 src0=0 src1=1 src2=0
	s_delay_alu instid0(VALU_DEP_1) | instskip(SKIP_2) | instid1(VALU_DEP_1)
	v_mul_f32_e32 v43 /*v299*/, v11, v43 /*v299*/
	s_wait_dscnt 0x0
	s_set_vgpr_msb 0x41                     ;  msbs: dst=1 src0=1 src1=0 src2=0
	v_mul_f32_e32 v85 /*v341*/, v43 /*v299*/, v3
	s_set_vgpr_msb 0x44                     ;  msbs: dst=1 src0=0 src1=1 src2=0
	ds_bpermute_b32 v43 /*v299*/, v2, v41 /*v297*/ offset:32
	s_set_vgpr_msb 4                        ;  msbs: dst=0 src0=0 src1=1 src2=0
	ds_bpermute_b32 v3, v2, v42 /*v298*/ offset:32
	s_wait_dscnt 0x1
	s_set_vgpr_msb 0x45                     ;  msbs: dst=1 src0=1 src1=1 src2=0
	v_sub_f32_e32 v43 /*v299*/, v51 /*v307*/, v43 /*v299*/
	s_set_vgpr_msb 0x44                     ;  msbs: dst=1 src0=0 src1=1 src2=0
	s_delay_alu instid0(VALU_DEP_1)
	v_mul_f32_e32 v43 /*v299*/, v12, v43 /*v299*/
	s_set_vgpr_msb 0                        ;  msbs: dst=0 src0=0 src1=0 src2=0
	v_mov_b32_e32 v12, v18
	s_wait_dscnt 0x0
	s_set_vgpr_msb 0x41                     ;  msbs: dst=1 src0=1 src1=0 src2=0
	v_mul_f32_e32 v87 /*v343*/, v43 /*v299*/, v3
	s_set_vgpr_msb 0x44                     ;  msbs: dst=1 src0=0 src1=1 src2=0
	ds_bpermute_b32 v43 /*v299*/, v2, v41 /*v297*/ offset:36
	s_set_vgpr_msb 4                        ;  msbs: dst=0 src0=0 src1=1 src2=0
	ds_bpermute_b32 v3, v2, v42 /*v298*/ offset:36
	s_set_vgpr_msb 1                        ;  msbs: dst=0 src0=1 src1=0 src2=0
	v_pk_add_f32 v[4:5], v[84:85] /*v[340:341]*/, v[4:5]
	s_delay_alu instid0(VALU_DEP_1)
	v_pk_add_f32 v[4:5], v[86:87] /*v[342:343]*/, v[4:5]
	s_wait_dscnt 0x1
	s_set_vgpr_msb 0x45                     ;  msbs: dst=1 src0=1 src1=1 src2=0
	v_sub_f32_e32 v43 /*v299*/, v58 /*v314*/, v43 /*v299*/
	s_set_vgpr_msb 0x44                     ;  msbs: dst=1 src0=0 src1=1 src2=0
	v_mov_b32_e32 v58 /*v314*/, v25
	s_delay_alu instid0(VALU_DEP_2) | instskip(SKIP_2) | instid1(VALU_DEP_1)
	v_mul_f32_e32 v43 /*v299*/, v13, v43 /*v299*/
	s_wait_dscnt 0x0
	s_set_vgpr_msb 0x41                     ;  msbs: dst=1 src0=1 src1=0 src2=0
	v_mul_f32_e32 v89 /*v345*/, v43 /*v299*/, v3
	s_set_vgpr_msb 0x44                     ;  msbs: dst=1 src0=0 src1=1 src2=0
	ds_bpermute_b32 v43 /*v299*/, v2, v41 /*v297*/ offset:40
	s_set_vgpr_msb 4                        ;  msbs: dst=0 src0=0 src1=1 src2=0
	ds_bpermute_b32 v3, v2, v42 /*v298*/ offset:40
	s_wait_dscnt 0x1
	s_set_vgpr_msb 0x45                     ;  msbs: dst=1 src0=1 src1=1 src2=0
	v_sub_f32_e32 v43 /*v299*/, v56 /*v312*/, v43 /*v299*/
	s_set_vgpr_msb 0x44                     ;  msbs: dst=1 src0=0 src1=1 src2=0
	s_delay_alu instid0(VALU_DEP_1)
	v_mul_f32_e32 v43 /*v299*/, v14, v43 /*v299*/
	s_set_vgpr_msb 0                        ;  msbs: dst=0 src0=0 src1=0 src2=0
	v_mov_b32_e32 v14, v30
	s_wait_dscnt 0x0
	s_set_vgpr_msb 0x41                     ;  msbs: dst=1 src0=1 src1=0 src2=0
	v_mul_f32_e32 v91 /*v347*/, v43 /*v299*/, v3
	s_set_vgpr_msb 4                        ;  msbs: dst=0 src0=0 src1=1 src2=0
	ds_bpermute_b32 v3, v2, v42 /*v298*/ offset:44
	s_set_vgpr_msb 1                        ;  msbs: dst=0 src0=1 src1=0 src2=0
	v_pk_add_f32 v[4:5], v[88:89] /*v[344:345]*/, v[4:5]
	s_delay_alu instid0(VALU_DEP_1)
	v_pk_add_f32 v[4:5], v[90:91] /*v[346:347]*/, v[4:5]
	s_wait_dscnt 0x0
	s_set_vgpr_msb 0                        ;  msbs: dst=0 src0=0 src1=0 src2=0
	v_mul_f32_e32 v7, v6, v3
	s_set_vgpr_msb 4                        ;  msbs: dst=0 src0=0 src1=1 src2=0
	ds_bpermute_b32 v6, v2, v41 /*v297*/ offset:48
	ds_bpermute_b32 v3, v2, v42 /*v298*/ offset:48
	s_wait_dscnt 0x1
	s_set_vgpr_msb 1                        ;  msbs: dst=0 src0=1 src1=0 src2=0
	v_sub_f32_e32 v6, v49 /*v305*/, v6
	s_set_vgpr_msb 0                        ;  msbs: dst=0 src0=0 src1=0 src2=0
	s_delay_alu instid0(VALU_DEP_1) | instskip(SKIP_1) | instid1(VALU_DEP_1)
	v_dual_mul_f32 v6, v16, v6 :: v_dual_mov_b32 v16, v31
	s_wait_dscnt 0x0
	v_mul_f32_e32 v9, v6, v3
	s_set_vgpr_msb 4                        ;  msbs: dst=0 src0=0 src1=1 src2=0
	ds_bpermute_b32 v6, v2, v41 /*v297*/ offset:52
	ds_bpermute_b32 v3, v2, v42 /*v298*/ offset:52
	s_wait_dscnt 0x1
	s_set_vgpr_msb 1                        ;  msbs: dst=0 src0=1 src1=0 src2=0
	v_sub_f32_e32 v6, v54 /*v310*/, v6
	s_set_vgpr_msb 64                       ;  msbs: dst=1 src0=0 src1=0 src2=0
	v_mov_b32_e32 v54 /*v310*/, v24
	s_set_vgpr_msb 0                        ;  msbs: dst=0 src0=0 src1=0 src2=0
	s_delay_alu instid0(VALU_DEP_2) | instskip(SKIP_1) | instid1(VALU_DEP_1)
	v_mul_f32_e32 v6, v17, v6
	s_wait_dscnt 0x0
	v_mul_f32_e32 v11, v6, v3
	s_set_vgpr_msb 4                        ;  msbs: dst=0 src0=0 src1=1 src2=0
	ds_bpermute_b32 v6, v2, v41 /*v297*/ offset:56
	ds_bpermute_b32 v3, v2, v42 /*v298*/ offset:56
	s_wait_dscnt 0x1
	s_set_vgpr_msb 1                        ;  msbs: dst=0 src0=1 src1=0 src2=0
	v_sub_f32_e32 v6, v52 /*v308*/, v6
	s_set_vgpr_msb 64                       ;  msbs: dst=1 src0=0 src1=0 src2=0
	v_mov_b32_e32 v52 /*v308*/, v23
	s_set_vgpr_msb 0                        ;  msbs: dst=0 src0=0 src1=0 src2=0
	s_delay_alu instid0(VALU_DEP_2) | instskip(SKIP_1) | instid1(VALU_DEP_1)
	v_dual_mul_f32 v6, v18, v6 :: v_dual_mov_b32 v18, v32
	s_wait_dscnt 0x0
	v_mul_f32_e32 v13, v6, v3
	s_set_vgpr_msb 4                        ;  msbs: dst=0 src0=0 src1=1 src2=0
	ds_bpermute_b32 v6, v2, v41 /*v297*/ offset:60
	ds_bpermute_b32 v3, v2, v42 /*v298*/ offset:60
	s_wait_dscnt 0x1
	s_set_vgpr_msb 1                        ;  msbs: dst=0 src0=1 src1=0 src2=0
	v_sub_f32_e32 v6, v59 /*v315*/, v6
	s_set_vgpr_msb 0                        ;  msbs: dst=0 src0=0 src1=0 src2=0
	s_delay_alu instid0(VALU_DEP_1) | instskip(SKIP_2) | instid1(VALU_DEP_1)
	v_mul_f32_e32 v6, v19, v6
	s_wait_dscnt 0x0
	s_set_vgpr_msb 64                       ;  msbs: dst=1 src0=0 src1=0 src2=0
	v_mul_f32_e32 v45 /*v301*/, v6, v3
	s_set_vgpr_msb 4                        ;  msbs: dst=0 src0=0 src1=1 src2=0
	ds_bpermute_b32 v6, v2, v41 /*v297*/ offset:64
	ds_bpermute_b32 v3, v2, v42 /*v298*/ offset:64
	s_wait_dscnt 0x1
	s_set_vgpr_msb 1                        ;  msbs: dst=0 src0=1 src1=0 src2=0
	v_sub_f32_e32 v6, v55 /*v311*/, v6
	s_set_vgpr_msb 0                        ;  msbs: dst=0 src0=0 src1=0 src2=0
	s_delay_alu instid0(VALU_DEP_1) | instskip(SKIP_2) | instid1(VALU_DEP_1)
	v_dual_mul_f32 v6, v20, v6 :: v_dual_mov_b32 v20, v33
	s_wait_dscnt 0x0
	s_set_vgpr_msb 64                       ;  msbs: dst=1 src0=0 src1=0 src2=0
	v_mul_f32_e32 v47 /*v303*/, v6, v3
	s_set_vgpr_msb 4                        ;  msbs: dst=0 src0=0 src1=1 src2=0
	ds_bpermute_b32 v6, v2, v41 /*v297*/ offset:68
	ds_bpermute_b32 v3, v2, v42 /*v298*/ offset:68
	s_wait_dscnt 0x1
	s_set_vgpr_msb 1                        ;  msbs: dst=0 src0=1 src1=0 src2=0
	v_sub_f32_e32 v6, v61 /*v317*/, v6
	s_set_vgpr_msb 0                        ;  msbs: dst=0 src0=0 src1=0 src2=0
	s_delay_alu instid0(VALU_DEP_1) | instskip(SKIP_2) | instid1(VALU_DEP_1)
	v_mul_f32_e32 v6, v21, v6
	s_wait_dscnt 0x0
	s_set_vgpr_msb 64                       ;  msbs: dst=1 src0=0 src1=0 src2=0
	v_mul_f32_e32 v49 /*v305*/, v6, v3
	s_set_vgpr_msb 4                        ;  msbs: dst=0 src0=0 src1=1 src2=0
	ds_bpermute_b32 v6, v2, v41 /*v297*/ offset:72
	ds_bpermute_b32 v3, v2, v42 /*v298*/ offset:72
	s_wait_dscnt 0x1
	s_set_vgpr_msb 1                        ;  msbs: dst=0 src0=1 src1=0 src2=0
	v_sub_f32_e32 v6, v60 /*v316*/, v6
	s_set_vgpr_msb 0                        ;  msbs: dst=0 src0=0 src1=0 src2=0
	s_delay_alu instid0(VALU_DEP_1) | instskip(SKIP_2) | instid1(VALU_DEP_1)
	v_mul_f32_e32 v6, v22, v6
	;; [unrolled: 12-line block ×5, first 2 shown]
	s_wait_dscnt 0x0
	s_set_vgpr_msb 64                       ;  msbs: dst=1 src0=0 src1=0 src2=0
	v_mul_f32_e32 v59 /*v315*/, v6, v3
	s_set_vgpr_msb 4                        ;  msbs: dst=0 src0=0 src1=1 src2=0
	v_mov_b32_e32 v6, v15
	ds_bpermute_b32 v3, v2, v42 /*v298*/ offset:88
	s_set_vgpr_msb 0                        ;  msbs: dst=0 src0=0 src1=0 src2=0
	v_pk_add_f32 v[4:5], v[6:7], v[4:5]
	s_set_vgpr_msb 4                        ;  msbs: dst=0 src0=0 src1=1 src2=0
	ds_bpermute_b32 v6, v2, v41 /*v297*/ offset:88
	s_set_vgpr_msb 0                        ;  msbs: dst=0 src0=0 src1=0 src2=0
	v_pk_add_f32 v[4:5], v[8:9], v[4:5]
	v_mov_b32_e32 v8, v27
	s_delay_alu instid0(VALU_DEP_2) | instskip(SKIP_1) | instid1(VALU_DEP_2)
	v_pk_add_f32 v[4:5], v[10:11], v[4:5]
	v_mov_b32_e32 v10, v28
	v_pk_add_f32 v[4:5], v[12:13], v[4:5]
	v_mov_b32_e32 v12, v29
	s_set_vgpr_msb 1                        ;  msbs: dst=0 src0=1 src1=0 src2=0
	s_delay_alu instid0(VALU_DEP_2) | instskip(SKIP_2) | instid1(VALU_DEP_2)
	v_pk_add_f32 v[4:5], v[44:45] /*v[300:301]*/, v[4:5]
	s_wait_dscnt 0x0
	v_sub_f32_e32 v6, v57 /*v313*/, v6
	v_pk_add_f32 v[4:5], v[46:47] /*v[302:303]*/, v[4:5]
	s_set_vgpr_msb 0                        ;  msbs: dst=0 src0=0 src1=0 src2=0
	s_delay_alu instid0(VALU_DEP_2) | instskip(SKIP_1) | instid1(VALU_DEP_2)
	v_mul_f32_e32 v6, v26, v6
	s_set_vgpr_msb 1                        ;  msbs: dst=0 src0=1 src1=0 src2=0
	v_pk_add_f32 v[4:5], v[48:49] /*v[304:305]*/, v[4:5]
	s_set_vgpr_msb 0                        ;  msbs: dst=0 src0=0 src1=0 src2=0
	s_delay_alu instid0(VALU_DEP_2)
	v_mul_f32_e32 v7, v6, v3
	s_set_vgpr_msb 4                        ;  msbs: dst=0 src0=0 src1=1 src2=0
	ds_bpermute_b32 v6, v2, v41 /*v297*/ offset:92
	ds_bpermute_b32 v3, v2, v42 /*v298*/ offset:92
	s_set_vgpr_msb 1                        ;  msbs: dst=0 src0=1 src1=0 src2=0
	v_pk_add_f32 v[4:5], v[50:51] /*v[306:307]*/, v[4:5]
	s_delay_alu instid0(VALU_DEP_1) | instskip(NEXT) | instid1(VALU_DEP_1)
	v_pk_add_f32 v[4:5], v[52:53] /*v[308:309]*/, v[4:5]
	v_pk_add_f32 v[4:5], v[54:55] /*v[310:311]*/, v[4:5]
	s_delay_alu instid0(VALU_DEP_1) | instskip(SKIP_3) | instid1(VALU_DEP_1)
	v_pk_add_f32 v[4:5], v[58:59] /*v[314:315]*/, v[4:5]
	s_wait_dscnt 0x1
	v_sub_f32_e32 v6, v63 /*v319*/, v6
	s_set_vgpr_msb 0                        ;  msbs: dst=0 src0=0 src1=0 src2=0
	v_mul_f32_e32 v6, v27, v6
	s_wait_dscnt 0x0
	s_delay_alu instid0(VALU_DEP_1)
	v_mul_f32_e32 v9, v6, v3
	s_set_vgpr_msb 4                        ;  msbs: dst=0 src0=0 src1=1 src2=0
	ds_bpermute_b32 v6, v2, v41 /*v297*/ offset:96
	ds_bpermute_b32 v3, v2, v42 /*v298*/ offset:96
	s_wait_dscnt 0x1
	s_set_vgpr_msb 1                        ;  msbs: dst=0 src0=1 src1=0 src2=0
	v_sub_f32_e32 v6, v62 /*v318*/, v6
	s_set_vgpr_msb 0                        ;  msbs: dst=0 src0=0 src1=0 src2=0
	s_delay_alu instid0(VALU_DEP_1) | instskip(SKIP_1) | instid1(VALU_DEP_1)
	v_mul_f32_e32 v6, v28, v6
	s_wait_dscnt 0x0
	v_mul_f32_e32 v11, v6, v3
	s_set_vgpr_msb 4                        ;  msbs: dst=0 src0=0 src1=1 src2=0
	ds_bpermute_b32 v6, v2, v41 /*v297*/ offset:100
	ds_bpermute_b32 v3, v2, v42 /*v298*/ offset:100
	s_wait_dscnt 0x1
	s_set_vgpr_msb 1                        ;  msbs: dst=0 src0=1 src1=0 src2=0
	v_sub_f32_e32 v6, v68 /*v324*/, v6
	s_set_vgpr_msb 0                        ;  msbs: dst=0 src0=0 src1=0 src2=0
	s_delay_alu instid0(VALU_DEP_1) | instskip(SKIP_1) | instid1(VALU_DEP_1)
	v_mul_f32_e32 v6, v29, v6
	s_wait_dscnt 0x0
	v_mul_f32_e32 v13, v6, v3
	s_set_vgpr_msb 4                        ;  msbs: dst=0 src0=0 src1=1 src2=0
	ds_bpermute_b32 v6, v2, v41 /*v297*/ offset:104
	ds_bpermute_b32 v3, v2, v42 /*v298*/ offset:104
	s_wait_dscnt 0x1
	s_set_vgpr_msb 1                        ;  msbs: dst=0 src0=1 src1=0 src2=0
	v_sub_f32_e32 v6, v64 /*v320*/, v6
	s_set_vgpr_msb 0                        ;  msbs: dst=0 src0=0 src1=0 src2=0
	s_delay_alu instid0(VALU_DEP_1) | instskip(SKIP_1) | instid1(VALU_DEP_1)
	v_mul_f32_e32 v6, v30, v6
	s_wait_dscnt 0x0
	v_mul_f32_e32 v15, v6, v3
	s_set_vgpr_msb 4                        ;  msbs: dst=0 src0=0 src1=1 src2=0
	ds_bpermute_b32 v6, v2, v41 /*v297*/ offset:108
	ds_bpermute_b32 v3, v2, v42 /*v298*/ offset:108
	s_wait_dscnt 0x1
	s_set_vgpr_msb 1                        ;  msbs: dst=0 src0=1 src1=0 src2=0
	v_sub_f32_e32 v6, v71 /*v327*/, v6
	s_set_vgpr_msb 0                        ;  msbs: dst=0 src0=0 src1=0 src2=0
	s_delay_alu instid0(VALU_DEP_1) | instskip(SKIP_1) | instid1(VALU_DEP_1)
	v_mul_f32_e32 v6, v31, v6
	s_wait_dscnt 0x0
	v_mul_f32_e32 v17, v6, v3
	s_set_vgpr_msb 4                        ;  msbs: dst=0 src0=0 src1=1 src2=0
	ds_bpermute_b32 v6, v2, v41 /*v297*/ offset:112
	ds_bpermute_b32 v3, v2, v42 /*v298*/ offset:112
	s_wait_dscnt 0x1
	s_set_vgpr_msb 1                        ;  msbs: dst=0 src0=1 src1=0 src2=0
	v_sub_f32_e32 v6, v70 /*v326*/, v6
	s_set_vgpr_msb 0                        ;  msbs: dst=0 src0=0 src1=0 src2=0
	s_delay_alu instid0(VALU_DEP_1) | instskip(SKIP_1) | instid1(VALU_DEP_1)
	v_mul_f32_e32 v6, v32, v6
	s_wait_dscnt 0x0
	v_mul_f32_e32 v19, v6, v3
	s_set_vgpr_msb 4                        ;  msbs: dst=0 src0=0 src1=1 src2=0
	ds_bpermute_b32 v6, v2, v41 /*v297*/ offset:116
	ds_bpermute_b32 v3, v2, v42 /*v298*/ offset:116
	s_wait_dscnt 0x1
	s_set_vgpr_msb 1                        ;  msbs: dst=0 src0=1 src1=0 src2=0
	v_sub_f32_e32 v6, v73 /*v329*/, v6
	s_set_vgpr_msb 0                        ;  msbs: dst=0 src0=0 src1=0 src2=0
	s_delay_alu instid0(VALU_DEP_1) | instskip(SKIP_1) | instid1(VALU_DEP_1)
	v_mul_f32_e32 v6, v33, v6
	s_wait_dscnt 0x0
	v_mul_f32_e32 v21, v6, v3
	v_mov_b32_e32 v6, v26
	s_set_vgpr_msb 4                        ;  msbs: dst=0 src0=0 src1=1 src2=0
	ds_bpermute_b32 v3, v2, v42 /*v298*/ offset:120
	s_set_vgpr_msb 0                        ;  msbs: dst=0 src0=0 src1=0 src2=0
	v_pk_add_f32 v[4:5], v[6:7], v[4:5]
	s_set_vgpr_msb 4                        ;  msbs: dst=0 src0=0 src1=1 src2=0
	ds_bpermute_b32 v6, v2, v41 /*v297*/ offset:120
	s_set_vgpr_msb 0                        ;  msbs: dst=0 src0=0 src1=0 src2=0
	v_pk_add_f32 v[4:5], v[8:9], v[4:5]
	s_delay_alu instid0(VALU_DEP_1) | instskip(NEXT) | instid1(VALU_DEP_1)
	v_pk_add_f32 v[4:5], v[10:11], v[4:5]
	v_pk_add_f32 v[4:5], v[12:13], v[4:5]
	s_delay_alu instid0(VALU_DEP_1)
	v_pk_add_f32 v[4:5], v[14:15], v[4:5]
	s_wait_dscnt 0x0
	s_set_vgpr_msb 1                        ;  msbs: dst=0 src0=1 src1=0 src2=0
	v_sub_f32_e32 v6, v65 /*v321*/, v6
	s_set_vgpr_msb 0                        ;  msbs: dst=0 src0=0 src1=0 src2=0
	v_pk_add_f32 v[4:5], v[16:17], v[4:5]
	s_delay_alu instid0(VALU_DEP_2) | instskip(NEXT) | instid1(VALU_DEP_2)
	v_mul_f32_e32 v6, v34, v6
	v_pk_add_f32 v[4:5], v[18:19], v[4:5]
	s_delay_alu instid0(VALU_DEP_2)
	v_mul_f32_e32 v7, v6, v3
	v_mov_b32_e32 v6, v34
	s_set_vgpr_msb 4                        ;  msbs: dst=0 src0=0 src1=1 src2=0
	ds_bpermute_b32 v3, v2, v42 /*v298*/ offset:124
	s_set_vgpr_msb 0                        ;  msbs: dst=0 src0=0 src1=0 src2=0
	v_pk_add_f32 v[4:5], v[20:21], v[4:5]
	s_delay_alu instid0(VALU_DEP_1)
	v_pk_add_f32 v[6:7], v[6:7], v[4:5]
	s_set_vgpr_msb 4                        ;  msbs: dst=0 src0=0 src1=1 src2=0
	ds_bpermute_b32 v4, v2, v41 /*v297*/ offset:124
	s_wait_dscnt 0x0
	s_set_vgpr_msb 1                        ;  msbs: dst=0 src0=1 src1=0 src2=0
	v_sub_f32_e32 v4, v69 /*v325*/, v4
	s_set_vgpr_msb 0                        ;  msbs: dst=0 src0=0 src1=0 src2=0
	s_delay_alu instid0(VALU_DEP_1) | instskip(NEXT) | instid1(VALU_DEP_1)
	v_mul_f32_e32 v4, v35, v4
	v_dual_mul_f32 v5, v4, v3 :: v_dual_mov_b32 v4, v35
.LBB51_214:                             ;   in Loop: Header=BB51_146 Depth=1
	s_and_b32 vcc_lo, exec_lo, s2
	s_cbranch_vccz .LBB51_145
; %bb.215:                              ;   in Loop: Header=BB51_146 Depth=1
	s_load_b32 s2, s[20:21], 0x0
	v_dual_mov_b32 v8, 0 :: v_dual_mov_b32 v5, v2
	s_wait_kmcnt 0x0
	s_cmp_lt_u32 s16, s2
	s_cselect_b32 s2, 12, 18
	s_delay_alu instid0(SALU_CYCLE_1)
	s_add_nc_u64 s[26:27], s[20:21], s[2:3]
	s_load_u16 s2, s[26:27], 0x0
	s_wait_kmcnt 0x0
	s_set_vgpr_msb 16                       ;  msbs: dst=0 src0=0 src1=0 src2=1
	v_mad_u32_u24 v3, v1, s2, v40 /*v296*/
	s_mov_b32 s2, exec_lo
	s_delay_alu instid0(VALU_DEP_1) | instskip(SKIP_1) | instid1(VALU_DEP_1)
	v_dual_mov_b32 v3, 0 :: v_dual_bitop2_b32 v4, 31, v3 bitop3:0x40
	s_set_vgpr_msb 1                        ;  msbs: dst=0 src0=1 src1=0 src2=0
	v_add_nc_u64_e32 v[4:5], v[38:39] /*v[294:295]*/, v[4:5]
	s_delay_alu instid0(VALU_DEP_1)
	v_cmpx_gt_i64_e64 s[4:5], v[4:5]
	s_set_vgpr_msb 0                        ;  msbs: dst=0 src0=0 src1=0 src2=0
	s_cbranch_execz .LBB51_144
; %bb.216:                              ;   in Loop: Header=BB51_146 Depth=1
	v_lshlrev_b64_e32 v[4:5], 2, v[4:5]
	s_delay_alu instid0(VALU_DEP_1)
	v_add_nc_u64_e32 v[6:7], s[12:13], v[4:5]
	v_add_nc_u64_e32 v[4:5], s[14:15], v[4:5]
	global_load_b32 v3, v[6:7], off
	global_load_b32 v8, v[4:5], off
	s_branch .LBB51_144
.LBB51_217:
	s_mov_b32 s17, 0
	s_delay_alu instid0(SALU_CYCLE_1) | instskip(NEXT) | instid1(SALU_CYCLE_1)
	s_lshl_b64 s[2:3], s[16:17], 6
	v_and_or_b32 v2, 0x3ff, v0, s2
	v_mov_b32_e32 v3, s3
	s_mov_b32 s2, exec_lo
	s_delay_alu instid0(VALU_DEP_1)
	v_cmpx_gt_i64_e64 s[6:7], v[2:3]
	s_cbranch_execz .LBB51_222
; %bb.218:
	s_load_u16 s2, s[0:1], 0x4e
	v_bfe_u32 v0, v0, 10, 10
	v_mov_b32_e32 v1, 0
	s_wait_kmcnt 0x0
	s_delay_alu instid0(VALU_DEP_1) | instskip(SKIP_1) | instid1(VALU_DEP_1)
	v_mad_nc_u64_u32 v[0:1], s2, s33, v[0:1]
	s_load_b128 s[0:3], s[0:1], 0x30
	v_mul_u64_e32 v[0:1], s[6:7], v[0:1]
	s_wait_kmcnt 0x0
	s_cmp_eq_u64 s[0:1], 0
	s_cbranch_scc1 .LBB51_220
; %bb.219:
	s_delay_alu instid0(VALU_DEP_1) | instskip(NEXT) | instid1(VALU_DEP_1)
	v_lshl_add_u64 v[4:5], v[0:1], 2, s[0:1]
	v_lshl_add_u64 v[4:5], v[2:3], 2, v[4:5]
	global_store_b32 v[4:5], v37, off
.LBB51_220:
	s_cmp_eq_u64 s[2:3], 0
	s_cbranch_scc1 .LBB51_222
; %bb.221:
	s_delay_alu instid0(VALU_DEP_1) | instskip(NEXT) | instid1(VALU_DEP_1)
	v_lshl_add_u64 v[0:1], v[0:1], 2, s[2:3]
	v_lshl_add_u64 v[0:1], v[2:3], 2, v[0:1]
	global_store_b32 v[0:1], v36, off
.LBB51_222:
	s_sendmsg sendmsg(MSG_DEALLOC_VGPRS)
	s_endpgm
	.section	.rodata,"a",@progbits
	.p2align	6, 0x0
	.amdhsa_kernel _ZN2at6native12_GLOBAL__N_135GammaBetaBackwardCUDAKernelTemplateIffLj64ELj1ELj32ELb1ELb0ELb0EEEvllPKT_S5_PKT0_S8_PS3_S9_
		.amdhsa_group_segment_fixed_size 0
		.amdhsa_private_segment_fixed_size 0
		.amdhsa_kernarg_size 320
		.amdhsa_user_sgpr_count 2
		.amdhsa_user_sgpr_dispatch_ptr 0
		.amdhsa_user_sgpr_queue_ptr 0
		.amdhsa_user_sgpr_kernarg_segment_ptr 1
		.amdhsa_user_sgpr_dispatch_id 0
		.amdhsa_user_sgpr_kernarg_preload_length 0
		.amdhsa_user_sgpr_kernarg_preload_offset 0
		.amdhsa_user_sgpr_private_segment_size 0
		.amdhsa_wavefront_size32 1
		.amdhsa_uses_dynamic_stack 0
		.amdhsa_enable_private_segment 0
		.amdhsa_system_sgpr_workgroup_id_x 1
		.amdhsa_system_sgpr_workgroup_id_y 1
		.amdhsa_system_sgpr_workgroup_id_z 0
		.amdhsa_system_sgpr_workgroup_info 0
		.amdhsa_system_vgpr_workitem_id 1
		.amdhsa_next_free_vgpr 348
		.amdhsa_next_free_sgpr 36
		.amdhsa_named_barrier_count 0
		.amdhsa_reserve_vcc 1
		.amdhsa_float_round_mode_32 0
		.amdhsa_float_round_mode_16_64 0
		.amdhsa_float_denorm_mode_32 3
		.amdhsa_float_denorm_mode_16_64 3
		.amdhsa_fp16_overflow 0
		.amdhsa_memory_ordered 1
		.amdhsa_forward_progress 1
		.amdhsa_inst_pref_size 170
		.amdhsa_round_robin_scheduling 0
		.amdhsa_exception_fp_ieee_invalid_op 0
		.amdhsa_exception_fp_denorm_src 0
		.amdhsa_exception_fp_ieee_div_zero 0
		.amdhsa_exception_fp_ieee_overflow 0
		.amdhsa_exception_fp_ieee_underflow 0
		.amdhsa_exception_fp_ieee_inexact 0
		.amdhsa_exception_int_div_zero 0
	.end_amdhsa_kernel
	.section	.text._ZN2at6native12_GLOBAL__N_135GammaBetaBackwardCUDAKernelTemplateIffLj64ELj1ELj32ELb1ELb0ELb0EEEvllPKT_S5_PKT0_S8_PS3_S9_,"axG",@progbits,_ZN2at6native12_GLOBAL__N_135GammaBetaBackwardCUDAKernelTemplateIffLj64ELj1ELj32ELb1ELb0ELb0EEEvllPKT_S5_PKT0_S8_PS3_S9_,comdat
.Lfunc_end51:
	.size	_ZN2at6native12_GLOBAL__N_135GammaBetaBackwardCUDAKernelTemplateIffLj64ELj1ELj32ELb1ELb0ELb0EEEvllPKT_S5_PKT0_S8_PS3_S9_, .Lfunc_end51-_ZN2at6native12_GLOBAL__N_135GammaBetaBackwardCUDAKernelTemplateIffLj64ELj1ELj32ELb1ELb0ELb0EEEvllPKT_S5_PKT0_S8_PS3_S9_
                                        ; -- End function
	.set _ZN2at6native12_GLOBAL__N_135GammaBetaBackwardCUDAKernelTemplateIffLj64ELj1ELj32ELb1ELb0ELb0EEEvllPKT_S5_PKT0_S8_PS3_S9_.num_vgpr, 348
	.set _ZN2at6native12_GLOBAL__N_135GammaBetaBackwardCUDAKernelTemplateIffLj64ELj1ELj32ELb1ELb0ELb0EEEvllPKT_S5_PKT0_S8_PS3_S9_.num_agpr, 0
	.set _ZN2at6native12_GLOBAL__N_135GammaBetaBackwardCUDAKernelTemplateIffLj64ELj1ELj32ELb1ELb0ELb0EEEvllPKT_S5_PKT0_S8_PS3_S9_.numbered_sgpr, 36
	.set _ZN2at6native12_GLOBAL__N_135GammaBetaBackwardCUDAKernelTemplateIffLj64ELj1ELj32ELb1ELb0ELb0EEEvllPKT_S5_PKT0_S8_PS3_S9_.num_named_barrier, 0
	.set _ZN2at6native12_GLOBAL__N_135GammaBetaBackwardCUDAKernelTemplateIffLj64ELj1ELj32ELb1ELb0ELb0EEEvllPKT_S5_PKT0_S8_PS3_S9_.private_seg_size, 0
	.set _ZN2at6native12_GLOBAL__N_135GammaBetaBackwardCUDAKernelTemplateIffLj64ELj1ELj32ELb1ELb0ELb0EEEvllPKT_S5_PKT0_S8_PS3_S9_.uses_vcc, 1
	.set _ZN2at6native12_GLOBAL__N_135GammaBetaBackwardCUDAKernelTemplateIffLj64ELj1ELj32ELb1ELb0ELb0EEEvllPKT_S5_PKT0_S8_PS3_S9_.uses_flat_scratch, 0
	.set _ZN2at6native12_GLOBAL__N_135GammaBetaBackwardCUDAKernelTemplateIffLj64ELj1ELj32ELb1ELb0ELb0EEEvllPKT_S5_PKT0_S8_PS3_S9_.has_dyn_sized_stack, 0
	.set _ZN2at6native12_GLOBAL__N_135GammaBetaBackwardCUDAKernelTemplateIffLj64ELj1ELj32ELb1ELb0ELb0EEEvllPKT_S5_PKT0_S8_PS3_S9_.has_recursion, 0
	.set _ZN2at6native12_GLOBAL__N_135GammaBetaBackwardCUDAKernelTemplateIffLj64ELj1ELj32ELb1ELb0ELb0EEEvllPKT_S5_PKT0_S8_PS3_S9_.has_indirect_call, 0
	.section	.AMDGPU.csdata,"",@progbits
; Kernel info:
; codeLenInByte = 21644
; TotalNumSgprs: 38
; NumVgprs: 348
; ScratchSize: 0
; MemoryBound: 0
; FloatMode: 240
; IeeeMode: 1
; LDSByteSize: 0 bytes/workgroup (compile time only)
; SGPRBlocks: 0
; VGPRBlocks: 21
; NumSGPRsForWavesPerEU: 38
; NumVGPRsForWavesPerEU: 348
; NamedBarCnt: 0
; Occupancy: 2
; WaveLimiterHint : 0
; COMPUTE_PGM_RSRC2:SCRATCH_EN: 0
; COMPUTE_PGM_RSRC2:USER_SGPR: 2
; COMPUTE_PGM_RSRC2:TRAP_HANDLER: 0
; COMPUTE_PGM_RSRC2:TGID_X_EN: 1
; COMPUTE_PGM_RSRC2:TGID_Y_EN: 1
; COMPUTE_PGM_RSRC2:TGID_Z_EN: 0
; COMPUTE_PGM_RSRC2:TIDIG_COMP_CNT: 1
	.section	.text._ZN2at6native12_GLOBAL__N_135GammaBetaBackwardCUDAKernelTemplateIffLj64ELj1ELj8ELb1ELb1ELb0EEEvllPKT_S5_PKT0_S8_PS3_S9_,"axG",@progbits,_ZN2at6native12_GLOBAL__N_135GammaBetaBackwardCUDAKernelTemplateIffLj64ELj1ELj8ELb1ELb1ELb0EEEvllPKT_S5_PKT0_S8_PS3_S9_,comdat
	.globl	_ZN2at6native12_GLOBAL__N_135GammaBetaBackwardCUDAKernelTemplateIffLj64ELj1ELj8ELb1ELb1ELb0EEEvllPKT_S5_PKT0_S8_PS3_S9_ ; -- Begin function _ZN2at6native12_GLOBAL__N_135GammaBetaBackwardCUDAKernelTemplateIffLj64ELj1ELj8ELb1ELb1ELb0EEEvllPKT_S5_PKT0_S8_PS3_S9_
	.p2align	8
	.type	_ZN2at6native12_GLOBAL__N_135GammaBetaBackwardCUDAKernelTemplateIffLj64ELj1ELj8ELb1ELb1ELb0EEEvllPKT_S5_PKT0_S8_PS3_S9_,@function
_ZN2at6native12_GLOBAL__N_135GammaBetaBackwardCUDAKernelTemplateIffLj64ELj1ELj8ELb1ELb1ELb0EEEvllPKT_S5_PKT0_S8_PS3_S9_: ; @_ZN2at6native12_GLOBAL__N_135GammaBetaBackwardCUDAKernelTemplateIffLj64ELj1ELj8ELb1ELb1ELb0EEEvllPKT_S5_PKT0_S8_PS3_S9_
; %bb.0:
	s_load_b128 s[12:15], s[0:1], 0x0
	s_bfe_u32 s3, ttmp6, 0x4000c
	s_bfe_u32 s4, ttmp6, 0x40010
	s_add_co_i32 s3, s3, 1
	s_add_co_i32 s4, s4, 1
	s_and_b32 s2, ttmp6, 15
	s_bfe_u32 s5, ttmp6, 0x40004
	s_mul_i32 s3, ttmp9, s3
	s_mul_i32 s4, ttmp7, s4
	s_getreg_b32 s6, hwreg(HW_REG_IB_STS2, 6, 4)
	s_add_co_i32 s2, s2, s3
	s_add_co_i32 s5, s5, s4
	s_cmp_eq_u32 s6, 0
	s_mov_b32 s19, 0
	s_cselect_b32 s17, ttmp7, s5
	s_cselect_b32 s16, ttmp9, s2
	s_lshl_b32 s18, s17, 3
	v_bfe_u32 v1, v0, 10, 10
	s_add_nc_u64 s[20:21], s[0:1], 64
	s_wait_kmcnt 0x0
	v_cmp_gt_i64_e64 s2, s[12:13], s[18:19]
	s_and_b32 vcc_lo, exec_lo, s2
	s_cbranch_vccnz .LBB52_2
; %bb.1:
	v_bfe_u32 v2, v0, 10, 10
	s_add_nc_u64 s[4:5], s[0:1], 64
	s_mov_b32 s2, s19
	s_branch .LBB52_3
.LBB52_2:
	s_mov_b32 s2, -1
                                        ; implicit-def: $sgpr4_sgpr5
                                        ; implicit-def: $vgpr2
.LBB52_3:
	v_mov_b32_e32 v9, 0
	v_and_b32_e32 v0, 0x3ff, v0
	s_and_not1_b32 vcc_lo, exec_lo, s2
	s_delay_alu instid0(VALU_DEP_2)
	v_mov_b32_e32 v8, v9
	s_cbranch_vccnz .LBB52_11
; %bb.4:
	v_dual_mov_b32 v3, 0 :: v_dual_lshlrev_b32 v2, 3, v1
	s_clause 0x2
	s_load_b32 s2, s[0:1], 0x4c
	s_load_b32 s3, s[0:1], 0x44
	s_load_b256 s[4:11], s[0:1], 0x10
	v_mov_b32_e32 v13, 12
	v_lshl_add_u32 v6, s16, 6, v0
	v_add_nc_u64_e32 v[4:5], s[18:19], v[2:3]
	v_mov_b32_e32 v19, v3
	s_mov_b32 s23, 0
	v_dual_mov_b32 v2, 8 :: v_dual_mov_b32 v12, 4
	v_dual_mov_b32 v14, 16 :: v_dual_mov_b32 v15, 20
	s_delay_alu instid0(VALU_DEP_4)
	v_mul_u64_e32 v[10:11], s[14:15], v[4:5]
	v_dual_mov_b32 v16, 24 :: v_dual_mov_b32 v17, 28
	v_dual_mov_b32 v8, 0 :: v_dual_mov_b32 v9, v3
	s_lshl_b64 s[28:29], s[14:15], 2
	s_wait_kmcnt 0x0
	s_lshl_b32 s22, s3, 3
	s_and_b32 s2, s2, 0xffff
	s_mul_u64 s[26:27], s[14:15], s[22:23]
	v_mad_u32_u24 v7, v1, s2, v0
	s_lshl_b64 s[24:25], s[22:23], 2
	s_lshl_b64 s[26:27], s[26:27], 2
	s_delay_alu instid0(VALU_DEP_1) | instskip(NEXT) | instid1(VALU_DEP_1)
	v_dual_mov_b32 v7, v3 :: v_dual_bitop2_b32 v18, 31, v7 bitop3:0x40
	v_add_nc_u64_e32 v[4:5], v[4:5], v[18:19]
	s_delay_alu instid0(VALU_DEP_2) | instskip(SKIP_1) | instid1(VALU_DEP_3)
	v_lshlrev_b64_e32 v[20:21], 2, v[6:7]
	v_cmp_gt_u32_e64 s2, 8, v18
	v_lshlrev_b64_e32 v[6:7], 2, v[4:5]
	s_delay_alu instid0(VALU_DEP_3)
	v_lshl_add_u64 v[10:11], v[10:11], 2, v[20:21]
	s_branch .LBB52_7
.LBB52_5:                               ;   in Loop: Header=BB52_7 Depth=1
	s_wait_xcnt 0x0
	s_or_b32 exec_lo, exec_lo, s30
.LBB52_6:                               ;   in Loop: Header=BB52_7 Depth=1
	s_delay_alu instid0(SALU_CYCLE_1)
	s_or_b32 exec_lo, exec_lo, s3
	v_add_nc_u64_e32 v[20:21], s[6:7], v[10:11]
	v_add_nc_u64_e32 v[22:23], s[4:5], v[10:11]
	s_wait_loadcnt 0x0
	ds_bpermute_b32 v42, v2, v18
	ds_bpermute_b32 v43, v14, v19
	;; [unrolled: 1-line block ×4, first 2 shown]
	s_add_nc_u64 s[18:19], s[18:19], s[22:23]
	v_add_nc_u64_e32 v[24:25], s[28:29], v[20:21]
	v_add_nc_u64_e32 v[26:27], s[28:29], v[22:23]
	global_load_b32 v31, v[20:21], off
	global_load_b32 v30, v[22:23], off
	v_cmp_lt_i64_e64 s3, s[18:19], s[12:13]
	v_add_nc_u64_e32 v[6:7], s[24:25], v[6:7]
	v_add_nc_u64_e32 v[4:5], s[22:23], v[4:5]
	;; [unrolled: 1-line block ×4, first 2 shown]
	s_wait_xcnt 0x1
	v_add_nc_u64_e32 v[20:21], s[28:29], v[26:27]
	global_load_b32 v25, v[24:25], off
	s_and_b32 vcc_lo, exec_lo, s3
	global_load_b32 v24, v[26:27], off
	global_load_b32 v33, v[28:29], off
	v_add_nc_u64_e32 v[22:23], s[28:29], v[28:29]
	s_wait_xcnt 0x1
	v_add_nc_u64_e32 v[26:27], s[28:29], v[20:21]
	global_load_b32 v32, v[20:21], off
	global_load_b32 v35, v[22:23], off
	s_wait_xcnt 0x2
	v_add_nc_u64_e32 v[28:29], s[28:29], v[22:23]
	s_wait_xcnt 0x1
	v_add_nc_u64_e32 v[20:21], s[28:29], v[26:27]
	global_load_b32 v34, v[26:27], off
	global_load_b32 v37, v[28:29], off
	s_wait_xcnt 0x2
	;; [unrolled: 6-line block ×3, first 2 shown]
	v_add_nc_u64_e32 v[28:29], s[28:29], v[22:23]
	s_wait_xcnt 0x1
	v_add_nc_u64_e32 v[20:21], s[28:29], v[26:27]
	global_load_b32 v22, v[26:27], off
	s_wait_xcnt 0x0
	v_add_nc_u64_e32 v[26:27], s[28:29], v[28:29]
	global_load_b32 v23, v[28:29], off
	;; [unrolled: 3-line block ×3, first 2 shown]
	global_load_b32 v41, v[26:27], off
	global_load_b32 v40, v[28:29], off
	s_wait_xcnt 0x2
	ds_bpermute_b32 v20, v3, v19
	ds_bpermute_b32 v21, v12, v19
	s_wait_xcnt 0x1
	ds_bpermute_b32 v26, v3, v18
	ds_bpermute_b32 v27, v2, v19
	;; [unrolled: 3-line block ×3, first 2 shown]
	s_wait_loadcnt_dscnt 0xd04
	v_dual_sub_f32 v20, v31, v20 :: v_dual_sub_f32 v21, v25, v21
	s_delay_alu instid0(VALU_DEP_1) | instskip(SKIP_1) | instid1(VALU_DEP_1)
	v_mul_f32_e32 v20, v30, v20
	s_wait_dscnt 0x3
	v_mul_f32_e32 v31, v20, v26
	s_wait_loadcnt_dscnt 0xb02
	v_dual_mul_f32 v20, v24, v21 :: v_dual_sub_f32 v21, v33, v27
	ds_bpermute_b32 v27, v16, v19
	ds_bpermute_b32 v19, v17, v19
	;; [unrolled: 1-line block ×3, first 2 shown]
	s_wait_dscnt 0x4
	v_mul_f32_e32 v25, v20, v28
	v_pk_add_f32 v[8:9], v[8:9], v[30:31]
	ds_bpermute_b32 v28, v15, v18
	s_wait_loadcnt 0xa
	v_mul_f32_e32 v20, v32, v21
	s_wait_loadcnt_dscnt 0x904
	v_sub_f32_e32 v21, v35, v29
	v_pk_add_f32 v[8:9], v[8:9], v[24:25]
	ds_bpermute_b32 v24, v16, v18
	ds_bpermute_b32 v18, v17, v18
	s_wait_loadcnt 0x8
	v_dual_mul_f32 v33, v20, v42 :: v_dual_mul_f32 v20, v34, v21
	s_wait_loadcnt 0x7
	v_sub_f32_e32 v21, v37, v43
	s_delay_alu instid0(VALU_DEP_2) | instskip(SKIP_3) | instid1(VALU_DEP_1)
	v_pk_add_f32 v[8:9], v[8:9], v[32:33]
	s_wait_loadcnt_dscnt 0x104
	v_dual_sub_f32 v19, v41, v19 :: v_dual_mul_f32 v35, v20, v44
	s_wait_loadcnt 0x0
	v_mul_f32_e32 v19, v40, v19
	v_mul_f32_e32 v20, v36, v21
	v_sub_f32_e32 v21, v39, v45
	v_pk_add_f32 v[8:9], v[8:9], v[34:35]
	s_wait_dscnt 0x0
	v_mul_f32_e32 v41, v19, v18
	s_delay_alu instid0(VALU_DEP_3) | instskip(SKIP_1) | instid1(VALU_DEP_2)
	v_dual_mul_f32 v37, v20, v26 :: v_dual_mul_f32 v20, v22, v21
	v_sub_f32_e32 v21, v23, v27
	v_pk_add_f32 v[8:9], v[8:9], v[36:37]
	s_delay_alu instid0(VALU_DEP_2) | instskip(NEXT) | instid1(VALU_DEP_1)
	v_dual_mul_f32 v23, v20, v28 :: v_dual_mul_f32 v20, v38, v21
	v_pk_add_f32 v[8:9], v[8:9], v[22:23]
	s_delay_alu instid0(VALU_DEP_2) | instskip(NEXT) | instid1(VALU_DEP_1)
	v_mul_f32_e32 v39, v20, v24
	v_pk_add_f32 v[8:9], v[8:9], v[38:39]
	s_delay_alu instid0(VALU_DEP_1)
	v_pk_add_f32 v[8:9], v[8:9], v[40:41]
	s_cbranch_vccz .LBB52_10
.LBB52_7:                               ; =>This Inner Loop Header: Depth=1
	v_dual_mov_b32 v18, 0 :: v_dual_mov_b32 v19, 0
	s_and_saveexec_b32 s3, s2
	s_cbranch_execz .LBB52_6
; %bb.8:                                ;   in Loop: Header=BB52_7 Depth=1
	v_dual_mov_b32 v19, 0 :: v_dual_mov_b32 v18, 0
	s_mov_b32 s30, exec_lo
	v_cmpx_gt_i64_e64 s[12:13], v[4:5]
	s_cbranch_execz .LBB52_5
; %bb.9:                                ;   in Loop: Header=BB52_7 Depth=1
	v_add_nc_u64_e32 v[20:21], s[8:9], v[6:7]
	v_add_nc_u64_e32 v[22:23], s[10:11], v[6:7]
	global_load_b32 v19, v[20:21], off
	global_load_b32 v18, v[22:23], off
	s_branch .LBB52_5
.LBB52_10:
	v_mov_b32_e32 v2, v1
	s_mov_b64 s[4:5], s[20:21]
.LBB52_11:
	s_load_b128 s[0:3], s[0:1], 0x30
	s_nop 0
	s_load_u16 s4, s[4:5], 0xe
	v_mov_b32_e32 v1, 0
	s_delay_alu instid0(VALU_DEP_1) | instskip(SKIP_1) | instid1(VALU_DEP_1)
	v_mov_b32_e32 v3, v1
	s_wait_kmcnt 0x0
	v_mad_nc_u64_u32 v[2:3], s4, s17, v[2:3]
	s_mov_b32 s17, 0
	s_delay_alu instid0(SALU_CYCLE_1) | instskip(SKIP_2) | instid1(VALU_DEP_2)
	s_lshl_b64 s[4:5], s[16:17], 6
	s_cmp_eq_u64 s[0:1], 0
	v_add_nc_u64_e32 v[0:1], s[4:5], v[0:1]
	v_mul_u64_e32 v[2:3], s[14:15], v[2:3]
	s_cbranch_scc1 .LBB52_13
; %bb.12:
	s_delay_alu instid0(VALU_DEP_1) | instskip(NEXT) | instid1(VALU_DEP_1)
	v_lshl_add_u64 v[4:5], v[2:3], 2, s[0:1]
	v_lshl_add_u64 v[4:5], v[0:1], 2, v[4:5]
	global_store_b32 v[4:5], v9, off
.LBB52_13:
	s_cmp_eq_u64 s[2:3], 0
	s_cbranch_scc1 .LBB52_15
; %bb.14:
	s_delay_alu instid0(VALU_DEP_1) | instskip(NEXT) | instid1(VALU_DEP_1)
	v_lshl_add_u64 v[2:3], v[2:3], 2, s[2:3]
	v_lshl_add_u64 v[0:1], v[0:1], 2, v[2:3]
	global_store_b32 v[0:1], v8, off
.LBB52_15:
	s_endpgm
	.section	.rodata,"a",@progbits
	.p2align	6, 0x0
	.amdhsa_kernel _ZN2at6native12_GLOBAL__N_135GammaBetaBackwardCUDAKernelTemplateIffLj64ELj1ELj8ELb1ELb1ELb0EEEvllPKT_S5_PKT0_S8_PS3_S9_
		.amdhsa_group_segment_fixed_size 0
		.amdhsa_private_segment_fixed_size 0
		.amdhsa_kernarg_size 320
		.amdhsa_user_sgpr_count 2
		.amdhsa_user_sgpr_dispatch_ptr 0
		.amdhsa_user_sgpr_queue_ptr 0
		.amdhsa_user_sgpr_kernarg_segment_ptr 1
		.amdhsa_user_sgpr_dispatch_id 0
		.amdhsa_user_sgpr_kernarg_preload_length 0
		.amdhsa_user_sgpr_kernarg_preload_offset 0
		.amdhsa_user_sgpr_private_segment_size 0
		.amdhsa_wavefront_size32 1
		.amdhsa_uses_dynamic_stack 0
		.amdhsa_enable_private_segment 0
		.amdhsa_system_sgpr_workgroup_id_x 1
		.amdhsa_system_sgpr_workgroup_id_y 1
		.amdhsa_system_sgpr_workgroup_id_z 0
		.amdhsa_system_sgpr_workgroup_info 0
		.amdhsa_system_vgpr_workitem_id 1
		.amdhsa_next_free_vgpr 46
		.amdhsa_next_free_sgpr 31
		.amdhsa_named_barrier_count 0
		.amdhsa_reserve_vcc 1
		.amdhsa_float_round_mode_32 0
		.amdhsa_float_round_mode_16_64 0
		.amdhsa_float_denorm_mode_32 3
		.amdhsa_float_denorm_mode_16_64 3
		.amdhsa_fp16_overflow 0
		.amdhsa_memory_ordered 1
		.amdhsa_forward_progress 1
		.amdhsa_inst_pref_size 11
		.amdhsa_round_robin_scheduling 0
		.amdhsa_exception_fp_ieee_invalid_op 0
		.amdhsa_exception_fp_denorm_src 0
		.amdhsa_exception_fp_ieee_div_zero 0
		.amdhsa_exception_fp_ieee_overflow 0
		.amdhsa_exception_fp_ieee_underflow 0
		.amdhsa_exception_fp_ieee_inexact 0
		.amdhsa_exception_int_div_zero 0
	.end_amdhsa_kernel
	.section	.text._ZN2at6native12_GLOBAL__N_135GammaBetaBackwardCUDAKernelTemplateIffLj64ELj1ELj8ELb1ELb1ELb0EEEvllPKT_S5_PKT0_S8_PS3_S9_,"axG",@progbits,_ZN2at6native12_GLOBAL__N_135GammaBetaBackwardCUDAKernelTemplateIffLj64ELj1ELj8ELb1ELb1ELb0EEEvllPKT_S5_PKT0_S8_PS3_S9_,comdat
.Lfunc_end52:
	.size	_ZN2at6native12_GLOBAL__N_135GammaBetaBackwardCUDAKernelTemplateIffLj64ELj1ELj8ELb1ELb1ELb0EEEvllPKT_S5_PKT0_S8_PS3_S9_, .Lfunc_end52-_ZN2at6native12_GLOBAL__N_135GammaBetaBackwardCUDAKernelTemplateIffLj64ELj1ELj8ELb1ELb1ELb0EEEvllPKT_S5_PKT0_S8_PS3_S9_
                                        ; -- End function
	.set _ZN2at6native12_GLOBAL__N_135GammaBetaBackwardCUDAKernelTemplateIffLj64ELj1ELj8ELb1ELb1ELb0EEEvllPKT_S5_PKT0_S8_PS3_S9_.num_vgpr, 46
	.set _ZN2at6native12_GLOBAL__N_135GammaBetaBackwardCUDAKernelTemplateIffLj64ELj1ELj8ELb1ELb1ELb0EEEvllPKT_S5_PKT0_S8_PS3_S9_.num_agpr, 0
	.set _ZN2at6native12_GLOBAL__N_135GammaBetaBackwardCUDAKernelTemplateIffLj64ELj1ELj8ELb1ELb1ELb0EEEvllPKT_S5_PKT0_S8_PS3_S9_.numbered_sgpr, 31
	.set _ZN2at6native12_GLOBAL__N_135GammaBetaBackwardCUDAKernelTemplateIffLj64ELj1ELj8ELb1ELb1ELb0EEEvllPKT_S5_PKT0_S8_PS3_S9_.num_named_barrier, 0
	.set _ZN2at6native12_GLOBAL__N_135GammaBetaBackwardCUDAKernelTemplateIffLj64ELj1ELj8ELb1ELb1ELb0EEEvllPKT_S5_PKT0_S8_PS3_S9_.private_seg_size, 0
	.set _ZN2at6native12_GLOBAL__N_135GammaBetaBackwardCUDAKernelTemplateIffLj64ELj1ELj8ELb1ELb1ELb0EEEvllPKT_S5_PKT0_S8_PS3_S9_.uses_vcc, 1
	.set _ZN2at6native12_GLOBAL__N_135GammaBetaBackwardCUDAKernelTemplateIffLj64ELj1ELj8ELb1ELb1ELb0EEEvllPKT_S5_PKT0_S8_PS3_S9_.uses_flat_scratch, 0
	.set _ZN2at6native12_GLOBAL__N_135GammaBetaBackwardCUDAKernelTemplateIffLj64ELj1ELj8ELb1ELb1ELb0EEEvllPKT_S5_PKT0_S8_PS3_S9_.has_dyn_sized_stack, 0
	.set _ZN2at6native12_GLOBAL__N_135GammaBetaBackwardCUDAKernelTemplateIffLj64ELj1ELj8ELb1ELb1ELb0EEEvllPKT_S5_PKT0_S8_PS3_S9_.has_recursion, 0
	.set _ZN2at6native12_GLOBAL__N_135GammaBetaBackwardCUDAKernelTemplateIffLj64ELj1ELj8ELb1ELb1ELb0EEEvllPKT_S5_PKT0_S8_PS3_S9_.has_indirect_call, 0
	.section	.AMDGPU.csdata,"",@progbits
; Kernel info:
; codeLenInByte = 1320
; TotalNumSgprs: 33
; NumVgprs: 46
; ScratchSize: 0
; MemoryBound: 0
; FloatMode: 240
; IeeeMode: 1
; LDSByteSize: 0 bytes/workgroup (compile time only)
; SGPRBlocks: 0
; VGPRBlocks: 2
; NumSGPRsForWavesPerEU: 33
; NumVGPRsForWavesPerEU: 46
; NamedBarCnt: 0
; Occupancy: 16
; WaveLimiterHint : 0
; COMPUTE_PGM_RSRC2:SCRATCH_EN: 0
; COMPUTE_PGM_RSRC2:USER_SGPR: 2
; COMPUTE_PGM_RSRC2:TRAP_HANDLER: 0
; COMPUTE_PGM_RSRC2:TGID_X_EN: 1
; COMPUTE_PGM_RSRC2:TGID_Y_EN: 1
; COMPUTE_PGM_RSRC2:TGID_Z_EN: 0
; COMPUTE_PGM_RSRC2:TIDIG_COMP_CNT: 1
	.section	.text._ZN2at6native12_GLOBAL__N_135GammaBetaBackwardCUDAKernelTemplateIffLj64ELj1ELj8ELb1ELb0ELb0EEEvllPKT_S5_PKT0_S8_PS3_S9_,"axG",@progbits,_ZN2at6native12_GLOBAL__N_135GammaBetaBackwardCUDAKernelTemplateIffLj64ELj1ELj8ELb1ELb0ELb0EEEvllPKT_S5_PKT0_S8_PS3_S9_,comdat
	.globl	_ZN2at6native12_GLOBAL__N_135GammaBetaBackwardCUDAKernelTemplateIffLj64ELj1ELj8ELb1ELb0ELb0EEEvllPKT_S5_PKT0_S8_PS3_S9_ ; -- Begin function _ZN2at6native12_GLOBAL__N_135GammaBetaBackwardCUDAKernelTemplateIffLj64ELj1ELj8ELb1ELb0ELb0EEEvllPKT_S5_PKT0_S8_PS3_S9_
	.p2align	8
	.type	_ZN2at6native12_GLOBAL__N_135GammaBetaBackwardCUDAKernelTemplateIffLj64ELj1ELj8ELb1ELb0ELb0EEEvllPKT_S5_PKT0_S8_PS3_S9_,@function
_ZN2at6native12_GLOBAL__N_135GammaBetaBackwardCUDAKernelTemplateIffLj64ELj1ELj8ELb1ELb0ELb0EEEvllPKT_S5_PKT0_S8_PS3_S9_: ; @_ZN2at6native12_GLOBAL__N_135GammaBetaBackwardCUDAKernelTemplateIffLj64ELj1ELj8ELb1ELb0ELb0EEEvllPKT_S5_PKT0_S8_PS3_S9_
; %bb.0:
	s_load_b256 s[4:11], s[0:1], 0x0
	s_bfe_u32 s3, ttmp6, 0x4000c
	s_bfe_u32 s12, ttmp6, 0x40010
	s_add_co_i32 s3, s3, 1
	s_add_co_i32 s12, s12, 1
	s_and_b32 s2, ttmp6, 15
	s_bfe_u32 s13, ttmp6, 0x40004
	s_mul_i32 s3, ttmp9, s3
	s_mul_i32 s12, ttmp7, s12
	s_getreg_b32 s14, hwreg(HW_REG_IB_STS2, 6, 4)
	s_add_co_i32 s2, s2, s3
	s_add_co_i32 s3, s13, s12
	s_cmp_eq_u32 s14, 0
	s_mov_b32 s19, 0
	s_cselect_b32 s16, ttmp9, s2
	s_cselect_b32 s33, ttmp7, s3
	s_lshl_b32 s3, s16, 6
	s_load_b128 s[12:15], s[0:1], 0x20
	s_or_b32 s18, s3, 63
	s_wait_kmcnt 0x0
	v_cmp_le_i64_e64 s2, s[6:7], s[18:19]
	s_lshl_b32 s18, s33, 3
	s_delay_alu instid0(SALU_CYCLE_1) | instskip(SKIP_2) | instid1(VALU_DEP_1)
	v_cmp_gt_i64_e64 s17, s[4:5], s[18:19]
	s_and_b32 vcc_lo, exec_lo, s2
	v_cndmask_b32_e64 v1, 0, 1, s17
	v_cmp_ne_u32_e64 s2, 1, v1
	s_cbranch_vccz .LBB53_48
; %bb.1:
	v_mov_b32_e32 v21, 0
	s_and_b32 vcc_lo, exec_lo, s2
	s_delay_alu instid0(VALU_DEP_1)
	v_mov_b32_e32 v20, v21
	s_cbranch_vccnz .LBB53_49
; %bb.2:
	v_bfe_u32 v1, v0, 10, 10
	v_mov_b32_e32 v2, 0
	v_and_b32_e32 v62, 0x3ff, v0
	s_load_b32 s20, s[0:1], 0x44
	s_mov_b32 s21, 0
	s_delay_alu instid0(VALU_DEP_2) | instskip(NEXT) | instid1(VALU_DEP_2)
	v_dual_mov_b32 v23, v2 :: v_dual_lshlrev_b32 v22, 3, v1
	v_dual_mov_b32 v19, v2 :: v_dual_add_nc_u32 v18, s3, v62
	s_mov_b32 s25, s21
	s_add_nc_u64 s[22:23], s[0:1], 64
	s_delay_alu instid0(VALU_DEP_2) | instskip(SKIP_2) | instid1(VALU_DEP_1)
	v_add_nc_u64_e32 v[4:5], s[18:19], v[22:23]
	s_mov_b64 s[28:29], 7
	s_mov_b64 s[30:31], s[18:19]
	v_mul_u64_e32 v[6:7], s[6:7], v[4:5]
	v_add_nc_u64_e32 v[8:9], 7, v[4:5]
	v_add_nc_u64_e32 v[10:11], 6, v[4:5]
	;; [unrolled: 1-line block ×6, first 2 shown]
	s_wait_kmcnt 0x0
	s_lshl_b32 s24, s20, 3
	v_mul_u64_e32 v[8:9], s[6:7], v[8:9]
	v_mul_u64_e32 v[10:11], s[6:7], v[10:11]
	;; [unrolled: 1-line block ×6, first 2 shown]
	s_mul_u64 s[26:27], s[6:7], s[24:25]
	s_delay_alu instid0(SALU_CYCLE_1) | instskip(SKIP_2) | instid1(VALU_DEP_2)
	s_lshl_b64 s[26:27], s[26:27], 2
	v_lshlrev_b64_e32 v[20:21], 2, v[6:7]
	v_add_nc_u64_e32 v[6:7], s[6:7], v[6:7]
	v_add_nc_u64_e32 v[26:27], s[8:9], v[20:21]
	v_lshlrev_b64_e32 v[8:9], 2, v[8:9]
	v_lshlrev_b64_e32 v[10:11], 2, v[10:11]
	;; [unrolled: 1-line block ×7, first 2 shown]
	v_add_nc_u64_e32 v[28:29], s[10:11], v[20:21]
	v_add_nc_u64_e32 v[30:31], s[8:9], v[8:9]
	;; [unrolled: 1-line block ×15, first 2 shown]
	v_mov_b32_e32 v20, 0
	v_cmp_gt_i64_e64 s2, s[6:7], v[18:19]
	v_lshlrev_b64_e32 v[24:25], 2, v[18:19]
	v_mov_b32_e32 v21, v2
	s_branch .LBB53_5
.LBB53_3:                               ;   in Loop: Header=BB53_5 Depth=1
	s_wait_xcnt 0x0
	s_or_b32 exec_lo, exec_lo, s20
	s_wait_loadcnt 0x1
	ds_bpermute_b32 v3, v2, v60
	ds_bpermute_b32 v59, v2, v60 offset:4
	ds_bpermute_b32 v63, v2, v60 offset:8
	s_wait_loadcnt 0x0
	ds_bpermute_b32 v64, v2, v61
	ds_bpermute_b32 v65, v2, v60 offset:12
	ds_bpermute_b32 v66, v2, v61 offset:4
	;; [unrolled: 1-line block ×9, first 2 shown]
	s_wait_dscnt 0xc
	v_dual_mov_b32 v58, v5 :: v_dual_sub_f32 v3, v12, v3
	s_wait_dscnt 0xb
	v_dual_mov_b32 v12, v4 :: v_dual_sub_f32 v13, v13, v59
	s_wait_dscnt 0xa
	v_sub_f32_e32 v59, v14, v63
	v_dual_mul_f32 v3, v4, v3 :: v_dual_mov_b32 v4, v6
	s_delay_alu instid0(VALU_DEP_3) | instskip(SKIP_1) | instid1(VALU_DEP_2)
	v_dual_mul_f32 v5, v5, v13 :: v_dual_mov_b32 v14, v7
	s_wait_dscnt 0x9
	v_dual_mul_f32 v6, v6, v59 :: v_dual_mul_f32 v13, v3, v64
	s_wait_dscnt 0x7
	s_delay_alu instid0(VALU_DEP_2) | instskip(SKIP_1) | instid1(VALU_DEP_2)
	v_dual_sub_f32 v3, v15, v65 :: v_dual_mul_f32 v59, v5, v66
	s_wait_dscnt 0x6
	v_mul_f32_e32 v5, v6, v67
	v_pk_add_f32 v[12:13], v[20:21], v[12:13]
	ds_bpermute_b32 v20, v2, v61 offset:24
	s_wait_dscnt 0x6
	v_dual_sub_f32 v15, v16, v69 :: v_dual_mul_f32 v3, v7, v3
	v_pk_add_f32 v[6:7], v[58:59], v[12:13]
	s_wait_dscnt 0x4
	v_dual_mov_b32 v12, v8 :: v_dual_sub_f32 v13, v17, v72
	s_delay_alu instid0(VALU_DEP_3) | instskip(NEXT) | instid1(VALU_DEP_3)
	v_dual_mul_f32 v8, v8, v15 :: v_dual_mul_f32 v15, v3, v68
	v_pk_add_f32 v[4:5], v[4:5], v[6:7]
	ds_bpermute_b32 v3, v2, v61 offset:28
	s_wait_dscnt 0x3
	v_sub_f32_e32 v16, v18, v73
	v_dual_mul_f32 v17, v9, v13 :: v_dual_mul_f32 v13, v8, v70
	v_pk_add_f32 v[6:7], v[14:15], v[4:5]
	ds_bpermute_b32 v4, v2, v60 offset:28
	v_dual_mov_b32 v8, v9 :: v_dual_mul_f32 v5, v10, v16
	s_wait_dscnt 0x3
	v_mul_f32_e32 v9, v17, v71
	v_pk_add_f32 v[6:7], v[12:13], v[6:7]
	s_wait_dscnt 0x2
	v_dual_mov_b32 v12, v10 :: v_dual_mul_f32 v13, v5, v20
	s_delay_alu instid0(VALU_DEP_2) | instskip(NEXT) | instid1(VALU_DEP_1)
	v_pk_add_f32 v[6:7], v[8:9], v[6:7]
	v_pk_add_f32 v[60:61], v[12:13], v[6:7]
.LBB53_4:                               ;   in Loop: Header=BB53_5 Depth=1
	s_wait_dscnt 0x0
	v_sub_f32_e32 v5, v19, v4
	v_mov_b32_e32 v4, v11
	s_add_nc_u64 s[30:31], s[30:31], s[24:25]
	v_add_nc_u64_e32 v[26:27], s[26:27], v[26:27]
	v_cmp_lt_i64_e64 s20, s[30:31], s[4:5]
	v_mul_f32_e32 v5, v11, v5
	v_add_nc_u64_e32 v[28:29], s[26:27], v[28:29]
	v_add_nc_u64_e32 v[30:31], s[26:27], v[30:31]
	;; [unrolled: 1-line block ×4, first 2 shown]
	v_mul_f32_e32 v5, v5, v3
	v_add_nc_u64_e32 v[36:37], s[26:27], v[36:37]
	v_add_nc_u64_e32 v[38:39], s[26:27], v[38:39]
	;; [unrolled: 1-line block ×12, first 2 shown]
	v_pk_add_f32 v[20:21], v[60:61], v[4:5]
	s_and_b32 vcc_lo, exec_lo, s20
	s_add_nc_u64 s[28:29], s[28:29], s[24:25]
	s_cbranch_vccz .LBB53_49
.LBB53_5:                               ; =>This Inner Loop Header: Depth=1
	s_add_nc_u64 s[34:35], s[18:19], s[28:29]
	s_delay_alu instid0(VALU_DEP_2)
	v_add_nc_u64_e32 v[58:59], s[18:19], v[22:23]
	v_cmp_ge_i64_e64 s20, s[34:35], s[4:5]
                                        ; implicit-def: $vgpr4_vgpr5_vgpr6_vgpr7_vgpr8_vgpr9_vgpr10_vgpr11
                                        ; implicit-def: $vgpr60_vgpr61
                                        ; implicit-def: $vgpr3
                                        ; implicit-def: $vgpr12_vgpr13_vgpr14_vgpr15_vgpr16_vgpr17_vgpr18_vgpr19
                                        ; implicit-def: $vgpr4
	s_and_b32 vcc_lo, exec_lo, s20
	s_mov_b32 s20, -1
	s_cbranch_vccz .LBB53_27
; %bb.6:                                ;   in Loop: Header=BB53_5 Depth=1
	s_load_b32 s20, s[22:23], 0xc
	v_dual_mov_b32 v60, 0 :: v_dual_mov_b32 v61, 0
	s_wait_kmcnt 0x0
	s_and_b32 s20, s20, 0xffff
	s_delay_alu instid0(SALU_CYCLE_1) | instskip(SKIP_1) | instid1(VALU_DEP_1)
	v_mad_u32_u24 v3, v1, s20, v62
	s_mov_b32 s20, exec_lo
	v_and_b32_e32 v4, 31, v3
	s_delay_alu instid0(VALU_DEP_1)
	v_cmpx_gt_u32_e32 8, v4
	s_cbranch_execz .LBB53_10
; %bb.7:                                ;   in Loop: Header=BB53_5 Depth=1
	v_dual_mov_b32 v5, v2 :: v_dual_mov_b32 v60, 0
	v_mov_b32_e32 v61, 0
	s_mov_b32 s34, exec_lo
	s_delay_alu instid0(VALU_DEP_2) | instskip(NEXT) | instid1(VALU_DEP_1)
	v_add_nc_u64_e32 v[4:5], v[58:59], v[4:5]
	v_cmpx_gt_i64_e64 s[4:5], v[4:5]
	s_cbranch_execz .LBB53_9
; %bb.8:                                ;   in Loop: Header=BB53_5 Depth=1
	v_lshlrev_b64_e32 v[4:5], 2, v[4:5]
	s_delay_alu instid0(VALU_DEP_1)
	v_add_nc_u64_e32 v[6:7], s[12:13], v[4:5]
	v_add_nc_u64_e32 v[4:5], s[14:15], v[4:5]
	global_load_b32 v60, v[6:7], off
	global_load_b32 v61, v[4:5], off
.LBB53_9:                               ;   in Loop: Header=BB53_5 Depth=1
	s_wait_xcnt 0x0
	s_or_b32 exec_lo, exec_lo, s34
.LBB53_10:                              ;   in Loop: Header=BB53_5 Depth=1
	s_delay_alu instid0(SALU_CYCLE_1)
	s_or_b32 exec_lo, exec_lo, s20
	v_dual_mov_b32 v7, v2 :: v_dual_mov_b32 v8, v2
	v_dual_mov_b32 v9, v2 :: v_dual_mov_b32 v3, v2
	;; [unrolled: 1-line block ×3, first 2 shown]
	v_mov_b32_e32 v6, v2
	v_cmp_gt_i64_e32 vcc_lo, s[4:5], v[58:59]
	s_delay_alu instid0(VALU_DEP_4)
	v_mov_b64_e32 v[18:19], v[8:9]
	v_mov_b64_e32 v[12:13], v[2:3]
	v_mov_b64_e32 v[14:15], v[4:5]
	v_mov_b64_e32 v[16:17], v[6:7]
	v_mov_b64_e32 v[10:11], v[8:9]
	v_mov_b64_e32 v[8:9], v[6:7]
	v_mov_b64_e32 v[6:7], v[4:5]
	v_mov_b64_e32 v[4:5], v[2:3]
	s_and_b32 s34, s2, vcc_lo
	s_delay_alu instid0(SALU_CYCLE_1)
	s_and_saveexec_b32 s20, s34
	s_cbranch_execz .LBB53_12
; %bb.11:                               ;   in Loop: Header=BB53_5 Depth=1
	v_add_nc_u64_e32 v[6:7], v[26:27], v[24:25]
	v_add_nc_u64_e32 v[8:9], v[28:29], v[24:25]
	v_dual_mov_b32 v5, v2 :: v_dual_mov_b32 v11, v2
	v_dual_mov_b32 v13, v2 :: v_dual_mov_b32 v14, v2
	v_mov_b32_e32 v15, v2
	global_load_b32 v4, v[6:7], off
	global_load_b32 v12, v[8:9], off
	s_wait_xcnt 0x1
	v_dual_mov_b32 v6, v2 :: v_dual_mov_b32 v7, v2
	s_wait_xcnt 0x0
	v_dual_mov_b32 v8, v2 :: v_dual_mov_b32 v9, v2
	v_dual_mov_b32 v10, v2 :: v_dual_mov_b32 v16, v2
	;; [unrolled: 1-line block ×3, first 2 shown]
	v_mov_b32_e32 v19, v2
.LBB53_12:                              ;   in Loop: Header=BB53_5 Depth=1
	s_or_b32 exec_lo, exec_lo, s20
	v_add_nc_u64_e32 v[64:65], 1, v[58:59]
	s_delay_alu instid0(VALU_DEP_1) | instskip(SKIP_1) | instid1(SALU_CYCLE_1)
	v_cmp_gt_i64_e32 vcc_lo, s[4:5], v[64:65]
	s_and_b32 s34, s2, vcc_lo
	s_and_saveexec_b32 s20, s34
	s_cbranch_execz .LBB53_14
; %bb.13:                               ;   in Loop: Header=BB53_5 Depth=1
	v_add_nc_u64_e32 v[64:65], v[54:55], v[24:25]
	v_add_nc_u64_e32 v[66:67], v[56:57], v[24:25]
	global_load_b32 v5, v[64:65], off
	global_load_b32 v13, v[66:67], off
.LBB53_14:                              ;   in Loop: Header=BB53_5 Depth=1
	s_wait_xcnt 0x0
	s_or_b32 exec_lo, exec_lo, s20
	v_add_nc_u64_e32 v[64:65], 2, v[58:59]
	s_delay_alu instid0(VALU_DEP_1) | instskip(SKIP_1) | instid1(SALU_CYCLE_1)
	v_cmp_gt_i64_e32 vcc_lo, s[4:5], v[64:65]
	s_and_b32 s34, s2, vcc_lo
	s_and_saveexec_b32 s20, s34
	s_cbranch_execz .LBB53_16
; %bb.15:                               ;   in Loop: Header=BB53_5 Depth=1
	v_add_nc_u64_e32 v[64:65], v[50:51], v[24:25]
	v_add_nc_u64_e32 v[66:67], v[52:53], v[24:25]
	global_load_b32 v6, v[64:65], off
	global_load_b32 v14, v[66:67], off
.LBB53_16:                              ;   in Loop: Header=BB53_5 Depth=1
	s_wait_xcnt 0x0
	;; [unrolled: 14-line block ×7, first 2 shown]
	s_or_b32 exec_lo, exec_lo, s20
	s_wait_loadcnt 0x1
	ds_bpermute_b32 v3, v2, v60
	ds_bpermute_b32 v63, v2, v60 offset:4
	ds_bpermute_b32 v65, v2, v60 offset:8
	s_wait_loadcnt 0x0
	ds_bpermute_b32 v66, v2, v61
	ds_bpermute_b32 v67, v2, v60 offset:12
	ds_bpermute_b32 v68, v2, v61 offset:4
	;; [unrolled: 1-line block ×8, first 2 shown]
	s_mov_b32 s20, 0
	s_wait_dscnt 0xb
	v_dual_mov_b32 v64, v5 :: v_dual_sub_f32 v3, v12, v3
	s_wait_dscnt 0xa
	v_dual_mov_b32 v12, v4 :: v_dual_sub_f32 v13, v13, v63
	ds_bpermute_b32 v63, v2, v60 offset:24
	v_dual_mul_f32 v3, v4, v3 :: v_dual_mov_b32 v4, v6
	s_wait_dscnt 0xa
	v_sub_f32_e32 v65, v14, v65
	v_dual_mul_f32 v5, v5, v13 :: v_dual_mov_b32 v14, v7
	s_wait_dscnt 0x9
	v_mul_f32_e32 v13, v3, v66
	s_wait_dscnt 0x8
	v_dual_sub_f32 v3, v15, v67 :: v_dual_mul_f32 v6, v6, v65
	s_wait_dscnt 0x5
	v_dual_mul_f32 v65, v5, v68 :: v_dual_sub_f32 v15, v16, v71
	v_pk_add_f32 v[12:13], v[20:21], v[12:13]
	ds_bpermute_b32 v66, v2, v61 offset:24
	v_dual_mul_f32 v3, v7, v3 :: v_dual_mul_f32 v5, v6, v69
	v_pk_add_f32 v[6:7], v[64:65], v[12:13]
	s_wait_dscnt 0x4
	v_dual_mov_b32 v12, v8 :: v_dual_sub_f32 v13, v17, v74
	s_delay_alu instid0(VALU_DEP_3) | instskip(NEXT) | instid1(VALU_DEP_3)
	v_dual_mul_f32 v8, v8, v15 :: v_dual_mul_f32 v15, v3, v70
	v_pk_add_f32 v[4:5], v[4:5], v[6:7]
	ds_bpermute_b32 v3, v2, v61 offset:28
	s_wait_dscnt 0x2
	v_dual_sub_f32 v16, v18, v63 :: v_dual_mul_f32 v17, v9, v13
	v_dual_mul_f32 v13, v8, v72 :: v_dual_mov_b32 v8, v9
	v_pk_add_f32 v[6:7], v[14:15], v[4:5]
	ds_bpermute_b32 v4, v2, v60 offset:28
	v_dual_mul_f32 v5, v10, v16 :: v_dual_mul_f32 v9, v17, v73
	v_pk_add_f32 v[6:7], v[12:13], v[6:7]
	s_wait_dscnt 0x2
	s_delay_alu instid0(VALU_DEP_2) | instskip(NEXT) | instid1(VALU_DEP_2)
	v_dual_mov_b32 v12, v10 :: v_dual_mul_f32 v13, v5, v66
	v_pk_add_f32 v[6:7], v[8:9], v[6:7]
	s_delay_alu instid0(VALU_DEP_1)
	v_pk_add_f32 v[60:61], v[12:13], v[6:7]
.LBB53_27:                              ;   in Loop: Header=BB53_5 Depth=1
	s_and_b32 vcc_lo, exec_lo, s20
	s_cbranch_vccz .LBB53_4
; %bb.28:                               ;   in Loop: Header=BB53_5 Depth=1
	s_load_b32 s20, s[22:23], 0x0
	v_dual_mov_b32 v60, 0 :: v_dual_mov_b32 v61, 0
	s_wait_kmcnt 0x0
	s_cmp_lt_u32 s16, s20
	s_cselect_b32 s20, 12, 18
	s_delay_alu instid0(SALU_CYCLE_1)
	s_add_nc_u64 s[34:35], s[22:23], s[20:21]
	s_load_u16 s20, s[34:35], 0x0
	s_wait_dscnt 0x1
	s_wait_kmcnt 0x0
	v_mad_u32_u24 v3, v1, s20, v62
	s_mov_b32 s20, exec_lo
	s_wait_dscnt 0x0
	s_delay_alu instid0(VALU_DEP_1) | instskip(NEXT) | instid1(VALU_DEP_1)
	v_and_b32_e32 v4, 31, v3
	v_cmpx_gt_u32_e32 8, v4
	s_cbranch_execz .LBB53_32
; %bb.29:                               ;   in Loop: Header=BB53_5 Depth=1
	v_dual_mov_b32 v5, v2 :: v_dual_mov_b32 v60, 0
	v_mov_b32_e32 v61, 0
	s_mov_b32 s34, exec_lo
	s_delay_alu instid0(VALU_DEP_2) | instskip(NEXT) | instid1(VALU_DEP_1)
	v_add_nc_u64_e32 v[4:5], v[58:59], v[4:5]
	v_cmpx_gt_i64_e64 s[4:5], v[4:5]
	s_cbranch_execz .LBB53_31
; %bb.30:                               ;   in Loop: Header=BB53_5 Depth=1
	v_lshlrev_b64_e32 v[4:5], 2, v[4:5]
	s_delay_alu instid0(VALU_DEP_1)
	v_add_nc_u64_e32 v[6:7], s[12:13], v[4:5]
	v_add_nc_u64_e32 v[4:5], s[14:15], v[4:5]
	global_load_b32 v60, v[6:7], off
	global_load_b32 v61, v[4:5], off
.LBB53_31:                              ;   in Loop: Header=BB53_5 Depth=1
	s_wait_xcnt 0x0
	s_or_b32 exec_lo, exec_lo, s34
.LBB53_32:                              ;   in Loop: Header=BB53_5 Depth=1
	s_delay_alu instid0(SALU_CYCLE_1) | instskip(SKIP_4) | instid1(VALU_DEP_3)
	s_or_b32 exec_lo, exec_lo, s20
	v_dual_mov_b32 v7, v2 :: v_dual_mov_b32 v8, v2
	v_dual_mov_b32 v9, v2 :: v_dual_mov_b32 v3, v2
	v_dual_mov_b32 v4, v2 :: v_dual_mov_b32 v5, v2
	v_mov_b32_e32 v6, v2
	v_mov_b64_e32 v[18:19], v[8:9]
	s_delay_alu instid0(VALU_DEP_4) | instskip(NEXT) | instid1(VALU_DEP_4)
	v_mov_b64_e32 v[12:13], v[2:3]
	v_mov_b64_e32 v[14:15], v[4:5]
	s_delay_alu instid0(VALU_DEP_4)
	v_mov_b64_e32 v[16:17], v[6:7]
	v_mov_b64_e32 v[10:11], v[8:9]
	;; [unrolled: 1-line block ×5, first 2 shown]
	s_and_saveexec_b32 s20, s2
	s_cbranch_execnz .LBB53_40
; %bb.33:                               ;   in Loop: Header=BB53_5 Depth=1
	s_or_b32 exec_lo, exec_lo, s20
	s_and_saveexec_b32 s20, s2
	s_cbranch_execnz .LBB53_41
.LBB53_34:                              ;   in Loop: Header=BB53_5 Depth=1
	s_or_b32 exec_lo, exec_lo, s20
	s_and_saveexec_b32 s20, s2
	s_cbranch_execnz .LBB53_42
.LBB53_35:                              ;   in Loop: Header=BB53_5 Depth=1
	s_or_b32 exec_lo, exec_lo, s20
	s_and_saveexec_b32 s20, s2
	s_cbranch_execnz .LBB53_43
.LBB53_36:                              ;   in Loop: Header=BB53_5 Depth=1
	s_or_b32 exec_lo, exec_lo, s20
	s_and_saveexec_b32 s20, s2
	s_cbranch_execnz .LBB53_44
.LBB53_37:                              ;   in Loop: Header=BB53_5 Depth=1
	s_or_b32 exec_lo, exec_lo, s20
	s_and_saveexec_b32 s20, s2
	s_cbranch_execnz .LBB53_45
.LBB53_38:                              ;   in Loop: Header=BB53_5 Depth=1
	s_or_b32 exec_lo, exec_lo, s20
	s_and_saveexec_b32 s20, s2
	s_cbranch_execnz .LBB53_46
.LBB53_39:                              ;   in Loop: Header=BB53_5 Depth=1
	s_or_b32 exec_lo, exec_lo, s20
	s_and_saveexec_b32 s20, s2
	s_cbranch_execz .LBB53_3
	s_branch .LBB53_47
.LBB53_40:                              ;   in Loop: Header=BB53_5 Depth=1
	v_add_nc_u64_e32 v[6:7], v[26:27], v[24:25]
	v_add_nc_u64_e32 v[8:9], v[28:29], v[24:25]
	v_dual_mov_b32 v5, v2 :: v_dual_mov_b32 v11, v2
	v_dual_mov_b32 v13, v2 :: v_dual_mov_b32 v14, v2
	v_mov_b32_e32 v15, v2
	global_load_b32 v4, v[6:7], off
	global_load_b32 v12, v[8:9], off
	s_wait_xcnt 0x1
	v_dual_mov_b32 v6, v2 :: v_dual_mov_b32 v7, v2
	s_wait_xcnt 0x0
	v_dual_mov_b32 v8, v2 :: v_dual_mov_b32 v9, v2
	v_dual_mov_b32 v10, v2 :: v_dual_mov_b32 v16, v2
	;; [unrolled: 1-line block ×3, first 2 shown]
	v_mov_b32_e32 v19, v2
	s_or_b32 exec_lo, exec_lo, s20
	s_and_saveexec_b32 s20, s2
	s_cbranch_execz .LBB53_34
.LBB53_41:                              ;   in Loop: Header=BB53_5 Depth=1
	v_add_nc_u64_e32 v[58:59], v[54:55], v[24:25]
	v_add_nc_u64_e32 v[64:65], v[56:57], v[24:25]
	global_load_b32 v5, v[58:59], off
	global_load_b32 v13, v[64:65], off
	s_wait_xcnt 0x0
	s_or_b32 exec_lo, exec_lo, s20
	s_and_saveexec_b32 s20, s2
	s_cbranch_execz .LBB53_35
.LBB53_42:                              ;   in Loop: Header=BB53_5 Depth=1
	v_add_nc_u64_e32 v[58:59], v[50:51], v[24:25]
	v_add_nc_u64_e32 v[64:65], v[52:53], v[24:25]
	global_load_b32 v6, v[58:59], off
	global_load_b32 v14, v[64:65], off
	s_wait_xcnt 0x0
	s_or_b32 exec_lo, exec_lo, s20
	s_and_saveexec_b32 s20, s2
	s_cbranch_execz .LBB53_36
.LBB53_43:                              ;   in Loop: Header=BB53_5 Depth=1
	v_add_nc_u64_e32 v[58:59], v[46:47], v[24:25]
	v_add_nc_u64_e32 v[64:65], v[48:49], v[24:25]
	global_load_b32 v7, v[58:59], off
	global_load_b32 v15, v[64:65], off
	s_wait_xcnt 0x0
	s_or_b32 exec_lo, exec_lo, s20
	s_and_saveexec_b32 s20, s2
	s_cbranch_execz .LBB53_37
.LBB53_44:                              ;   in Loop: Header=BB53_5 Depth=1
	v_add_nc_u64_e32 v[58:59], v[42:43], v[24:25]
	v_add_nc_u64_e32 v[64:65], v[44:45], v[24:25]
	global_load_b32 v8, v[58:59], off
	global_load_b32 v16, v[64:65], off
	s_wait_xcnt 0x0
	s_or_b32 exec_lo, exec_lo, s20
	s_and_saveexec_b32 s20, s2
	s_cbranch_execz .LBB53_38
.LBB53_45:                              ;   in Loop: Header=BB53_5 Depth=1
	v_add_nc_u64_e32 v[58:59], v[38:39], v[24:25]
	v_add_nc_u64_e32 v[64:65], v[40:41], v[24:25]
	global_load_b32 v9, v[58:59], off
	global_load_b32 v17, v[64:65], off
	s_wait_xcnt 0x0
	s_or_b32 exec_lo, exec_lo, s20
	s_and_saveexec_b32 s20, s2
	s_cbranch_execz .LBB53_39
.LBB53_46:                              ;   in Loop: Header=BB53_5 Depth=1
	v_add_nc_u64_e32 v[58:59], v[34:35], v[24:25]
	v_add_nc_u64_e32 v[64:65], v[36:37], v[24:25]
	global_load_b32 v10, v[58:59], off
	global_load_b32 v18, v[64:65], off
	s_wait_xcnt 0x0
	s_or_b32 exec_lo, exec_lo, s20
	s_and_saveexec_b32 s20, s2
	s_cbranch_execz .LBB53_3
.LBB53_47:                              ;   in Loop: Header=BB53_5 Depth=1
	v_add_nc_u64_e32 v[58:59], v[30:31], v[24:25]
	v_add_nc_u64_e32 v[64:65], v[32:33], v[24:25]
	global_load_b32 v11, v[58:59], off
	global_load_b32 v19, v[64:65], off
	s_branch .LBB53_3
.LBB53_48:
                                        ; implicit-def: $vgpr21
	s_branch .LBB53_50
.LBB53_49:
	s_cbranch_execnz .LBB53_81
.LBB53_50:
	v_mov_b32_e32 v21, 0
	s_and_not1_b32 vcc_lo, exec_lo, s17
	s_delay_alu instid0(VALU_DEP_1)
	v_mov_b32_e32 v20, v21
	s_cbranch_vccnz .LBB53_81
; %bb.51:
	v_bfe_u32 v1, v0, 10, 10
	v_mov_b32_e32 v2, 0
	v_and_b32_e32 v88, 0x3ff, v0
	s_load_b32 s2, s[0:1], 0x44
	s_add_nc_u64 s[20:21], s[0:1], 64
	s_delay_alu instid0(VALU_DEP_2) | instskip(SKIP_1) | instid1(VALU_DEP_2)
	v_dual_mov_b32 v5, v2 :: v_dual_lshlrev_b32 v4, 5, v1
	v_dual_mov_b32 v23, v2 :: v_dual_lshlrev_b32 v22, 3, v1
	v_lshl_add_u64 v[4:5], s[18:19], 2, v[4:5]
	s_delay_alu instid0(VALU_DEP_2) | instskip(NEXT) | instid1(VALU_DEP_2)
	v_add_nc_u64_e32 v[8:9], s[18:19], v[22:23]
	v_add_nc_u64_e32 v[6:7], 4, v[4:5]
	;; [unrolled: 1-line block ×6, first 2 shown]
	v_mul_u64_e32 v[20:21], s[6:7], v[8:9]
	v_add_nc_u64_e32 v[48:49], 4, v[8:9]
	v_mad_nc_u64_u32 v[24:25], s6, v6, s[8:9]
	v_mul_lo_u32 v3, s6, v7
	v_mul_lo_u32 v44, s7, v6
	v_mad_nc_u64_u32 v[34:35], s6, v6, s[10:11]
	v_add_nc_u64_e32 v[6:7], 7, v[8:9]
	v_mad_nc_u64_u32 v[26:27], s6, v10, s[8:9]
	v_mul_lo_u32 v50, s6, v11
	v_mul_lo_u32 v51, s7, v10
	v_mad_nc_u64_u32 v[28:29], s6, v12, s[8:9]
	v_mul_lo_u32 v52, s6, v13
	v_mul_lo_u32 v53, s7, v12
	v_mad_nc_u64_u32 v[36:37], s6, v10, s[10:11]
	v_mad_nc_u64_u32 v[40:41], s6, v12, s[10:11]
	v_add_nc_u64_e32 v[10:11], 6, v[8:9]
	v_mul_u64_e32 v[6:7], s[6:7], v[6:7]
	v_add_nc_u64_e32 v[12:13], 5, v[8:9]
	v_mad_nc_u64_u32 v[30:31], s6, v14, s[8:9]
	v_mul_lo_u32 v54, s6, v15
	v_mul_lo_u32 v55, s7, v14
	v_add3_u32 v25, v44, v25, v3
	v_add3_u32 v35, v44, v35, v3
	v_mul_u64_e32 v[10:11], s[6:7], v[10:11]
	v_mad_nc_u64_u32 v[44:45], s6, v14, s[10:11]
	v_add_nc_u64_e32 v[14:15], 3, v[8:9]
	v_add_nc_u64_e32 v[8:9], 2, v[8:9]
	v_mul_u64_e32 v[12:13], s[6:7], v[12:13]
	v_mad_nc_u64_u32 v[32:33], s6, v16, s[8:9]
	v_mul_lo_u32 v56, s6, v17
	v_mul_lo_u32 v57, s7, v16
	v_mad_nc_u64_u32 v[46:47], s6, v16, s[10:11]
	v_mul_u64_e32 v[16:17], s[6:7], v[48:49]
	v_mul_u64_e32 v[14:15], s[6:7], v[14:15]
	;; [unrolled: 1-line block ×3, first 2 shown]
	v_add_nc_u64_e32 v[18:19], 24, v[4:5]
	v_add_nc_u64_e32 v[4:5], 28, v[4:5]
	v_add3_u32 v27, v51, v27, v50
	v_add3_u32 v37, v51, v37, v50
	;; [unrolled: 1-line block ×5, first 2 shown]
	v_mad_nc_u64_u32 v[38:39], s6, v18, s[8:9]
	v_mul_lo_u32 v19, s6, v19
	v_mul_lo_u32 v58, s7, v18
	v_mad_nc_u64_u32 v[42:43], s6, v4, s[8:9]
	v_mad_nc_u64_u32 v[48:49], s6, v18, s[10:11]
	v_mul_lo_u32 v3, s6, v5
	v_mul_lo_u32 v18, s7, v4
	v_mad_nc_u64_u32 v[50:51], s6, v4, s[10:11]
	v_lshlrev_b64_e32 v[6:7], 2, v[6:7]
	v_dual_mov_b32 v5, v2 :: v_dual_add_nc_u32 v4, s3, v88
	s_mov_b32 s3, 0
	v_add3_u32 v33, v57, v33, v56
	v_add3_u32 v39, v58, v39, v19
	;; [unrolled: 1-line block ×4, first 2 shown]
	v_add_nc_u64_e32 v[58:59], s[8:9], v[6:7]
	v_add3_u32 v43, v18, v43, v3
	v_add3_u32 v51, v18, v51, v3
	v_lshlrev_b64_e32 v[18:19], 2, v[20:21]
	v_add_nc_u64_e32 v[60:61], s[10:11], v[6:7]
	v_lshlrev_b64_e32 v[6:7], 2, v[12:13]
	v_add_nc_u64_e32 v[12:13], s[6:7], v[20:21]
	v_mov_b32_e32 v20, 0
	v_lshlrev_b64_e32 v[52:53], 2, v[4:5]
	v_lshlrev_b64_e32 v[4:5], 2, v[10:11]
	;; [unrolled: 1-line block ×4, first 2 shown]
	v_add_nc_u64_e32 v[66:67], s[8:9], v[6:7]
	v_add_nc_u64_e32 v[68:69], s[10:11], v[6:7]
	v_lshlrev_b64_e32 v[6:7], 2, v[12:13]
	v_add3_u32 v47, v57, v47, v56
	v_add_nc_u64_e32 v[62:63], s[8:9], v[4:5]
	v_add_nc_u64_e32 v[64:65], s[10:11], v[4:5]
	v_lshlrev_b64_e32 v[4:5], 2, v[14:15]
	v_add_nc_u64_e32 v[54:55], s[8:9], v[18:19]
	v_add_nc_u64_e32 v[56:57], s[10:11], v[18:19]
	;; [unrolled: 1-line block ×10, first 2 shown]
	s_wait_kmcnt 0x0
	s_lshl_b32 s22, s2, 3
	s_mov_b32 s23, s3
	v_mov_b32_e32 v21, v2
	s_mul_u64 s[24:25], s[6:7], s[22:23]
	s_mov_b64 s[10:11], 7
	s_lshl_b64 s[8:9], s[24:25], 2
	s_mov_b64 s[24:25], s[18:19]
	s_branch .LBB53_55
.LBB53_52:                              ;   in Loop: Header=BB53_55 Depth=1
	s_wait_xcnt 0x0
	s_or_b32 exec_lo, exec_lo, s17
.LBB53_53:                              ;   in Loop: Header=BB53_55 Depth=1
	s_delay_alu instid0(SALU_CYCLE_1)
	s_or_b32 exec_lo, exec_lo, s2
	v_add_nc_u64_e32 v[4:5], v[56:57], v[52:53]
	v_add_nc_u64_e32 v[8:9], v[34:35], v[52:53]
	;; [unrolled: 1-line block ×6, first 2 shown]
	s_wait_loadcnt 0x0
	ds_bpermute_b32 v91, v2, v3
	global_load_b32 v7, v[4:5], off
	s_wait_xcnt 0x0
	v_add_nc_u64_e32 v[4:5], v[36:37], v[52:53]
	global_load_b32 v17, v[8:9], off
	global_load_b32 v16, v[10:11], off
	s_wait_xcnt 0x1
	v_add_nc_u64_e32 v[8:9], v[26:27], v[52:53]
	ds_bpermute_b32 v94, v2, v6 offset:16
	ds_bpermute_b32 v95, v2, v3 offset:8
	;; [unrolled: 1-line block ×3, first 2 shown]
	global_load_b32 v11, v[4:5], off
	global_load_b32 v10, v[12:13], off
	s_wait_xcnt 0x1
	v_add_nc_u64_e32 v[4:5], v[44:45], v[52:53]
	s_wait_xcnt 0x0
	v_add_nc_u64_e32 v[12:13], v[28:29], v[52:53]
	global_load_b32 v19, v[14:15], off
	global_load_b32 v18, v[8:9], off
	s_wait_xcnt 0x0
	v_add_nc_u64_e32 v[8:9], v[46:47], v[52:53]
	v_add_nc_u64_e32 v[14:15], v[30:31], v[52:53]
	global_load_b32 v87, v[4:5], off
	global_load_b32 v86, v[12:13], off
	s_wait_xcnt 0x1
	v_add_nc_u64_e32 v[4:5], v[48:49], v[52:53]
	s_wait_xcnt 0x0
	v_add_nc_u64_e32 v[12:13], v[32:33], v[52:53]
	global_load_b32 v89, v[8:9], off
	global_load_b32 v90, v[14:15], off
	s_wait_xcnt 0x1
	v_add_nc_u64_e32 v[8:9], v[38:39], v[52:53]
	global_load_b32 v15, v[4:5], off
	global_load_b32 v14, v[12:13], off
	s_wait_xcnt 0x0
	v_add_nc_u64_e32 v[12:13], v[50:51], v[52:53]
	ds_bpermute_b32 v97, v2, v3 offset:16
	global_load_b32 v8, v[8:9], off
	global_load_b32 v5, v[12:13], off
	;; [unrolled: 1-line block ×3, first 2 shown]
	s_wait_xcnt 0x2
	ds_bpermute_b32 v9, v2, v6
	s_wait_xcnt 0x1
	ds_bpermute_b32 v12, v2, v6 offset:4
	ds_bpermute_b32 v13, v2, v6 offset:8
	s_wait_xcnt 0x0
	ds_bpermute_b32 v92, v2, v6 offset:12
	ds_bpermute_b32 v93, v2, v3 offset:4
	;; [unrolled: 1-line block ×5, first 2 shown]
	s_wait_loadcnt_dscnt 0xe06
	v_dual_sub_f32 v7, v7, v9 :: v_dual_sub_f32 v12, v17, v12
	ds_bpermute_b32 v9, v2, v3 offset:12
	ds_bpermute_b32 v3, v2, v3 offset:28
	s_wait_loadcnt_dscnt 0xc07
	v_dual_mul_f32 v7, v16, v7 :: v_dual_sub_f32 v11, v11, v13
	s_wait_loadcnt 0xb
	s_delay_alu instid0(VALU_DEP_1) | instskip(SKIP_1) | instid1(VALU_DEP_2)
	v_dual_mul_f32 v12, v10, v12 :: v_dual_mul_f32 v17, v7, v91
	s_wait_loadcnt_dscnt 0x906
	v_dual_sub_f32 v7, v19, v92 :: v_dual_mul_f32 v19, v18, v11
	s_wait_dscnt 0x5
	s_delay_alu instid0(VALU_DEP_2)
	v_mul_f32_e32 v11, v12, v93
	v_pk_add_f32 v[12:13], v[20:21], v[16:17]
	ds_bpermute_b32 v16, v2, v6 offset:28
	s_wait_loadcnt 0x7
	v_dual_sub_f32 v17, v87, v94 :: v_dual_mul_f32 v20, v86, v7
	v_mul_f32_e32 v19, v19, v95
	v_pk_add_f32 v[6:7], v[12:13], v[10:11]
	s_wait_loadcnt 0x5
	s_delay_alu instid0(VALU_DEP_3)
	v_dual_sub_f32 v10, v89, v96 :: v_dual_mul_f32 v11, v90, v17
	s_wait_loadcnt_dscnt 0x402
	v_dual_mul_f32 v87, v20, v9 :: v_dual_sub_f32 v9, v15, v99
	v_pk_add_f32 v[6:7], v[6:7], v[18:19]
	s_wait_loadcnt 0x3
	v_dual_mul_f32 v10, v14, v10 :: v_dual_mul_f32 v91, v11, v97
	s_wait_loadcnt 0x2
	v_mul_f32_e32 v9, v8, v9
	v_pk_add_f32 v[6:7], v[6:7], v[86:87]
	s_delay_alu instid0(VALU_DEP_3) | instskip(NEXT) | instid1(VALU_DEP_2)
	v_mul_f32_e32 v15, v10, v98
	v_pk_add_f32 v[6:7], v[6:7], v[90:91]
	s_wait_loadcnt_dscnt 0x100
	v_sub_f32_e32 v5, v5, v16
	v_mul_f32_e32 v9, v9, v100
	s_delay_alu instid0(VALU_DEP_3) | instskip(SKIP_1) | instid1(VALU_DEP_3)
	v_pk_add_f32 v[6:7], v[6:7], v[14:15]
	s_wait_loadcnt 0x0
	v_mul_f32_e32 v5, v4, v5
	s_delay_alu instid0(VALU_DEP_2) | instskip(NEXT) | instid1(VALU_DEP_2)
	v_pk_add_f32 v[6:7], v[6:7], v[8:9]
	v_mul_f32_e32 v5, v5, v3
.LBB53_54:                              ;   in Loop: Header=BB53_55 Depth=1
	s_add_nc_u64 s[24:25], s[24:25], s[22:23]
	v_add_nc_u64_e32 v[54:55], s[8:9], v[54:55]
	v_cmp_ge_i64_e64 s2, s[24:25], s[4:5]
	v_add_nc_u64_e32 v[56:57], s[8:9], v[56:57]
	v_add_nc_u64_e32 v[22:23], s[22:23], v[22:23]
	;; [unrolled: 1-line block ×30, first 2 shown]
	v_pk_add_f32 v[20:21], v[6:7], v[4:5]
	s_and_b32 vcc_lo, exec_lo, s2
	s_add_nc_u64 s[10:11], s[10:11], s[22:23]
	s_cbranch_vccnz .LBB53_81
.LBB53_55:                              ; =>This Inner Loop Header: Depth=1
	s_add_nc_u64 s[26:27], s[18:19], s[10:11]
	v_add_nc_u64_e32 v[86:87], s[18:19], v[22:23]
	v_cmp_ge_i64_e64 s2, s[26:27], s[4:5]
                                        ; implicit-def: $vgpr6_vgpr7
                                        ; implicit-def: $vgpr4_vgpr5
	s_and_b32 vcc_lo, exec_lo, s2
	s_mov_b32 s2, -1
	s_cbranch_vccz .LBB53_77
; %bb.56:                               ;   in Loop: Header=BB53_55 Depth=1
	s_load_b32 s2, s[20:21], 0xc
	v_dual_mov_b32 v90, 0 :: v_dual_mov_b32 v89, 0
	s_wait_kmcnt 0x0
	s_and_b32 s2, s2, 0xffff
	s_delay_alu instid0(SALU_CYCLE_1) | instskip(SKIP_1) | instid1(VALU_DEP_1)
	v_mad_u32_u24 v3, v1, s2, v88
	s_mov_b32 s2, exec_lo
	v_and_b32_e32 v4, 31, v3
	s_delay_alu instid0(VALU_DEP_1)
	v_cmpx_gt_u32_e32 8, v4
	s_cbranch_execz .LBB53_60
; %bb.57:                               ;   in Loop: Header=BB53_55 Depth=1
	v_dual_mov_b32 v5, v2 :: v_dual_mov_b32 v90, 0
	v_mov_b32_e32 v89, 0
	s_mov_b32 s17, exec_lo
	s_delay_alu instid0(VALU_DEP_2) | instskip(NEXT) | instid1(VALU_DEP_1)
	v_add_nc_u64_e32 v[4:5], v[86:87], v[4:5]
	v_cmpx_gt_i64_e64 s[4:5], v[4:5]
	s_cbranch_execz .LBB53_59
; %bb.58:                               ;   in Loop: Header=BB53_55 Depth=1
	v_lshlrev_b64_e32 v[4:5], 2, v[4:5]
	s_delay_alu instid0(VALU_DEP_1)
	v_add_nc_u64_e32 v[6:7], s[12:13], v[4:5]
	v_add_nc_u64_e32 v[4:5], s[14:15], v[4:5]
	global_load_b32 v90, v[6:7], off
	global_load_b32 v89, v[4:5], off
.LBB53_59:                              ;   in Loop: Header=BB53_55 Depth=1
	s_wait_xcnt 0x0
	s_or_b32 exec_lo, exec_lo, s17
.LBB53_60:                              ;   in Loop: Header=BB53_55 Depth=1
	s_delay_alu instid0(SALU_CYCLE_1) | instskip(SKIP_4) | instid1(VALU_DEP_3)
	s_or_b32 exec_lo, exec_lo, s2
	v_dual_mov_b32 v7, v2 :: v_dual_mov_b32 v8, v2
	v_dual_mov_b32 v9, v2 :: v_dual_mov_b32 v3, v2
	;; [unrolled: 1-line block ×3, first 2 shown]
	v_mov_b32_e32 v6, v2
	v_mov_b64_e32 v[18:19], v[8:9]
	s_delay_alu instid0(VALU_DEP_4)
	v_mov_b64_e32 v[12:13], v[2:3]
	s_mov_b32 s2, exec_lo
	v_mov_b64_e32 v[14:15], v[4:5]
	v_mov_b64_e32 v[16:17], v[6:7]
	;; [unrolled: 1-line block ×6, first 2 shown]
	v_cmpx_gt_i64_e64 s[4:5], v[86:87]
	s_cbranch_execz .LBB53_62
; %bb.61:                               ;   in Loop: Header=BB53_55 Depth=1
	v_add_nc_u64_e32 v[6:7], v[54:55], v[52:53]
	v_add_nc_u64_e32 v[8:9], v[56:57], v[52:53]
	v_dual_mov_b32 v5, v2 :: v_dual_mov_b32 v11, v2
	v_dual_mov_b32 v13, v2 :: v_dual_mov_b32 v14, v2
	v_mov_b32_e32 v15, v2
	global_load_b32 v4, v[6:7], off
	global_load_b32 v12, v[8:9], off
	s_wait_xcnt 0x1
	v_dual_mov_b32 v6, v2 :: v_dual_mov_b32 v7, v2
	s_wait_xcnt 0x0
	v_dual_mov_b32 v8, v2 :: v_dual_mov_b32 v9, v2
	v_dual_mov_b32 v10, v2 :: v_dual_mov_b32 v16, v2
	;; [unrolled: 1-line block ×3, first 2 shown]
	v_mov_b32_e32 v19, v2
.LBB53_62:                              ;   in Loop: Header=BB53_55 Depth=1
	s_or_b32 exec_lo, exec_lo, s2
	v_add_nc_u64_e32 v[92:93], 1, v[86:87]
	s_mov_b32 s2, exec_lo
	s_delay_alu instid0(VALU_DEP_1)
	v_cmpx_gt_i64_e64 s[4:5], v[92:93]
	s_cbranch_execz .LBB53_64
; %bb.63:                               ;   in Loop: Header=BB53_55 Depth=1
	v_add_nc_u64_e32 v[92:93], v[82:83], v[52:53]
	v_add_nc_u64_e32 v[94:95], v[84:85], v[52:53]
	global_load_b32 v5, v[92:93], off
	global_load_b32 v13, v[94:95], off
.LBB53_64:                              ;   in Loop: Header=BB53_55 Depth=1
	s_wait_xcnt 0x0
	s_or_b32 exec_lo, exec_lo, s2
	v_add_nc_u64_e32 v[92:93], 2, v[86:87]
	s_mov_b32 s2, exec_lo
	s_delay_alu instid0(VALU_DEP_1)
	v_cmpx_gt_i64_e64 s[4:5], v[92:93]
	s_cbranch_execz .LBB53_66
; %bb.65:                               ;   in Loop: Header=BB53_55 Depth=1
	v_add_nc_u64_e32 v[92:93], v[78:79], v[52:53]
	v_add_nc_u64_e32 v[94:95], v[80:81], v[52:53]
	global_load_b32 v6, v[92:93], off
	global_load_b32 v14, v[94:95], off
.LBB53_66:                              ;   in Loop: Header=BB53_55 Depth=1
	s_wait_xcnt 0x0
	s_or_b32 exec_lo, exec_lo, s2
	v_add_nc_u64_e32 v[92:93], 3, v[86:87]
	s_mov_b32 s2, exec_lo
	s_delay_alu instid0(VALU_DEP_1)
	v_cmpx_gt_i64_e64 s[4:5], v[92:93]
	s_cbranch_execz .LBB53_68
; %bb.67:                               ;   in Loop: Header=BB53_55 Depth=1
	v_add_nc_u64_e32 v[92:93], v[74:75], v[52:53]
	v_add_nc_u64_e32 v[94:95], v[76:77], v[52:53]
	global_load_b32 v7, v[92:93], off
	global_load_b32 v15, v[94:95], off
.LBB53_68:                              ;   in Loop: Header=BB53_55 Depth=1
	s_wait_xcnt 0x0
	s_or_b32 exec_lo, exec_lo, s2
	v_add_nc_u64_e32 v[92:93], 4, v[86:87]
	s_mov_b32 s2, exec_lo
	s_delay_alu instid0(VALU_DEP_1)
	v_cmpx_gt_i64_e64 s[4:5], v[92:93]
	s_cbranch_execz .LBB53_70
; %bb.69:                               ;   in Loop: Header=BB53_55 Depth=1
	v_add_nc_u64_e32 v[92:93], v[70:71], v[52:53]
	v_add_nc_u64_e32 v[94:95], v[72:73], v[52:53]
	global_load_b32 v8, v[92:93], off
	global_load_b32 v16, v[94:95], off
.LBB53_70:                              ;   in Loop: Header=BB53_55 Depth=1
	s_wait_xcnt 0x0
	s_or_b32 exec_lo, exec_lo, s2
	v_add_nc_u64_e32 v[92:93], 5, v[86:87]
	s_mov_b32 s2, exec_lo
	s_delay_alu instid0(VALU_DEP_1)
	v_cmpx_gt_i64_e64 s[4:5], v[92:93]
	s_cbranch_execz .LBB53_72
; %bb.71:                               ;   in Loop: Header=BB53_55 Depth=1
	v_add_nc_u64_e32 v[92:93], v[66:67], v[52:53]
	v_add_nc_u64_e32 v[94:95], v[68:69], v[52:53]
	global_load_b32 v9, v[92:93], off
	global_load_b32 v17, v[94:95], off
.LBB53_72:                              ;   in Loop: Header=BB53_55 Depth=1
	s_wait_xcnt 0x0
	s_or_b32 exec_lo, exec_lo, s2
	v_add_nc_u64_e32 v[92:93], 6, v[86:87]
	s_mov_b32 s2, exec_lo
	s_delay_alu instid0(VALU_DEP_1)
	v_cmpx_gt_i64_e64 s[4:5], v[92:93]
	s_cbranch_execz .LBB53_74
; %bb.73:                               ;   in Loop: Header=BB53_55 Depth=1
	v_add_nc_u64_e32 v[92:93], v[62:63], v[52:53]
	v_add_nc_u64_e32 v[94:95], v[64:65], v[52:53]
	global_load_b32 v10, v[92:93], off
	global_load_b32 v18, v[94:95], off
.LBB53_74:                              ;   in Loop: Header=BB53_55 Depth=1
	s_wait_xcnt 0x0
	s_or_b32 exec_lo, exec_lo, s2
	v_add_nc_u64_e32 v[92:93], 7, v[86:87]
	s_mov_b32 s2, exec_lo
	s_delay_alu instid0(VALU_DEP_1)
	v_cmpx_gt_i64_e64 s[4:5], v[92:93]
	s_cbranch_execz .LBB53_76
; %bb.75:                               ;   in Loop: Header=BB53_55 Depth=1
	v_add_nc_u64_e32 v[92:93], v[58:59], v[52:53]
	v_add_nc_u64_e32 v[94:95], v[60:61], v[52:53]
	global_load_b32 v11, v[92:93], off
	global_load_b32 v19, v[94:95], off
.LBB53_76:                              ;   in Loop: Header=BB53_55 Depth=1
	s_wait_xcnt 0x0
	s_or_b32 exec_lo, exec_lo, s2
	s_wait_loadcnt 0x1
	ds_bpermute_b32 v3, v2, v90
	ds_bpermute_b32 v91, v2, v90 offset:4
	ds_bpermute_b32 v93, v2, v90 offset:8
	s_wait_loadcnt 0x0
	ds_bpermute_b32 v95, v2, v89
	ds_bpermute_b32 v96, v2, v90 offset:12
	ds_bpermute_b32 v97, v2, v89 offset:4
	;; [unrolled: 1-line block ×8, first 2 shown]
	s_mov_b32 s2, 0
	v_dual_mov_b32 v92, v5 :: v_dual_mov_b32 v94, v6
	s_wait_dscnt 0xb
	v_sub_f32_e32 v3, v12, v3
	s_wait_dscnt 0xa
	v_dual_sub_f32 v13, v13, v91 :: v_dual_mov_b32 v12, v4
	ds_bpermute_b32 v91, v2, v90 offset:24
	s_wait_dscnt 0xa
	v_dual_sub_f32 v14, v14, v93 :: v_dual_mul_f32 v3, v4, v3
	v_dual_mov_b32 v4, v7 :: v_dual_mul_f32 v5, v5, v13
	s_wait_dscnt 0x8
	s_delay_alu instid0(VALU_DEP_2) | instskip(NEXT) | instid1(VALU_DEP_3)
	v_dual_sub_f32 v15, v15, v96 :: v_dual_mul_f32 v6, v6, v14
	v_mul_f32_e32 v13, v3, v95
	ds_bpermute_b32 v3, v2, v90 offset:28
	s_wait_dscnt 0x8
	v_dual_mul_f32 v93, v5, v97 :: v_dual_mul_f32 v15, v7, v15
	ds_bpermute_b32 v14, v2, v89 offset:24
	v_pk_add_f32 v[12:13], v[20:21], v[12:13]
	s_wait_dscnt 0x7
	v_dual_sub_f32 v5, v16, v101 :: v_dual_mul_f32 v95, v6, v98
	ds_bpermute_b32 v16, v2, v89 offset:28
	v_pk_add_f32 v[6:7], v[92:93], v[12:13]
	s_wait_dscnt 0x6
	v_dual_sub_f32 v13, v17, v103 :: v_dual_mul_f32 v17, v8, v5
	v_dual_mul_f32 v5, v15, v99 :: v_dual_mov_b32 v12, v8
	s_delay_alu instid0(VALU_DEP_3) | instskip(SKIP_1) | instid1(VALU_DEP_3)
	v_pk_add_f32 v[6:7], v[94:95], v[6:7]
	s_wait_dscnt 0x3
	v_dual_sub_f32 v8, v18, v91 :: v_dual_mul_f32 v15, v9, v13
	v_mul_f32_e32 v13, v17, v100
	s_delay_alu instid0(VALU_DEP_3) | instskip(NEXT) | instid1(VALU_DEP_3)
	v_pk_add_f32 v[4:5], v[4:5], v[6:7]
	v_dual_mov_b32 v6, v9 :: v_dual_mul_f32 v9, v10, v8
	s_wait_dscnt 0x2
	v_sub_f32_e32 v3, v19, v3
	v_dual_mul_f32 v7, v15, v102 :: v_dual_mov_b32 v8, v10
	v_pk_add_f32 v[4:5], v[12:13], v[4:5]
	s_wait_dscnt 0x1
	s_delay_alu instid0(VALU_DEP_3) | instskip(NEXT) | instid1(VALU_DEP_2)
	v_dual_mul_f32 v9, v9, v14 :: v_dual_mul_f32 v3, v11, v3
	v_pk_add_f32 v[6:7], v[6:7], v[4:5]
	v_mov_b32_e32 v4, v11
	s_wait_dscnt 0x0
	s_delay_alu instid0(VALU_DEP_3) | instskip(NEXT) | instid1(VALU_DEP_3)
	v_mul_f32_e32 v5, v3, v16
	v_pk_add_f32 v[6:7], v[8:9], v[6:7]
.LBB53_77:                              ;   in Loop: Header=BB53_55 Depth=1
	s_and_b32 vcc_lo, exec_lo, s2
	s_cbranch_vccz .LBB53_54
; %bb.78:                               ;   in Loop: Header=BB53_55 Depth=1
	s_load_b32 s2, s[20:21], 0x0
	v_mov_b32_e32 v6, 0
	s_wait_kmcnt 0x0
	s_cmp_lt_u32 s16, s2
	s_cselect_b32 s2, 12, 18
	s_delay_alu instid0(SALU_CYCLE_1) | instskip(SKIP_4) | instid1(VALU_DEP_1)
	s_add_nc_u64 s[26:27], s[20:21], s[2:3]
	s_load_u16 s2, s[26:27], 0x0
	s_wait_kmcnt 0x0
	v_mad_u32_u24 v3, v1, s2, v88
	s_mov_b32 s2, exec_lo
	v_dual_mov_b32 v3, 0 :: v_dual_bitop2_b32 v4, 31, v3 bitop3:0x40
	s_delay_alu instid0(VALU_DEP_1)
	v_cmpx_gt_u32_e32 8, v4
	s_cbranch_execz .LBB53_53
; %bb.79:                               ;   in Loop: Header=BB53_55 Depth=1
	v_dual_mov_b32 v5, v2 :: v_dual_mov_b32 v6, 0
	v_mov_b32_e32 v3, 0
	s_mov_b32 s17, exec_lo
	s_delay_alu instid0(VALU_DEP_2) | instskip(NEXT) | instid1(VALU_DEP_1)
	v_add_nc_u64_e32 v[4:5], v[86:87], v[4:5]
	v_cmpx_gt_i64_e64 s[4:5], v[4:5]
	s_cbranch_execz .LBB53_52
; %bb.80:                               ;   in Loop: Header=BB53_55 Depth=1
	v_lshlrev_b64_e32 v[4:5], 2, v[4:5]
	s_delay_alu instid0(VALU_DEP_1)
	v_add_nc_u64_e32 v[8:9], s[12:13], v[4:5]
	v_add_nc_u64_e32 v[4:5], s[14:15], v[4:5]
	global_load_b32 v6, v[8:9], off
	global_load_b32 v3, v[4:5], off
	s_branch .LBB53_52
.LBB53_81:
	s_mov_b32 s17, 0
	s_delay_alu instid0(SALU_CYCLE_1) | instskip(NEXT) | instid1(SALU_CYCLE_1)
	s_lshl_b64 s[2:3], s[16:17], 6
	v_and_or_b32 v2, 0x3ff, v0, s2
	v_mov_b32_e32 v3, s3
	s_mov_b32 s2, exec_lo
	s_delay_alu instid0(VALU_DEP_1)
	v_cmpx_gt_i64_e64 s[6:7], v[2:3]
	s_cbranch_execz .LBB53_86
; %bb.82:
	s_load_u16 s2, s[0:1], 0x4e
	v_bfe_u32 v0, v0, 10, 10
	v_mov_b32_e32 v1, 0
	s_wait_kmcnt 0x0
	s_delay_alu instid0(VALU_DEP_1) | instskip(SKIP_1) | instid1(VALU_DEP_1)
	v_mad_nc_u64_u32 v[0:1], s2, s33, v[0:1]
	s_load_b128 s[0:3], s[0:1], 0x30
	v_mul_u64_e32 v[0:1], s[6:7], v[0:1]
	s_wait_kmcnt 0x0
	s_cmp_eq_u64 s[0:1], 0
	s_cbranch_scc1 .LBB53_84
; %bb.83:
	s_delay_alu instid0(VALU_DEP_1) | instskip(NEXT) | instid1(VALU_DEP_1)
	v_lshl_add_u64 v[4:5], v[0:1], 2, s[0:1]
	v_lshl_add_u64 v[4:5], v[2:3], 2, v[4:5]
	global_store_b32 v[4:5], v21, off
.LBB53_84:
	s_cmp_eq_u64 s[2:3], 0
	s_cbranch_scc1 .LBB53_86
; %bb.85:
	s_delay_alu instid0(VALU_DEP_1) | instskip(NEXT) | instid1(VALU_DEP_1)
	v_lshl_add_u64 v[0:1], v[0:1], 2, s[2:3]
	v_lshl_add_u64 v[0:1], v[2:3], 2, v[0:1]
	global_store_b32 v[0:1], v20, off
.LBB53_86:
	s_sendmsg sendmsg(MSG_DEALLOC_VGPRS)
	s_endpgm
	.section	.rodata,"a",@progbits
	.p2align	6, 0x0
	.amdhsa_kernel _ZN2at6native12_GLOBAL__N_135GammaBetaBackwardCUDAKernelTemplateIffLj64ELj1ELj8ELb1ELb0ELb0EEEvllPKT_S5_PKT0_S8_PS3_S9_
		.amdhsa_group_segment_fixed_size 0
		.amdhsa_private_segment_fixed_size 0
		.amdhsa_kernarg_size 320
		.amdhsa_user_sgpr_count 2
		.amdhsa_user_sgpr_dispatch_ptr 0
		.amdhsa_user_sgpr_queue_ptr 0
		.amdhsa_user_sgpr_kernarg_segment_ptr 1
		.amdhsa_user_sgpr_dispatch_id 0
		.amdhsa_user_sgpr_kernarg_preload_length 0
		.amdhsa_user_sgpr_kernarg_preload_offset 0
		.amdhsa_user_sgpr_private_segment_size 0
		.amdhsa_wavefront_size32 1
		.amdhsa_uses_dynamic_stack 0
		.amdhsa_enable_private_segment 0
		.amdhsa_system_sgpr_workgroup_id_x 1
		.amdhsa_system_sgpr_workgroup_id_y 1
		.amdhsa_system_sgpr_workgroup_id_z 0
		.amdhsa_system_sgpr_workgroup_info 0
		.amdhsa_system_vgpr_workitem_id 1
		.amdhsa_next_free_vgpr 104
		.amdhsa_next_free_sgpr 36
		.amdhsa_named_barrier_count 0
		.amdhsa_reserve_vcc 1
		.amdhsa_float_round_mode_32 0
		.amdhsa_float_round_mode_16_64 0
		.amdhsa_float_denorm_mode_32 3
		.amdhsa_float_denorm_mode_16_64 3
		.amdhsa_fp16_overflow 0
		.amdhsa_memory_ordered 1
		.amdhsa_forward_progress 1
		.amdhsa_inst_pref_size 48
		.amdhsa_round_robin_scheduling 0
		.amdhsa_exception_fp_ieee_invalid_op 0
		.amdhsa_exception_fp_denorm_src 0
		.amdhsa_exception_fp_ieee_div_zero 0
		.amdhsa_exception_fp_ieee_overflow 0
		.amdhsa_exception_fp_ieee_underflow 0
		.amdhsa_exception_fp_ieee_inexact 0
		.amdhsa_exception_int_div_zero 0
	.end_amdhsa_kernel
	.section	.text._ZN2at6native12_GLOBAL__N_135GammaBetaBackwardCUDAKernelTemplateIffLj64ELj1ELj8ELb1ELb0ELb0EEEvllPKT_S5_PKT0_S8_PS3_S9_,"axG",@progbits,_ZN2at6native12_GLOBAL__N_135GammaBetaBackwardCUDAKernelTemplateIffLj64ELj1ELj8ELb1ELb0ELb0EEEvllPKT_S5_PKT0_S8_PS3_S9_,comdat
.Lfunc_end53:
	.size	_ZN2at6native12_GLOBAL__N_135GammaBetaBackwardCUDAKernelTemplateIffLj64ELj1ELj8ELb1ELb0ELb0EEEvllPKT_S5_PKT0_S8_PS3_S9_, .Lfunc_end53-_ZN2at6native12_GLOBAL__N_135GammaBetaBackwardCUDAKernelTemplateIffLj64ELj1ELj8ELb1ELb0ELb0EEEvllPKT_S5_PKT0_S8_PS3_S9_
                                        ; -- End function
	.set _ZN2at6native12_GLOBAL__N_135GammaBetaBackwardCUDAKernelTemplateIffLj64ELj1ELj8ELb1ELb0ELb0EEEvllPKT_S5_PKT0_S8_PS3_S9_.num_vgpr, 104
	.set _ZN2at6native12_GLOBAL__N_135GammaBetaBackwardCUDAKernelTemplateIffLj64ELj1ELj8ELb1ELb0ELb0EEEvllPKT_S5_PKT0_S8_PS3_S9_.num_agpr, 0
	.set _ZN2at6native12_GLOBAL__N_135GammaBetaBackwardCUDAKernelTemplateIffLj64ELj1ELj8ELb1ELb0ELb0EEEvllPKT_S5_PKT0_S8_PS3_S9_.numbered_sgpr, 36
	.set _ZN2at6native12_GLOBAL__N_135GammaBetaBackwardCUDAKernelTemplateIffLj64ELj1ELj8ELb1ELb0ELb0EEEvllPKT_S5_PKT0_S8_PS3_S9_.num_named_barrier, 0
	.set _ZN2at6native12_GLOBAL__N_135GammaBetaBackwardCUDAKernelTemplateIffLj64ELj1ELj8ELb1ELb0ELb0EEEvllPKT_S5_PKT0_S8_PS3_S9_.private_seg_size, 0
	.set _ZN2at6native12_GLOBAL__N_135GammaBetaBackwardCUDAKernelTemplateIffLj64ELj1ELj8ELb1ELb0ELb0EEEvllPKT_S5_PKT0_S8_PS3_S9_.uses_vcc, 1
	.set _ZN2at6native12_GLOBAL__N_135GammaBetaBackwardCUDAKernelTemplateIffLj64ELj1ELj8ELb1ELb0ELb0EEEvllPKT_S5_PKT0_S8_PS3_S9_.uses_flat_scratch, 0
	.set _ZN2at6native12_GLOBAL__N_135GammaBetaBackwardCUDAKernelTemplateIffLj64ELj1ELj8ELb1ELb0ELb0EEEvllPKT_S5_PKT0_S8_PS3_S9_.has_dyn_sized_stack, 0
	.set _ZN2at6native12_GLOBAL__N_135GammaBetaBackwardCUDAKernelTemplateIffLj64ELj1ELj8ELb1ELb0ELb0EEEvllPKT_S5_PKT0_S8_PS3_S9_.has_recursion, 0
	.set _ZN2at6native12_GLOBAL__N_135GammaBetaBackwardCUDAKernelTemplateIffLj64ELj1ELj8ELb1ELb0ELb0EEEvllPKT_S5_PKT0_S8_PS3_S9_.has_indirect_call, 0
	.section	.AMDGPU.csdata,"",@progbits
; Kernel info:
; codeLenInByte = 6028
; TotalNumSgprs: 38
; NumVgprs: 104
; ScratchSize: 0
; MemoryBound: 0
; FloatMode: 240
; IeeeMode: 1
; LDSByteSize: 0 bytes/workgroup (compile time only)
; SGPRBlocks: 0
; VGPRBlocks: 6
; NumSGPRsForWavesPerEU: 38
; NumVGPRsForWavesPerEU: 104
; NamedBarCnt: 0
; Occupancy: 9
; WaveLimiterHint : 0
; COMPUTE_PGM_RSRC2:SCRATCH_EN: 0
; COMPUTE_PGM_RSRC2:USER_SGPR: 2
; COMPUTE_PGM_RSRC2:TRAP_HANDLER: 0
; COMPUTE_PGM_RSRC2:TGID_X_EN: 1
; COMPUTE_PGM_RSRC2:TGID_Y_EN: 1
; COMPUTE_PGM_RSRC2:TGID_Z_EN: 0
; COMPUTE_PGM_RSRC2:TIDIG_COMP_CNT: 1
	.section	.text._ZN2at6native12_GLOBAL__N_135GammaBetaBackwardCUDAKernelTemplateIffLj64ELj8ELj64ELb0ELb1ELb0EEEvllPKT_S5_PKT0_S8_PS3_S9_,"axG",@progbits,_ZN2at6native12_GLOBAL__N_135GammaBetaBackwardCUDAKernelTemplateIffLj64ELj8ELj64ELb0ELb1ELb0EEEvllPKT_S5_PKT0_S8_PS3_S9_,comdat
	.globl	_ZN2at6native12_GLOBAL__N_135GammaBetaBackwardCUDAKernelTemplateIffLj64ELj8ELj64ELb0ELb1ELb0EEEvllPKT_S5_PKT0_S8_PS3_S9_ ; -- Begin function _ZN2at6native12_GLOBAL__N_135GammaBetaBackwardCUDAKernelTemplateIffLj64ELj8ELj64ELb0ELb1ELb0EEEvllPKT_S5_PKT0_S8_PS3_S9_
	.p2align	8
	.type	_ZN2at6native12_GLOBAL__N_135GammaBetaBackwardCUDAKernelTemplateIffLj64ELj8ELj64ELb0ELb1ELb0EEEvllPKT_S5_PKT0_S8_PS3_S9_,@function
_ZN2at6native12_GLOBAL__N_135GammaBetaBackwardCUDAKernelTemplateIffLj64ELj8ELj64ELb0ELb1ELb0EEEvllPKT_S5_PKT0_S8_PS3_S9_: ; @_ZN2at6native12_GLOBAL__N_135GammaBetaBackwardCUDAKernelTemplateIffLj64ELj8ELj64ELb0ELb1ELb0EEEvllPKT_S5_PKT0_S8_PS3_S9_
; %bb.0:
	s_load_b128 s[12:15], s[0:1], 0x0
	s_bfe_u32 s2, ttmp6, 0x40010
	s_bfe_u32 s4, ttmp6, 0x40004
	s_add_co_i32 s2, s2, 1
	s_getreg_b32 s3, hwreg(HW_REG_IB_STS2, 6, 4)
	s_mul_i32 s2, ttmp7, s2
	s_mov_b32 s17, 0
	s_add_co_i32 s4, s4, s2
	s_cmp_eq_u32 s3, 0
	v_bfe_u32 v11, v0, 10, 10
	s_cselect_b32 s2, ttmp7, s4
	s_delay_alu instid0(SALU_CYCLE_1)
	s_lshl_b32 s16, s2, 6
	s_wait_kmcnt 0x0
	v_cmp_gt_i64_e64 s2, s[12:13], s[16:17]
	s_and_b32 vcc_lo, exec_lo, s2
	s_cbranch_vccnz .LBB54_2
; %bb.1:
	v_bfe_u32 v1, v0, 10, 10
	s_mov_b32 s2, s17
	s_branch .LBB54_3
.LBB54_2:
	s_mov_b32 s2, -1
                                        ; implicit-def: $vgpr1
.LBB54_3:
	v_mov_b32_e32 v9, 0
	v_and_b32_e32 v10, 0x3ff, v0
	s_and_not1_b32 vcc_lo, exec_lo, s2
	s_delay_alu instid0(VALU_DEP_2)
	v_mov_b32_e32 v8, v9
	s_cbranch_vccnz .LBB54_11
; %bb.4:
	v_dual_mov_b32 v1, 0 :: v_dual_lshlrev_b32 v0, 3, v11
	s_load_b32 s2, s[0:1], 0x4c
	s_bfe_u32 s21, ttmp6, 0x4000c
	s_clause 0x1
	s_load_b32 s18, s[0:1], 0x44
	s_load_b256 s[4:11], s[0:1], 0x10
	s_add_co_i32 s21, s21, 1
	v_add_nc_u64_e32 v[2:3], s[16:17], v[0:1]
	s_and_b32 s20, ttmp6, 15
	s_mul_i32 s21, ttmp9, s21
	v_dual_mov_b32 v13, 12 :: v_dual_mov_b32 v5, v1
	s_add_co_i32 s20, s20, s21
	s_mov_b32 s19, 0
	s_delay_alu instid0(VALU_DEP_2)
	v_mul_u64_e32 v[6:7], s[14:15], v[2:3]
	v_dual_mov_b32 v0, 8 :: v_dual_mov_b32 v12, 4
	v_dual_mov_b32 v14, 16 :: v_dual_mov_b32 v15, 20
	v_dual_mov_b32 v16, 24 :: v_dual_mov_b32 v17, 28
	s_wait_kmcnt 0x0
	s_and_b32 s2, s2, 0xffff
	s_cmp_eq_u32 s3, 0
	v_mad_u32_u24 v4, v11, s2, v10
	v_mov_b32_e32 v9, v1
	s_cselect_b32 s2, ttmp9, s20
	s_lshl_b32 s18, s18, 6
	v_lshl_add_u32 v8, s2, 6, v10
	v_and_b32_e32 v4, 31, v4
	s_mul_u64 s[22:23], s[14:15], s[18:19]
	s_lshl_b64 s[20:21], s[18:19], 2
	s_lshl_b64 s[22:23], s[22:23], 2
	v_lshlrev_b64_e32 v[18:19], 2, v[8:9]
	v_add_nc_u64_e32 v[2:3], v[2:3], v[4:5]
	v_cmp_gt_u32_e64 s2, 8, v4
	v_mov_b32_e32 v8, 0
	s_lshl_b64 s[14:15], s[14:15], 2
	v_lshlrev_b64_e32 v[4:5], 2, v[2:3]
	v_lshl_add_u64 v[6:7], v[6:7], 2, v[18:19]
	s_branch .LBB54_7
.LBB54_5:                               ;   in Loop: Header=BB54_7 Depth=1
	s_wait_xcnt 0x0
	s_or_b32 exec_lo, exec_lo, s25
.LBB54_6:                               ;   in Loop: Header=BB54_7 Depth=1
	s_delay_alu instid0(SALU_CYCLE_1)
	s_or_b32 exec_lo, exec_lo, s24
	v_add_nc_u64_e32 v[20:21], s[6:7], v[6:7]
	v_add_nc_u64_e32 v[22:23], s[4:5], v[6:7]
	s_wait_loadcnt 0x0
	ds_bpermute_b32 v42, v0, v18
	ds_bpermute_b32 v43, v14, v19
	;; [unrolled: 1-line block ×4, first 2 shown]
	s_add_nc_u64 s[16:17], s[16:17], s[18:19]
	v_add_nc_u64_e32 v[24:25], s[14:15], v[20:21]
	v_add_nc_u64_e32 v[26:27], s[14:15], v[22:23]
	global_load_b32 v30, v[20:21], off
	global_load_b32 v31, v[22:23], off
	v_cmp_lt_i64_e64 s24, s[16:17], s[12:13]
	v_add_nc_u64_e32 v[4:5], s[20:21], v[4:5]
	v_add_nc_u64_e32 v[2:3], s[18:19], v[2:3]
	;; [unrolled: 1-line block ×4, first 2 shown]
	s_wait_xcnt 0x1
	v_add_nc_u64_e32 v[20:21], s[14:15], v[26:27]
	global_load_b32 v24, v[24:25], off
	s_and_b32 vcc_lo, exec_lo, s24
	global_load_b32 v25, v[26:27], off
	global_load_b32 v32, v[28:29], off
	v_add_nc_u64_e32 v[22:23], s[14:15], v[28:29]
	s_wait_xcnt 0x1
	v_add_nc_u64_e32 v[26:27], s[14:15], v[20:21]
	global_load_b32 v33, v[20:21], off
	global_load_b32 v34, v[22:23], off
	s_wait_xcnt 0x2
	v_add_nc_u64_e32 v[28:29], s[14:15], v[22:23]
	s_wait_xcnt 0x1
	v_add_nc_u64_e32 v[20:21], s[14:15], v[26:27]
	global_load_b32 v35, v[26:27], off
	global_load_b32 v36, v[28:29], off
	s_wait_xcnt 0x2
	;; [unrolled: 6-line block ×3, first 2 shown]
	v_add_nc_u64_e32 v[28:29], s[14:15], v[22:23]
	s_wait_xcnt 0x1
	v_add_nc_u64_e32 v[20:21], s[14:15], v[26:27]
	global_load_b32 v23, v[26:27], off
	s_wait_xcnt 0x0
	v_add_nc_u64_e32 v[26:27], s[14:15], v[28:29]
	global_load_b32 v22, v[28:29], off
	;; [unrolled: 3-line block ×3, first 2 shown]
	global_load_b32 v40, v[26:27], off
	global_load_b32 v41, v[28:29], off
	s_wait_xcnt 0x2
	ds_bpermute_b32 v20, v1, v19
	ds_bpermute_b32 v21, v12, v19
	s_wait_xcnt 0x1
	ds_bpermute_b32 v26, v1, v18
	ds_bpermute_b32 v27, v0, v19
	;; [unrolled: 3-line block ×3, first 2 shown]
	s_wait_loadcnt_dscnt 0xd04
	v_dual_sub_f32 v20, v30, v20 :: v_dual_sub_f32 v21, v24, v21
	s_delay_alu instid0(VALU_DEP_1) | instskip(SKIP_1) | instid1(VALU_DEP_1)
	v_mul_f32_e32 v20, v31, v20
	s_wait_loadcnt_dscnt 0xc03
	v_dual_mul_f32 v30, v20, v26 :: v_dual_mul_f32 v20, v25, v21
	s_wait_loadcnt_dscnt 0xb02
	v_sub_f32_e32 v21, v32, v27
	ds_bpermute_b32 v26, v14, v18
	ds_bpermute_b32 v27, v16, v19
	v_pk_add_f32 v[8:9], v[8:9], v[30:31]
	s_wait_loadcnt_dscnt 0xa03
	v_dual_mul_f32 v24, v20, v28 :: v_dual_mul_f32 v20, v33, v21
	s_wait_loadcnt_dscnt 0x902
	v_sub_f32_e32 v21, v34, v29
	ds_bpermute_b32 v28, v15, v18
	ds_bpermute_b32 v19, v17, v19
	v_pk_add_f32 v[8:9], v[8:9], v[24:25]
	s_wait_loadcnt 0x8
	v_dual_mul_f32 v32, v20, v42 :: v_dual_mul_f32 v20, v35, v21
	s_wait_loadcnt 0x7
	v_sub_f32_e32 v21, v36, v43
	ds_bpermute_b32 v24, v16, v18
	ds_bpermute_b32 v18, v17, v18
	v_pk_add_f32 v[8:9], v[8:9], v[32:33]
	s_wait_loadcnt 0x6
	v_dual_mul_f32 v34, v20, v44 :: v_dual_mul_f32 v20, v37, v21
	s_wait_loadcnt 0x5
	v_sub_f32_e32 v21, v38, v45
	s_delay_alu instid0(VALU_DEP_2) | instskip(SKIP_1) | instid1(VALU_DEP_2)
	v_pk_add_f32 v[8:9], v[8:9], v[34:35]
	s_wait_loadcnt_dscnt 0x405
	v_dual_mul_f32 v36, v20, v26 :: v_dual_mul_f32 v20, v23, v21
	s_wait_loadcnt_dscnt 0x304
	v_sub_f32_e32 v21, v22, v27
	s_delay_alu instid0(VALU_DEP_2) | instskip(SKIP_1) | instid1(VALU_DEP_2)
	v_pk_add_f32 v[8:9], v[8:9], v[36:37]
	s_wait_loadcnt_dscnt 0x203
	v_dual_mul_f32 v22, v20, v28 :: v_dual_mul_f32 v20, v39, v21
	s_wait_loadcnt_dscnt 0x102
	v_sub_f32_e32 v19, v40, v19
	s_delay_alu instid0(VALU_DEP_2) | instskip(SKIP_1) | instid1(VALU_DEP_2)
	v_pk_add_f32 v[8:9], v[8:9], v[22:23]
	s_wait_loadcnt_dscnt 0x1
	v_dual_mul_f32 v38, v20, v24 :: v_dual_mul_f32 v19, v41, v19
	s_delay_alu instid0(VALU_DEP_1) | instskip(SKIP_1) | instid1(VALU_DEP_2)
	v_pk_add_f32 v[8:9], v[8:9], v[38:39]
	s_wait_dscnt 0x0
	v_mul_f32_e32 v40, v19, v18
	s_delay_alu instid0(VALU_DEP_1)
	v_pk_add_f32 v[8:9], v[8:9], v[40:41]
	s_cbranch_vccz .LBB54_10
.LBB54_7:                               ; =>This Inner Loop Header: Depth=1
	v_dual_mov_b32 v18, 0 :: v_dual_mov_b32 v19, 0
	s_and_saveexec_b32 s24, s2
	s_cbranch_execz .LBB54_6
; %bb.8:                                ;   in Loop: Header=BB54_7 Depth=1
	v_dual_mov_b32 v19, 0 :: v_dual_mov_b32 v18, 0
	s_mov_b32 s25, exec_lo
	v_cmpx_gt_i64_e64 s[12:13], v[2:3]
	s_cbranch_execz .LBB54_5
; %bb.9:                                ;   in Loop: Header=BB54_7 Depth=1
	v_add_nc_u64_e32 v[20:21], s[8:9], v[4:5]
	v_add_nc_u64_e32 v[22:23], s[10:11], v[4:5]
	global_load_b32 v19, v[20:21], off
	global_load_b32 v18, v[22:23], off
	s_branch .LBB54_5
.LBB54_10:
	v_mov_b32_e32 v1, v11
.LBB54_11:
	s_load_b128 s[4:7], s[0:1], 0x30
	s_delay_alu instid0(VALU_DEP_1) | instskip(SKIP_2) | instid1(VALU_DEP_1)
	v_mad_u32_u24 v0, 0x41, v1, v10
	s_wait_xcnt 0x0
	s_mov_b32 s0, exec_lo
	v_lshl_add_u32 v2, v0, 2, 0
	v_sub_nc_u32_e32 v6, v0, v1
	ds_store_b32 v2, v8
	ds_store_b32 v2, v9 offset:2080
	s_wait_dscnt 0x0
	s_barrier_signal -1
	s_barrier_wait -1
	v_cmpx_gt_u32_e32 0x800, v6
	s_cbranch_execz .LBB54_43
; %bb.12:
	v_and_b32_e32 v1, 31, v10
	v_lshrrev_b32_e32 v0, 5, v6
                                        ; implicit-def: $vgpr2
	s_delay_alu instid0(VALU_DEP_2)
	v_cmp_lt_u32_e64 s2, 7, v1
	v_cmp_gt_u32_e64 s0, 8, v1
	v_mul_u32_u24_e32 v7, 0x41, v1
	s_and_saveexec_b32 s1, s0
	s_cbranch_execz .LBB54_14
; %bb.13:
	s_delay_alu instid0(VALU_DEP_1) | instskip(NEXT) | instid1(VALU_DEP_1)
	v_add_nc_u32_e32 v1, v0, v7
	v_lshl_add_u32 v1, v1, 2, 0
	ds_load_b32 v3, v1
	ds_load_b32 v2, v1 offset:2080
.LBB54_14:
	s_or_b32 exec_lo, exec_lo, s1
	v_mbcnt_lo_u32_b32 v1, -1, 0
	s_bfe_u32 s1, ttmp6, 0x4000c
	s_and_b32 s8, ttmp6, 15
	s_add_co_i32 s1, s1, 1
	s_mov_b32 s9, 0
	v_xor_b32_e32 v11, 1, v1
	v_xor_b32_e32 v4, 4, v1
	s_mul_i32 s1, ttmp9, s1
	v_xor_b32_e32 v9, 2, v1
	s_add_co_i32 s8, s8, s1
	s_cmp_eq_u32 s3, 0
	v_cmp_gt_i32_e32 vcc_lo, 32, v4
	s_cselect_b32 s8, ttmp9, s8
	v_cmp_eq_u32_e64 s1, 0, v10
	s_lshl_b64 s[8:9], s[8:9], 6
	s_wait_kmcnt 0x0
	s_cmp_lg_u64 s[4:5], 0
	v_cndmask_b32_e32 v4, v1, v4, vcc_lo
	s_cselect_b32 s10, -1, 0
	s_cmp_lg_u64 s[6:7], 0
	v_cmp_gt_i32_e32 vcc_lo, 32, v9
	s_cselect_b32 s3, -1, 0
	v_dual_cndmask_b32 v9, v1, v9 :: v_dual_lshlrev_b32 v8, 2, v4
	v_cmp_gt_i32_e32 vcc_lo, 32, v11
	s_wait_dscnt 0x1
	ds_bpermute_b32 v5, v8, v3
	s_wait_dscnt 0x1
	ds_bpermute_b32 v4, v8, v2
	v_dual_lshlrev_b32 v9, 2, v9 :: v_dual_cndmask_b32 v1, v1, v11, vcc_lo
	s_delay_alu instid0(VALU_DEP_1)
	v_dual_lshlrev_b32 v11, 2, v1 :: v_dual_mov_b32 v1, 0
	s_wait_dscnt 0x0
	v_pk_add_f32 v[2:3], v[2:3], v[4:5]
	ds_bpermute_b32 v5, v9, v3
	ds_bpermute_b32 v4, v9, v2
	s_wait_dscnt 0x0
	v_pk_add_f32 v[2:3], v[2:3], v[4:5]
	ds_bpermute_b32 v5, v11, v3
	ds_bpermute_b32 v4, v11, v2
	s_wait_dscnt 0x0
	v_pk_add_f32 v[2:3], v[2:3], v[4:5]
	s_and_saveexec_b32 s11, s1
	s_cbranch_execz .LBB54_19
; %bb.15:
	v_dual_mov_b32 v5, s9 :: v_dual_bitop2_b32 v4, s8, v0 bitop3:0x54
	s_and_not1_b32 vcc_lo, exec_lo, s10
	s_cbranch_vccnz .LBB54_17
; %bb.16:
	s_delay_alu instid0(VALU_DEP_1)
	v_lshl_add_u64 v[12:13], v[4:5], 2, s[4:5]
	global_store_b32 v[12:13], v3, off
.LBB54_17:
	s_and_not1_b32 vcc_lo, exec_lo, s3
	s_cbranch_vccnz .LBB54_19
; %bb.18:
	v_lshl_add_u64 v[4:5], v[4:5], 2, s[6:7]
	global_store_b32 v[4:5], v2, off
.LBB54_19:
	s_wait_xcnt 0x0
	s_or_b32 exec_lo, exec_lo, s11
	v_cmp_gt_u32_e32 vcc_lo, 0x600, v6
	s_and_b32 exec_lo, exec_lo, vcc_lo
	s_cbranch_execz .LBB54_43
; %bb.20:
	s_and_saveexec_b32 s11, s2
	s_delay_alu instid0(SALU_CYCLE_1) | instskip(NEXT) | instid1(SALU_CYCLE_1)
	s_xor_b32 s11, exec_lo, s11
	s_and_not1_saveexec_b32 s11, s11
	s_cbranch_execz .LBB54_22
; %bb.21:
	v_add_nc_u32_e32 v2, v0, v7
	s_delay_alu instid0(VALU_DEP_1)
	v_lshl_add_u32 v2, v2, 2, 0
	ds_load_b32 v3, v2 offset:64
	ds_load_b32 v2, v2 offset:2144
.LBB54_22:
	s_or_b32 exec_lo, exec_lo, s11
	s_wait_dscnt 0x1
	ds_bpermute_b32 v5, v8, v3
	s_wait_dscnt 0x1
	ds_bpermute_b32 v4, v8, v2
	s_wait_dscnt 0x0
	v_pk_add_f32 v[2:3], v[2:3], v[4:5]
	ds_bpermute_b32 v5, v9, v3
	ds_bpermute_b32 v4, v9, v2
	s_wait_dscnt 0x0
	v_pk_add_f32 v[2:3], v[2:3], v[4:5]
	ds_bpermute_b32 v5, v11, v3
	ds_bpermute_b32 v4, v11, v2
	s_wait_dscnt 0x0
	v_pk_add_f32 v[2:3], v[2:3], v[4:5]
	s_and_saveexec_b32 s11, s1
	s_cbranch_execz .LBB54_27
; %bb.23:
	s_and_not1_b32 vcc_lo, exec_lo, s10
	s_cbranch_vccnz .LBB54_25
; %bb.24:
	v_add_nc_u64_e32 v[4:5], s[8:9], v[0:1]
	s_delay_alu instid0(VALU_DEP_1)
	v_lshl_add_u64 v[4:5], v[4:5], 2, s[4:5]
	global_store_b32 v[4:5], v3, off offset:64
.LBB54_25:
	s_and_not1_b32 vcc_lo, exec_lo, s3
	s_cbranch_vccnz .LBB54_27
; %bb.26:
	s_wait_xcnt 0x0
	v_add_nc_u64_e32 v[4:5], s[8:9], v[0:1]
	s_delay_alu instid0(VALU_DEP_1)
	v_lshl_add_u64 v[4:5], v[4:5], 2, s[6:7]
	global_store_b32 v[4:5], v2, off offset:64
.LBB54_27:
	s_wait_xcnt 0x0
	s_or_b32 exec_lo, exec_lo, s11
	v_cmp_gt_u32_e32 vcc_lo, 0x400, v6
	s_and_b32 exec_lo, exec_lo, vcc_lo
	s_cbranch_execz .LBB54_43
; %bb.28:
	s_and_saveexec_b32 s11, s2
	s_delay_alu instid0(SALU_CYCLE_1) | instskip(NEXT) | instid1(SALU_CYCLE_1)
	s_xor_b32 s2, exec_lo, s11
	s_and_not1_saveexec_b32 s2, s2
	s_cbranch_execz .LBB54_30
; %bb.29:
	v_add_nc_u32_e32 v2, v0, v7
	s_delay_alu instid0(VALU_DEP_1)
	v_lshl_add_u32 v2, v2, 2, 0
	ds_load_b32 v3, v2 offset:128
	ds_load_b32 v2, v2 offset:2208
.LBB54_30:
	s_or_b32 exec_lo, exec_lo, s2
	s_wait_dscnt 0x1
	ds_bpermute_b32 v5, v8, v3
	s_wait_dscnt 0x1
	ds_bpermute_b32 v4, v8, v2
	s_wait_dscnt 0x0
	v_pk_add_f32 v[2:3], v[2:3], v[4:5]
	ds_bpermute_b32 v5, v9, v3
	ds_bpermute_b32 v4, v9, v2
	s_wait_dscnt 0x0
	v_pk_add_f32 v[2:3], v[2:3], v[4:5]
	ds_bpermute_b32 v5, v11, v3
	ds_bpermute_b32 v4, v11, v2
	s_wait_dscnt 0x0
	v_pk_add_f32 v[2:3], v[2:3], v[4:5]
	s_and_saveexec_b32 s2, s1
	s_cbranch_execz .LBB54_35
; %bb.31:
	s_and_not1_b32 vcc_lo, exec_lo, s10
	s_cbranch_vccnz .LBB54_33
; %bb.32:
	v_add_nc_u64_e32 v[4:5], s[8:9], v[0:1]
	s_delay_alu instid0(VALU_DEP_1)
	v_lshl_add_u64 v[4:5], v[4:5], 2, s[4:5]
	global_store_b32 v[4:5], v3, off offset:128
.LBB54_33:
	s_and_not1_b32 vcc_lo, exec_lo, s3
	s_cbranch_vccnz .LBB54_35
; %bb.34:
	s_wait_xcnt 0x0
	v_add_nc_u64_e32 v[4:5], s[8:9], v[0:1]
	s_delay_alu instid0(VALU_DEP_1)
	v_lshl_add_u64 v[4:5], v[4:5], 2, s[6:7]
	global_store_b32 v[4:5], v2, off offset:128
.LBB54_35:
	s_wait_xcnt 0x0
	s_or_b32 exec_lo, exec_lo, s2
	v_cmp_gt_u32_e32 vcc_lo, 0x200, v6
	s_and_b32 exec_lo, exec_lo, vcc_lo
	s_cbranch_execz .LBB54_43
; %bb.36:
	s_and_saveexec_b32 s2, s0
	s_cbranch_execz .LBB54_38
; %bb.37:
	v_add_nc_u32_e32 v2, v0, v7
	s_delay_alu instid0(VALU_DEP_1)
	v_lshl_add_u32 v2, v2, 2, 0
	ds_load_b32 v3, v2 offset:192
	ds_load_b32 v2, v2 offset:2272
.LBB54_38:
	s_or_b32 exec_lo, exec_lo, s2
	s_wait_dscnt 0x1
	ds_bpermute_b32 v4, v8, v3
	s_wait_dscnt 0x1
	ds_bpermute_b32 v5, v8, v2
	s_wait_dscnt 0x0
	v_dual_add_f32 v3, v3, v4 :: v_dual_add_f32 v2, v2, v5
	ds_bpermute_b32 v4, v9, v3
	ds_bpermute_b32 v5, v9, v2
	s_wait_dscnt 0x0
	v_dual_add_f32 v4, v3, v4 :: v_dual_add_f32 v2, v2, v5
	ds_bpermute_b32 v5, v11, v4
	ds_bpermute_b32 v3, v11, v2
	s_and_b32 exec_lo, exec_lo, s1
	s_cbranch_execz .LBB54_43
; %bb.39:
	v_add_nc_u64_e32 v[0:1], s[8:9], v[0:1]
	s_and_not1_b32 vcc_lo, exec_lo, s10
	s_cbranch_vccnz .LBB54_41
; %bb.40:
	s_wait_dscnt 0x1
	v_add_f32_e32 v6, v4, v5
	s_delay_alu instid0(VALU_DEP_2)
	v_lshl_add_u64 v[4:5], v[0:1], 2, s[4:5]
	global_store_b32 v[4:5], v6, off offset:192
.LBB54_41:
	s_and_not1_b32 vcc_lo, exec_lo, s3
	s_cbranch_vccnz .LBB54_43
; %bb.42:
	s_wait_dscnt 0x0
	v_add_f32_e32 v2, v2, v3
	v_lshl_add_u64 v[0:1], v[0:1], 2, s[6:7]
	global_store_b32 v[0:1], v2, off offset:192
.LBB54_43:
	s_endpgm
	.section	.rodata,"a",@progbits
	.p2align	6, 0x0
	.amdhsa_kernel _ZN2at6native12_GLOBAL__N_135GammaBetaBackwardCUDAKernelTemplateIffLj64ELj8ELj64ELb0ELb1ELb0EEEvllPKT_S5_PKT0_S8_PS3_S9_
		.amdhsa_group_segment_fixed_size 0
		.amdhsa_private_segment_fixed_size 0
		.amdhsa_kernarg_size 320
		.amdhsa_user_sgpr_count 2
		.amdhsa_user_sgpr_dispatch_ptr 0
		.amdhsa_user_sgpr_queue_ptr 0
		.amdhsa_user_sgpr_kernarg_segment_ptr 1
		.amdhsa_user_sgpr_dispatch_id 0
		.amdhsa_user_sgpr_kernarg_preload_length 0
		.amdhsa_user_sgpr_kernarg_preload_offset 0
		.amdhsa_user_sgpr_private_segment_size 0
		.amdhsa_wavefront_size32 1
		.amdhsa_uses_dynamic_stack 0
		.amdhsa_enable_private_segment 0
		.amdhsa_system_sgpr_workgroup_id_x 1
		.amdhsa_system_sgpr_workgroup_id_y 1
		.amdhsa_system_sgpr_workgroup_id_z 0
		.amdhsa_system_sgpr_workgroup_info 0
		.amdhsa_system_vgpr_workitem_id 1
		.amdhsa_next_free_vgpr 46
		.amdhsa_next_free_sgpr 26
		.amdhsa_named_barrier_count 0
		.amdhsa_reserve_vcc 1
		.amdhsa_float_round_mode_32 0
		.amdhsa_float_round_mode_16_64 0
		.amdhsa_float_denorm_mode_32 3
		.amdhsa_float_denorm_mode_16_64 3
		.amdhsa_fp16_overflow 0
		.amdhsa_memory_ordered 1
		.amdhsa_forward_progress 1
		.amdhsa_inst_pref_size 19
		.amdhsa_round_robin_scheduling 0
		.amdhsa_exception_fp_ieee_invalid_op 0
		.amdhsa_exception_fp_denorm_src 0
		.amdhsa_exception_fp_ieee_div_zero 0
		.amdhsa_exception_fp_ieee_overflow 0
		.amdhsa_exception_fp_ieee_underflow 0
		.amdhsa_exception_fp_ieee_inexact 0
		.amdhsa_exception_int_div_zero 0
	.end_amdhsa_kernel
	.section	.text._ZN2at6native12_GLOBAL__N_135GammaBetaBackwardCUDAKernelTemplateIffLj64ELj8ELj64ELb0ELb1ELb0EEEvllPKT_S5_PKT0_S8_PS3_S9_,"axG",@progbits,_ZN2at6native12_GLOBAL__N_135GammaBetaBackwardCUDAKernelTemplateIffLj64ELj8ELj64ELb0ELb1ELb0EEEvllPKT_S5_PKT0_S8_PS3_S9_,comdat
.Lfunc_end54:
	.size	_ZN2at6native12_GLOBAL__N_135GammaBetaBackwardCUDAKernelTemplateIffLj64ELj8ELj64ELb0ELb1ELb0EEEvllPKT_S5_PKT0_S8_PS3_S9_, .Lfunc_end54-_ZN2at6native12_GLOBAL__N_135GammaBetaBackwardCUDAKernelTemplateIffLj64ELj8ELj64ELb0ELb1ELb0EEEvllPKT_S5_PKT0_S8_PS3_S9_
                                        ; -- End function
	.set _ZN2at6native12_GLOBAL__N_135GammaBetaBackwardCUDAKernelTemplateIffLj64ELj8ELj64ELb0ELb1ELb0EEEvllPKT_S5_PKT0_S8_PS3_S9_.num_vgpr, 46
	.set _ZN2at6native12_GLOBAL__N_135GammaBetaBackwardCUDAKernelTemplateIffLj64ELj8ELj64ELb0ELb1ELb0EEEvllPKT_S5_PKT0_S8_PS3_S9_.num_agpr, 0
	.set _ZN2at6native12_GLOBAL__N_135GammaBetaBackwardCUDAKernelTemplateIffLj64ELj8ELj64ELb0ELb1ELb0EEEvllPKT_S5_PKT0_S8_PS3_S9_.numbered_sgpr, 26
	.set _ZN2at6native12_GLOBAL__N_135GammaBetaBackwardCUDAKernelTemplateIffLj64ELj8ELj64ELb0ELb1ELb0EEEvllPKT_S5_PKT0_S8_PS3_S9_.num_named_barrier, 0
	.set _ZN2at6native12_GLOBAL__N_135GammaBetaBackwardCUDAKernelTemplateIffLj64ELj8ELj64ELb0ELb1ELb0EEEvllPKT_S5_PKT0_S8_PS3_S9_.private_seg_size, 0
	.set _ZN2at6native12_GLOBAL__N_135GammaBetaBackwardCUDAKernelTemplateIffLj64ELj8ELj64ELb0ELb1ELb0EEEvllPKT_S5_PKT0_S8_PS3_S9_.uses_vcc, 1
	.set _ZN2at6native12_GLOBAL__N_135GammaBetaBackwardCUDAKernelTemplateIffLj64ELj8ELj64ELb0ELb1ELb0EEEvllPKT_S5_PKT0_S8_PS3_S9_.uses_flat_scratch, 0
	.set _ZN2at6native12_GLOBAL__N_135GammaBetaBackwardCUDAKernelTemplateIffLj64ELj8ELj64ELb0ELb1ELb0EEEvllPKT_S5_PKT0_S8_PS3_S9_.has_dyn_sized_stack, 0
	.set _ZN2at6native12_GLOBAL__N_135GammaBetaBackwardCUDAKernelTemplateIffLj64ELj8ELj64ELb0ELb1ELb0EEEvllPKT_S5_PKT0_S8_PS3_S9_.has_recursion, 0
	.set _ZN2at6native12_GLOBAL__N_135GammaBetaBackwardCUDAKernelTemplateIffLj64ELj8ELj64ELb0ELb1ELb0EEEvllPKT_S5_PKT0_S8_PS3_S9_.has_indirect_call, 0
	.section	.AMDGPU.csdata,"",@progbits
; Kernel info:
; codeLenInByte = 2420
; TotalNumSgprs: 28
; NumVgprs: 46
; ScratchSize: 0
; MemoryBound: 0
; FloatMode: 240
; IeeeMode: 1
; LDSByteSize: 0 bytes/workgroup (compile time only)
; SGPRBlocks: 0
; VGPRBlocks: 2
; NumSGPRsForWavesPerEU: 28
; NumVGPRsForWavesPerEU: 46
; NamedBarCnt: 0
; Occupancy: 16
; WaveLimiterHint : 0
; COMPUTE_PGM_RSRC2:SCRATCH_EN: 0
; COMPUTE_PGM_RSRC2:USER_SGPR: 2
; COMPUTE_PGM_RSRC2:TRAP_HANDLER: 0
; COMPUTE_PGM_RSRC2:TGID_X_EN: 1
; COMPUTE_PGM_RSRC2:TGID_Y_EN: 1
; COMPUTE_PGM_RSRC2:TGID_Z_EN: 0
; COMPUTE_PGM_RSRC2:TIDIG_COMP_CNT: 1
	.section	.text._ZN2at6native12_GLOBAL__N_135GammaBetaBackwardCUDAKernelTemplateIffLj64ELj8ELj64ELb0ELb0ELb0EEEvllPKT_S5_PKT0_S8_PS3_S9_,"axG",@progbits,_ZN2at6native12_GLOBAL__N_135GammaBetaBackwardCUDAKernelTemplateIffLj64ELj8ELj64ELb0ELb0ELb0EEEvllPKT_S5_PKT0_S8_PS3_S9_,comdat
	.globl	_ZN2at6native12_GLOBAL__N_135GammaBetaBackwardCUDAKernelTemplateIffLj64ELj8ELj64ELb0ELb0ELb0EEEvllPKT_S5_PKT0_S8_PS3_S9_ ; -- Begin function _ZN2at6native12_GLOBAL__N_135GammaBetaBackwardCUDAKernelTemplateIffLj64ELj8ELj64ELb0ELb0ELb0EEEvllPKT_S5_PKT0_S8_PS3_S9_
	.p2align	8
	.type	_ZN2at6native12_GLOBAL__N_135GammaBetaBackwardCUDAKernelTemplateIffLj64ELj8ELj64ELb0ELb0ELb0EEEvllPKT_S5_PKT0_S8_PS3_S9_,@function
_ZN2at6native12_GLOBAL__N_135GammaBetaBackwardCUDAKernelTemplateIffLj64ELj8ELj64ELb0ELb0ELb0EEEvllPKT_S5_PKT0_S8_PS3_S9_: ; @_ZN2at6native12_GLOBAL__N_135GammaBetaBackwardCUDAKernelTemplateIffLj64ELj8ELj64ELb0ELb0ELb0EEEvllPKT_S5_PKT0_S8_PS3_S9_
; %bb.0:
	s_load_b256 s[4:11], s[0:1], 0x0
	s_bfe_u32 s3, ttmp6, 0x4000c
	s_bfe_u32 s12, ttmp6, 0x40010
	s_add_co_i32 s3, s3, 1
	s_add_co_i32 s12, s12, 1
	s_and_b32 s2, ttmp6, 15
	s_bfe_u32 s13, ttmp6, 0x40004
	s_mul_i32 s3, ttmp9, s3
	s_mul_i32 s12, ttmp7, s12
	s_getreg_b32 s14, hwreg(HW_REG_IB_STS2, 6, 4)
	s_add_co_i32 s2, s2, s3
	s_add_co_i32 s3, s13, s12
	s_cmp_eq_u32 s14, 0
	s_mov_b32 s19, 0
	s_cselect_b32 s16, ttmp9, s2
	s_cselect_b32 s2, ttmp7, s3
	s_lshl_b32 s3, s16, 6
	s_load_b128 s[12:15], s[0:1], 0x20
	s_or_b32 s18, s3, 63
	s_wait_kmcnt 0x0
	v_cmp_le_i64_e64 s20, s[6:7], s[18:19]
	s_lshl_b32 s18, s2, 6
	s_delay_alu instid0(SALU_CYCLE_1) | instskip(SKIP_2) | instid1(VALU_DEP_1)
	v_cmp_gt_i64_e64 s17, s[4:5], s[18:19]
	s_and_b32 vcc_lo, exec_lo, s20
	v_cndmask_b32_e64 v1, 0, 1, s17
	v_cmp_ne_u32_e64 s2, 1, v1
	s_cbranch_vccz .LBB55_48
; %bb.1:
	v_mov_b32_e32 v21, 0
	s_and_b32 vcc_lo, exec_lo, s2
	s_delay_alu instid0(VALU_DEP_1)
	v_mov_b32_e32 v20, v21
	s_cbranch_vccnz .LBB55_49
; %bb.2:
	v_bfe_u32 v1, v0, 10, 10
	v_mov_b32_e32 v2, 0
	v_and_b32_e32 v62, 0x3ff, v0
	s_load_b32 s20, s[0:1], 0x44
	s_mov_b32 s21, 0
	s_delay_alu instid0(VALU_DEP_2) | instskip(NEXT) | instid1(VALU_DEP_2)
	v_dual_mov_b32 v23, v2 :: v_dual_lshlrev_b32 v22, 3, v1
	v_dual_mov_b32 v19, v2 :: v_dual_add_nc_u32 v18, s3, v62
	s_mov_b32 s37, s21
	s_add_nc_u64 s[22:23], s[0:1], 64
	s_delay_alu instid0(VALU_DEP_2)
	v_add_nc_u64_e32 v[4:5], s[18:19], v[22:23]
	s_mov_b64 s[24:25], 0xffffffffffffffc1
	s_mov_b64 s[26:27], 0xffffffffffffffc2
	;; [unrolled: 1-line block ×6, first 2 shown]
	v_mul_u64_e32 v[6:7], s[6:7], v[4:5]
	v_add_nc_u64_e32 v[8:9], 7, v[4:5]
	v_add_nc_u64_e32 v[10:11], 6, v[4:5]
	;; [unrolled: 1-line block ×6, first 2 shown]
	s_wait_kmcnt 0x0
	s_lshl_b32 s36, s20, 6
	v_mul_u64_e32 v[8:9], s[6:7], v[8:9]
	v_mul_u64_e32 v[10:11], s[6:7], v[10:11]
	;; [unrolled: 1-line block ×6, first 2 shown]
	s_mul_u64 s[44:45], s[6:7], s[36:37]
	s_mov_b64 s[40:41], 0xffffffffffffffc7
	s_mov_b64 s[42:43], 0xffffffffffffffc8
	s_lshl_b64 s[44:45], s[44:45], 2
	s_add_nc_u64 s[46:47], s[18:19], 63
	s_mov_b64 s[48:49], s[18:19]
	v_lshlrev_b64_e32 v[20:21], 2, v[6:7]
	v_add_nc_u64_e32 v[6:7], s[6:7], v[6:7]
	s_delay_alu instid0(VALU_DEP_2)
	v_add_nc_u64_e32 v[26:27], s[8:9], v[20:21]
	v_lshlrev_b64_e32 v[8:9], 2, v[8:9]
	v_lshlrev_b64_e32 v[10:11], 2, v[10:11]
	;; [unrolled: 1-line block ×7, first 2 shown]
	v_add_nc_u64_e32 v[28:29], s[10:11], v[20:21]
	v_add_nc_u64_e32 v[30:31], s[8:9], v[8:9]
	;; [unrolled: 1-line block ×15, first 2 shown]
	v_mov_b32_e32 v20, 0
	v_cmp_gt_i64_e64 s2, s[6:7], v[18:19]
	v_lshlrev_b64_e32 v[24:25], 2, v[18:19]
	v_mov_b32_e32 v21, v2
	s_branch .LBB55_5
.LBB55_3:                               ;   in Loop: Header=BB55_5 Depth=1
	s_wait_xcnt 0x0
	s_or_b32 exec_lo, exec_lo, s20
	s_wait_loadcnt 0x1
	ds_bpermute_b32 v3, v2, v60
	ds_bpermute_b32 v58, v2, v60 offset:4
	ds_bpermute_b32 v63, v2, v60 offset:8
	s_wait_loadcnt 0x0
	ds_bpermute_b32 v64, v2, v61
	ds_bpermute_b32 v66, v2, v60 offset:12
	ds_bpermute_b32 v67, v2, v61 offset:4
	;; [unrolled: 1-line block ×6, first 2 shown]
	v_mov_b32_e32 v59, v4
	ds_bpermute_b32 v71, v2, v61 offset:16
	ds_bpermute_b32 v74, v2, v60 offset:24
	;; [unrolled: 1-line block ×3, first 2 shown]
	s_wait_dscnt 0xc
	v_dual_mov_b32 v65, v5 :: v_dual_sub_f32 v3, v12, v3
	s_wait_dscnt 0xb
	v_dual_sub_f32 v12, v13, v58 :: v_dual_mov_b32 v13, v6
	s_delay_alu instid0(VALU_DEP_2) | instskip(SKIP_1) | instid1(VALU_DEP_2)
	v_mul_f32_e32 v3, v4, v3
	s_wait_dscnt 0xa
	v_dual_sub_f32 v4, v14, v63 :: v_dual_mul_f32 v12, v5, v12
	v_mov_b32_e32 v5, v7
	s_wait_dscnt 0x9
	v_mul_f32_e32 v58, v3, v64
	s_wait_dscnt 0x8
	v_dual_mul_f32 v4, v6, v4 :: v_dual_sub_f32 v3, v15, v66
	s_wait_dscnt 0x7
	v_mul_f32_e32 v64, v12, v67
	v_pk_add_f32 v[14:15], v[20:21], v[58:59]
	ds_bpermute_b32 v20, v2, v61 offset:24
	s_wait_dscnt 0x7
	v_mul_f32_e32 v12, v4, v68
	s_wait_dscnt 0x6
	v_dual_sub_f32 v16, v16, v70 :: v_dual_mul_f32 v3, v7, v3
	v_pk_add_f32 v[6:7], v[64:65], v[14:15]
	s_wait_dscnt 0x4
	v_dual_mov_b32 v15, v8 :: v_dual_sub_f32 v14, v17, v73
	s_delay_alu instid0(VALU_DEP_3) | instskip(NEXT) | instid1(VALU_DEP_3)
	v_dual_mul_f32 v8, v8, v16 :: v_dual_mul_f32 v4, v3, v69
	v_pk_add_f32 v[6:7], v[12:13], v[6:7]
	ds_bpermute_b32 v3, v2, v61 offset:28
	s_wait_dscnt 0x3
	v_sub_f32_e32 v12, v18, v74
	v_dual_mul_f32 v13, v9, v14 :: v_dual_mul_f32 v14, v8, v71
	v_pk_add_f32 v[6:7], v[4:5], v[6:7]
	ds_bpermute_b32 v4, v2, v60 offset:28
	v_mul_f32_e32 v5, v10, v12
	s_wait_dscnt 0x3
	v_dual_mul_f32 v8, v13, v72 :: v_dual_mov_b32 v13, v10
	v_pk_add_f32 v[6:7], v[14:15], v[6:7]
	s_wait_dscnt 0x2
	v_mul_f32_e32 v12, v5, v20
	s_delay_alu instid0(VALU_DEP_2) | instskip(NEXT) | instid1(VALU_DEP_1)
	v_pk_add_f32 v[6:7], v[8:9], v[6:7]
	v_pk_add_f32 v[60:61], v[12:13], v[6:7]
.LBB55_4:                               ;   in Loop: Header=BB55_5 Depth=1
	s_wait_dscnt 0x0
	v_sub_f32_e32 v4, v19, v4
	s_add_nc_u64 s[48:49], s[48:49], s[36:37]
	v_add_nc_u64_e32 v[26:27], s[44:45], v[26:27]
	v_cmp_lt_i64_e64 s20, s[48:49], s[4:5]
	v_add_nc_u64_e32 v[28:29], s[44:45], v[28:29]
	v_mul_f32_e32 v4, v11, v4
	v_add_nc_u64_e32 v[30:31], s[44:45], v[30:31]
	v_add_nc_u64_e32 v[32:33], s[44:45], v[32:33]
	;; [unrolled: 1-line block ×4, first 2 shown]
	v_mul_f32_e32 v10, v4, v3
	v_add_nc_u64_e32 v[38:39], s[44:45], v[38:39]
	v_add_nc_u64_e32 v[40:41], s[44:45], v[40:41]
	;; [unrolled: 1-line block ×10, first 2 shown]
	v_pk_add_f32 v[20:21], v[60:61], v[10:11]
	s_and_b32 vcc_lo, exec_lo, s20
	s_add_nc_u64 s[46:47], s[46:47], s[36:37]
	s_cbranch_vccz .LBB55_49
.LBB55_5:                               ; =>This Inner Loop Header: Depth=1
	v_cmp_ge_i64_e64 s20, s[46:47], s[4:5]
	v_add_nc_u64_e32 v[58:59], s[46:47], v[22:23]
                                        ; implicit-def: $vgpr4_vgpr5_vgpr6_vgpr7_vgpr8_vgpr9_vgpr10_vgpr11
                                        ; implicit-def: $vgpr60_vgpr61
                                        ; implicit-def: $vgpr3
                                        ; implicit-def: $vgpr12_vgpr13_vgpr14_vgpr15_vgpr16_vgpr17_vgpr18_vgpr19
                                        ; implicit-def: $vgpr4
	s_and_b32 vcc_lo, exec_lo, s20
	s_mov_b32 s20, -1
	s_cbranch_vccz .LBB55_27
; %bb.6:                                ;   in Loop: Header=BB55_5 Depth=1
	s_load_b32 s20, s[22:23], 0xc
	v_dual_mov_b32 v60, 0 :: v_dual_mov_b32 v61, 0
	s_wait_kmcnt 0x0
	s_and_b32 s20, s20, 0xffff
	s_delay_alu instid0(SALU_CYCLE_1) | instskip(SKIP_1) | instid1(VALU_DEP_1)
	v_mad_u32_u24 v3, v1, s20, v62
	s_mov_b32 s20, exec_lo
	v_and_b32_e32 v4, 31, v3
	s_delay_alu instid0(VALU_DEP_1)
	v_cmpx_gt_u32_e32 8, v4
	s_cbranch_execz .LBB55_10
; %bb.7:                                ;   in Loop: Header=BB55_5 Depth=1
	v_dual_mov_b32 v5, v2 :: v_dual_mov_b32 v60, 0
	v_mov_b32_e32 v61, 0
	s_mov_b32 s33, exec_lo
	s_delay_alu instid0(VALU_DEP_2) | instskip(NEXT) | instid1(VALU_DEP_1)
	v_add_nc_u64_e32 v[4:5], v[58:59], v[4:5]
	v_add_nc_u64_e32 v[4:5], s[24:25], v[4:5]
	s_delay_alu instid0(VALU_DEP_1)
	v_cmpx_gt_i64_e64 s[4:5], v[4:5]
	s_cbranch_execz .LBB55_9
; %bb.8:                                ;   in Loop: Header=BB55_5 Depth=1
	v_lshlrev_b64_e32 v[4:5], 2, v[4:5]
	s_delay_alu instid0(VALU_DEP_1)
	v_add_nc_u64_e32 v[6:7], s[12:13], v[4:5]
	v_add_nc_u64_e32 v[4:5], s[14:15], v[4:5]
	global_load_b32 v60, v[6:7], off
	global_load_b32 v61, v[4:5], off
.LBB55_9:                               ;   in Loop: Header=BB55_5 Depth=1
	s_wait_xcnt 0x0
	s_or_b32 exec_lo, exec_lo, s33
.LBB55_10:                              ;   in Loop: Header=BB55_5 Depth=1
	s_delay_alu instid0(SALU_CYCLE_1)
	s_or_b32 exec_lo, exec_lo, s20
	v_add_nc_u64_e32 v[10:11], s[24:25], v[58:59]
	v_dual_mov_b32 v7, v2 :: v_dual_mov_b32 v8, v2
	v_dual_mov_b32 v9, v2 :: v_dual_mov_b32 v3, v2
	;; [unrolled: 1-line block ×3, first 2 shown]
	v_mov_b32_e32 v6, v2
	v_cmp_gt_i64_e32 vcc_lo, s[4:5], v[10:11]
	s_delay_alu instid0(VALU_DEP_4)
	v_mov_b64_e32 v[18:19], v[8:9]
	v_mov_b64_e32 v[12:13], v[2:3]
	;; [unrolled: 1-line block ×8, first 2 shown]
	s_and_b32 s33, s2, vcc_lo
	s_delay_alu instid0(SALU_CYCLE_1)
	s_and_saveexec_b32 s20, s33
	s_cbranch_execz .LBB55_12
; %bb.11:                               ;   in Loop: Header=BB55_5 Depth=1
	v_add_nc_u64_e32 v[6:7], v[26:27], v[24:25]
	v_add_nc_u64_e32 v[8:9], v[28:29], v[24:25]
	v_dual_mov_b32 v5, v2 :: v_dual_mov_b32 v11, v2
	v_dual_mov_b32 v13, v2 :: v_dual_mov_b32 v14, v2
	v_mov_b32_e32 v15, v2
	global_load_b32 v4, v[6:7], off
	global_load_b32 v12, v[8:9], off
	s_wait_xcnt 0x1
	v_dual_mov_b32 v6, v2 :: v_dual_mov_b32 v7, v2
	s_wait_xcnt 0x0
	v_dual_mov_b32 v8, v2 :: v_dual_mov_b32 v9, v2
	v_dual_mov_b32 v10, v2 :: v_dual_mov_b32 v16, v2
	;; [unrolled: 1-line block ×3, first 2 shown]
	v_mov_b32_e32 v19, v2
.LBB55_12:                              ;   in Loop: Header=BB55_5 Depth=1
	s_or_b32 exec_lo, exec_lo, s20
	v_add_nc_u64_e32 v[64:65], s[26:27], v[58:59]
	s_delay_alu instid0(VALU_DEP_1) | instskip(SKIP_1) | instid1(SALU_CYCLE_1)
	v_cmp_gt_i64_e32 vcc_lo, s[4:5], v[64:65]
	s_and_b32 s33, s2, vcc_lo
	s_and_saveexec_b32 s20, s33
	s_cbranch_execz .LBB55_14
; %bb.13:                               ;   in Loop: Header=BB55_5 Depth=1
	v_add_nc_u64_e32 v[64:65], v[54:55], v[24:25]
	v_add_nc_u64_e32 v[66:67], v[56:57], v[24:25]
	global_load_b32 v5, v[64:65], off
	global_load_b32 v13, v[66:67], off
.LBB55_14:                              ;   in Loop: Header=BB55_5 Depth=1
	s_wait_xcnt 0x0
	s_or_b32 exec_lo, exec_lo, s20
	v_add_nc_u64_e32 v[64:65], s[28:29], v[58:59]
	s_delay_alu instid0(VALU_DEP_1) | instskip(SKIP_1) | instid1(SALU_CYCLE_1)
	v_cmp_gt_i64_e32 vcc_lo, s[4:5], v[64:65]
	s_and_b32 s33, s2, vcc_lo
	s_and_saveexec_b32 s20, s33
	s_cbranch_execz .LBB55_16
; %bb.15:                               ;   in Loop: Header=BB55_5 Depth=1
	v_add_nc_u64_e32 v[64:65], v[50:51], v[24:25]
	v_add_nc_u64_e32 v[66:67], v[52:53], v[24:25]
	global_load_b32 v6, v[64:65], off
	global_load_b32 v14, v[66:67], off
.LBB55_16:                              ;   in Loop: Header=BB55_5 Depth=1
	s_wait_xcnt 0x0
	;; [unrolled: 14-line block ×7, first 2 shown]
	s_or_b32 exec_lo, exec_lo, s20
	s_wait_loadcnt 0x1
	ds_bpermute_b32 v3, v2, v60
	ds_bpermute_b32 v63, v2, v60 offset:4
	ds_bpermute_b32 v64, v2, v60 offset:8
	s_wait_loadcnt 0x0
	ds_bpermute_b32 v66, v2, v61
	ds_bpermute_b32 v68, v2, v60 offset:12
	ds_bpermute_b32 v69, v2, v61 offset:4
	;; [unrolled: 1-line block ×6, first 2 shown]
	v_mov_b32_e32 v65, v4
	ds_bpermute_b32 v73, v2, v61 offset:16
	ds_bpermute_b32 v74, v2, v61 offset:20
	s_mov_b32 s20, 0
	s_wait_dscnt 0xb
	v_dual_mov_b32 v67, v5 :: v_dual_sub_f32 v3, v12, v3
	s_wait_dscnt 0xa
	v_sub_f32_e32 v12, v13, v63
	ds_bpermute_b32 v63, v2, v60 offset:24
	v_dual_mov_b32 v13, v6 :: v_dual_mul_f32 v3, v4, v3
	s_wait_dscnt 0xa
	v_sub_f32_e32 v4, v14, v64
	v_dual_mul_f32 v12, v5, v12 :: v_dual_mov_b32 v5, v7
	s_wait_dscnt 0x5
	v_dual_sub_f32 v16, v16, v72 :: v_dual_mul_f32 v64, v3, v66
	s_delay_alu instid0(VALU_DEP_2) | instskip(SKIP_1) | instid1(VALU_DEP_3)
	v_dual_sub_f32 v3, v15, v68 :: v_dual_mul_f32 v66, v12, v69
	v_mul_f32_e32 v4, v6, v4
	v_pk_add_f32 v[14:15], v[20:21], v[64:65]
	ds_bpermute_b32 v64, v2, v61 offset:24
	v_dual_mul_f32 v3, v7, v3 :: v_dual_mul_f32 v12, v4, v70
	v_pk_add_f32 v[6:7], v[66:67], v[14:15]
	s_wait_dscnt 0x4
	v_dual_sub_f32 v14, v17, v75 :: v_dual_mov_b32 v15, v8
	s_delay_alu instid0(VALU_DEP_3) | instskip(NEXT) | instid1(VALU_DEP_3)
	v_dual_mul_f32 v8, v8, v16 :: v_dual_mul_f32 v4, v3, v71
	v_pk_add_f32 v[6:7], v[12:13], v[6:7]
	ds_bpermute_b32 v3, v2, v61 offset:28
	s_wait_dscnt 0x2
	v_dual_sub_f32 v12, v18, v63 :: v_dual_mul_f32 v13, v9, v14
	v_mul_f32_e32 v14, v8, v73
	v_pk_add_f32 v[6:7], v[4:5], v[6:7]
	ds_bpermute_b32 v4, v2, v60 offset:28
	v_dual_mul_f32 v5, v10, v12 :: v_dual_mul_f32 v8, v13, v74
	v_mov_b32_e32 v13, v10
	v_pk_add_f32 v[6:7], v[14:15], v[6:7]
	s_wait_dscnt 0x2
	s_delay_alu instid0(VALU_DEP_3) | instskip(NEXT) | instid1(VALU_DEP_2)
	v_mul_f32_e32 v12, v5, v64
	v_pk_add_f32 v[6:7], v[8:9], v[6:7]
	s_delay_alu instid0(VALU_DEP_1)
	v_pk_add_f32 v[60:61], v[12:13], v[6:7]
.LBB55_27:                              ;   in Loop: Header=BB55_5 Depth=1
	s_and_b32 vcc_lo, exec_lo, s20
	s_cbranch_vccz .LBB55_4
; %bb.28:                               ;   in Loop: Header=BB55_5 Depth=1
	s_load_b32 s20, s[22:23], 0x0
	v_dual_mov_b32 v60, 0 :: v_dual_mov_b32 v61, 0
	s_wait_kmcnt 0x0
	s_cmp_lt_u32 s16, s20
	s_cselect_b32 s20, 12, 18
	s_delay_alu instid0(SALU_CYCLE_1)
	s_add_nc_u64 s[50:51], s[22:23], s[20:21]
	s_load_u16 s20, s[50:51], 0x0
	s_wait_dscnt 0x1
	s_wait_kmcnt 0x0
	v_mad_u32_u24 v3, v1, s20, v62
	s_mov_b32 s20, exec_lo
	s_wait_dscnt 0x0
	s_delay_alu instid0(VALU_DEP_1) | instskip(NEXT) | instid1(VALU_DEP_1)
	v_and_b32_e32 v4, 31, v3
	v_cmpx_gt_u32_e32 8, v4
	s_cbranch_execz .LBB55_32
; %bb.29:                               ;   in Loop: Header=BB55_5 Depth=1
	v_dual_mov_b32 v5, v2 :: v_dual_mov_b32 v60, 0
	v_mov_b32_e32 v61, 0
	s_mov_b32 s33, exec_lo
	s_delay_alu instid0(VALU_DEP_2) | instskip(NEXT) | instid1(VALU_DEP_1)
	v_add_nc_u64_e32 v[4:5], v[58:59], v[4:5]
	v_add_nc_u64_e32 v[4:5], s[24:25], v[4:5]
	s_delay_alu instid0(VALU_DEP_1)
	v_cmpx_gt_i64_e64 s[4:5], v[4:5]
	s_cbranch_execz .LBB55_31
; %bb.30:                               ;   in Loop: Header=BB55_5 Depth=1
	v_lshlrev_b64_e32 v[4:5], 2, v[4:5]
	s_delay_alu instid0(VALU_DEP_1)
	v_add_nc_u64_e32 v[6:7], s[12:13], v[4:5]
	v_add_nc_u64_e32 v[4:5], s[14:15], v[4:5]
	global_load_b32 v60, v[6:7], off
	global_load_b32 v61, v[4:5], off
.LBB55_31:                              ;   in Loop: Header=BB55_5 Depth=1
	s_wait_xcnt 0x0
	s_or_b32 exec_lo, exec_lo, s33
.LBB55_32:                              ;   in Loop: Header=BB55_5 Depth=1
	s_delay_alu instid0(SALU_CYCLE_1) | instskip(SKIP_4) | instid1(VALU_DEP_3)
	s_or_b32 exec_lo, exec_lo, s20
	v_dual_mov_b32 v7, v2 :: v_dual_mov_b32 v8, v2
	v_dual_mov_b32 v9, v2 :: v_dual_mov_b32 v3, v2
	;; [unrolled: 1-line block ×3, first 2 shown]
	v_mov_b32_e32 v6, v2
	v_mov_b64_e32 v[18:19], v[8:9]
	s_delay_alu instid0(VALU_DEP_4) | instskip(NEXT) | instid1(VALU_DEP_4)
	v_mov_b64_e32 v[12:13], v[2:3]
	v_mov_b64_e32 v[14:15], v[4:5]
	s_delay_alu instid0(VALU_DEP_4)
	v_mov_b64_e32 v[16:17], v[6:7]
	v_mov_b64_e32 v[10:11], v[8:9]
	;; [unrolled: 1-line block ×5, first 2 shown]
	s_and_saveexec_b32 s20, s2
	s_cbranch_execnz .LBB55_40
; %bb.33:                               ;   in Loop: Header=BB55_5 Depth=1
	s_or_b32 exec_lo, exec_lo, s20
	s_and_saveexec_b32 s20, s2
	s_cbranch_execnz .LBB55_41
.LBB55_34:                              ;   in Loop: Header=BB55_5 Depth=1
	s_or_b32 exec_lo, exec_lo, s20
	s_and_saveexec_b32 s20, s2
	s_cbranch_execnz .LBB55_42
.LBB55_35:                              ;   in Loop: Header=BB55_5 Depth=1
	s_or_b32 exec_lo, exec_lo, s20
	s_and_saveexec_b32 s20, s2
	s_cbranch_execnz .LBB55_43
.LBB55_36:                              ;   in Loop: Header=BB55_5 Depth=1
	s_or_b32 exec_lo, exec_lo, s20
	s_and_saveexec_b32 s20, s2
	s_cbranch_execnz .LBB55_44
.LBB55_37:                              ;   in Loop: Header=BB55_5 Depth=1
	s_or_b32 exec_lo, exec_lo, s20
	s_and_saveexec_b32 s20, s2
	s_cbranch_execnz .LBB55_45
.LBB55_38:                              ;   in Loop: Header=BB55_5 Depth=1
	s_or_b32 exec_lo, exec_lo, s20
	s_and_saveexec_b32 s20, s2
	s_cbranch_execnz .LBB55_46
.LBB55_39:                              ;   in Loop: Header=BB55_5 Depth=1
	s_or_b32 exec_lo, exec_lo, s20
	s_and_saveexec_b32 s20, s2
	s_cbranch_execz .LBB55_3
	s_branch .LBB55_47
.LBB55_40:                              ;   in Loop: Header=BB55_5 Depth=1
	v_add_nc_u64_e32 v[6:7], v[26:27], v[24:25]
	v_add_nc_u64_e32 v[8:9], v[28:29], v[24:25]
	v_dual_mov_b32 v5, v2 :: v_dual_mov_b32 v11, v2
	v_dual_mov_b32 v13, v2 :: v_dual_mov_b32 v14, v2
	v_mov_b32_e32 v15, v2
	global_load_b32 v4, v[6:7], off
	global_load_b32 v12, v[8:9], off
	s_wait_xcnt 0x1
	v_dual_mov_b32 v6, v2 :: v_dual_mov_b32 v7, v2
	s_wait_xcnt 0x0
	v_dual_mov_b32 v8, v2 :: v_dual_mov_b32 v9, v2
	v_dual_mov_b32 v10, v2 :: v_dual_mov_b32 v16, v2
	;; [unrolled: 1-line block ×3, first 2 shown]
	v_mov_b32_e32 v19, v2
	s_or_b32 exec_lo, exec_lo, s20
	s_and_saveexec_b32 s20, s2
	s_cbranch_execz .LBB55_34
.LBB55_41:                              ;   in Loop: Header=BB55_5 Depth=1
	v_add_nc_u64_e32 v[58:59], v[54:55], v[24:25]
	v_add_nc_u64_e32 v[64:65], v[56:57], v[24:25]
	global_load_b32 v5, v[58:59], off
	global_load_b32 v13, v[64:65], off
	s_wait_xcnt 0x0
	s_or_b32 exec_lo, exec_lo, s20
	s_and_saveexec_b32 s20, s2
	s_cbranch_execz .LBB55_35
.LBB55_42:                              ;   in Loop: Header=BB55_5 Depth=1
	v_add_nc_u64_e32 v[58:59], v[50:51], v[24:25]
	v_add_nc_u64_e32 v[64:65], v[52:53], v[24:25]
	global_load_b32 v6, v[58:59], off
	global_load_b32 v14, v[64:65], off
	s_wait_xcnt 0x0
	s_or_b32 exec_lo, exec_lo, s20
	s_and_saveexec_b32 s20, s2
	s_cbranch_execz .LBB55_36
.LBB55_43:                              ;   in Loop: Header=BB55_5 Depth=1
	v_add_nc_u64_e32 v[58:59], v[46:47], v[24:25]
	v_add_nc_u64_e32 v[64:65], v[48:49], v[24:25]
	global_load_b32 v7, v[58:59], off
	global_load_b32 v15, v[64:65], off
	s_wait_xcnt 0x0
	s_or_b32 exec_lo, exec_lo, s20
	s_and_saveexec_b32 s20, s2
	s_cbranch_execz .LBB55_37
.LBB55_44:                              ;   in Loop: Header=BB55_5 Depth=1
	v_add_nc_u64_e32 v[58:59], v[42:43], v[24:25]
	v_add_nc_u64_e32 v[64:65], v[44:45], v[24:25]
	global_load_b32 v8, v[58:59], off
	global_load_b32 v16, v[64:65], off
	s_wait_xcnt 0x0
	s_or_b32 exec_lo, exec_lo, s20
	s_and_saveexec_b32 s20, s2
	s_cbranch_execz .LBB55_38
.LBB55_45:                              ;   in Loop: Header=BB55_5 Depth=1
	v_add_nc_u64_e32 v[58:59], v[38:39], v[24:25]
	v_add_nc_u64_e32 v[64:65], v[40:41], v[24:25]
	global_load_b32 v9, v[58:59], off
	global_load_b32 v17, v[64:65], off
	s_wait_xcnt 0x0
	s_or_b32 exec_lo, exec_lo, s20
	s_and_saveexec_b32 s20, s2
	s_cbranch_execz .LBB55_39
.LBB55_46:                              ;   in Loop: Header=BB55_5 Depth=1
	v_add_nc_u64_e32 v[58:59], v[34:35], v[24:25]
	v_add_nc_u64_e32 v[64:65], v[36:37], v[24:25]
	global_load_b32 v10, v[58:59], off
	global_load_b32 v18, v[64:65], off
	s_wait_xcnt 0x0
	s_or_b32 exec_lo, exec_lo, s20
	s_and_saveexec_b32 s20, s2
	s_cbranch_execz .LBB55_3
.LBB55_47:                              ;   in Loop: Header=BB55_5 Depth=1
	v_add_nc_u64_e32 v[58:59], v[30:31], v[24:25]
	v_add_nc_u64_e32 v[64:65], v[32:33], v[24:25]
	global_load_b32 v11, v[58:59], off
	global_load_b32 v19, v[64:65], off
	s_branch .LBB55_3
.LBB55_48:
                                        ; implicit-def: $vgpr21
	s_branch .LBB55_50
.LBB55_49:
	s_cbranch_execnz .LBB55_81
.LBB55_50:
	v_mov_b32_e32 v21, 0
	s_and_not1_b32 vcc_lo, exec_lo, s17
	s_delay_alu instid0(VALU_DEP_1)
	v_mov_b32_e32 v20, v21
	s_cbranch_vccnz .LBB55_81
; %bb.51:
	v_bfe_u32 v1, v0, 10, 10
	v_mov_b32_e32 v2, 0
	v_and_b32_e32 v88, 0x3ff, v0
	s_load_b32 s2, s[0:1], 0x44
	s_mov_b64 s[22:23], 0xffffffffffffffc3
	s_delay_alu instid0(VALU_DEP_2) | instskip(SKIP_3) | instid1(VALU_DEP_2)
	v_dual_mov_b32 v5, v2 :: v_dual_lshlrev_b32 v4, 5, v1
	v_dual_mov_b32 v23, v2 :: v_dual_lshlrev_b32 v22, 3, v1
	s_mov_b64 s[24:25], 0xffffffffffffffc4
	s_mov_b64 s[26:27], 0xffffffffffffffc5
	v_lshl_add_u64 v[4:5], s[18:19], 2, v[4:5]
	s_mov_b64 s[28:29], 0xffffffffffffffc6
	v_add_nc_u64_e32 v[8:9], s[18:19], v[22:23]
	s_mov_b64 s[30:31], 0xffffffffffffffc7
	s_mov_b64 s[34:35], 0xffffffffffffffc8
	v_add_nc_u64_e32 v[6:7], 4, v[4:5]
	v_add_nc_u64_e32 v[10:11], 8, v[4:5]
	;; [unrolled: 1-line block ×4, first 2 shown]
	v_mul_u64_e32 v[20:21], s[6:7], v[8:9]
	v_add_nc_u64_e32 v[44:45], 4, v[8:9]
	v_add_nc_u64_e32 v[16:17], 20, v[4:5]
	v_mad_nc_u64_u32 v[24:25], s6, v6, s[8:9]
	v_mul_lo_u32 v3, s6, v7
	v_mul_lo_u32 v42, s7, v6
	v_mad_nc_u64_u32 v[34:35], s6, v6, s[10:11]
	v_add_nc_u64_e32 v[6:7], 7, v[8:9]
	v_mad_nc_u64_u32 v[26:27], s6, v10, s[8:9]
	v_mul_lo_u32 v43, s6, v11
	v_mul_lo_u32 v46, s7, v10
	v_mad_nc_u64_u32 v[36:37], s6, v10, s[10:11]
	v_mad_nc_u64_u32 v[28:29], s6, v12, s[8:9]
	v_mul_lo_u32 v52, s6, v13
	v_mul_lo_u32 v53, s7, v12
	v_mad_nc_u64_u32 v[40:41], s6, v12, s[10:11]
	v_add_nc_u64_e32 v[10:11], 6, v[8:9]
	v_mul_u64_e32 v[6:7], s[6:7], v[6:7]
	v_add_nc_u64_e32 v[12:13], 5, v[8:9]
	v_mad_nc_u64_u32 v[30:31], s6, v14, s[8:9]
	v_mul_lo_u32 v54, s6, v15
	v_mul_lo_u32 v55, s7, v14
	v_add3_u32 v25, v42, v25, v3
	v_add3_u32 v27, v46, v27, v43
	;; [unrolled: 1-line block ×3, first 2 shown]
	v_mul_u64_e32 v[10:11], s[6:7], v[10:11]
	v_add3_u32 v37, v46, v37, v43
	v_mad_nc_u64_u32 v[42:43], s6, v14, s[10:11]
	v_add_nc_u64_e32 v[14:15], 3, v[8:9]
	v_add_nc_u64_e32 v[8:9], 2, v[8:9]
	v_mul_u64_e32 v[12:13], s[6:7], v[12:13]
	v_mul_u64_e32 v[62:63], s[6:7], v[44:45]
	v_add_nc_u64_e32 v[18:19], 24, v[4:5]
	v_add_nc_u64_e32 v[4:5], 28, v[4:5]
	v_mad_nc_u64_u32 v[32:33], s6, v16, s[8:9]
	v_mul_u64_e32 v[14:15], s[6:7], v[14:15]
	v_mul_u64_e32 v[8:9], s[6:7], v[8:9]
	v_mul_lo_u32 v17, s6, v17
	v_mul_lo_u32 v56, s7, v16
	v_mad_nc_u64_u32 v[44:45], s6, v16, s[10:11]
	v_mad_nc_u64_u32 v[46:47], s6, v4, s[8:9]
	v_mul_lo_u32 v3, s6, v5
	v_mul_lo_u32 v16, s7, v4
	v_mad_nc_u64_u32 v[50:51], s6, v4, s[10:11]
	v_dual_mov_b32 v5, v2 :: v_dual_add_nc_u32 v4, s3, v88
	v_add3_u32 v29, v53, v29, v52
	v_add3_u32 v41, v53, v41, v52
	v_mad_nc_u64_u32 v[38:39], s6, v18, s[8:9]
	v_lshlrev_b64_e32 v[6:7], 2, v[6:7]
	v_add3_u32 v33, v56, v33, v17
	v_add3_u32 v45, v56, v45, v17
	v_mul_lo_u32 v19, s6, v19
	v_add3_u32 v47, v16, v47, v3
	v_add3_u32 v51, v16, v51, v3
	v_lshlrev_b64_e32 v[16:17], 2, v[20:21]
	v_add_nc_u64_e32 v[58:59], s[8:9], v[6:7]
	v_add_nc_u64_e32 v[60:61], s[10:11], v[6:7]
	v_mul_lo_u32 v57, s7, v18
	v_mad_nc_u64_u32 v[48:49], s6, v18, s[10:11]
	s_mov_b32 s3, 0
	v_add3_u32 v31, v55, v31, v54
	v_lshlrev_b64_e32 v[6:7], 2, v[12:13]
	v_add_nc_u64_e32 v[12:13], s[6:7], v[20:21]
	v_mov_b32_e32 v20, 0
	v_lshlrev_b64_e32 v[52:53], 2, v[4:5]
	v_lshlrev_b64_e32 v[4:5], 2, v[10:11]
	;; [unrolled: 1-line block ×4, first 2 shown]
	v_add_nc_u64_e32 v[66:67], s[8:9], v[6:7]
	v_add_nc_u64_e32 v[68:69], s[10:11], v[6:7]
	v_lshlrev_b64_e32 v[6:7], 2, v[12:13]
	v_add3_u32 v43, v55, v43, v54
	v_add_nc_u64_e32 v[62:63], s[8:9], v[4:5]
	v_add_nc_u64_e32 v[64:65], s[10:11], v[4:5]
	v_lshlrev_b64_e32 v[4:5], 2, v[14:15]
	v_add3_u32 v39, v57, v39, v19
	v_add3_u32 v49, v57, v49, v19
	v_add_nc_u64_e32 v[54:55], s[8:9], v[16:17]
	v_add_nc_u64_e32 v[56:57], s[10:11], v[16:17]
	;; [unrolled: 1-line block ×10, first 2 shown]
	s_wait_kmcnt 0x0
	s_lshl_b32 s20, s2, 6
	s_mov_b32 s21, s3
	v_mov_b32_e32 v21, v2
	s_mul_u64 s[38:39], s[6:7], s[20:21]
	s_mov_b64 s[8:9], 0xffffffffffffffc1
	s_mov_b64 s[10:11], 0xffffffffffffffc2
	s_add_nc_u64 s[36:37], s[0:1], 64
	s_lshl_b64 s[38:39], s[38:39], 2
	s_add_nc_u64 s[40:41], s[18:19], 63
	s_branch .LBB55_55
.LBB55_52:                              ;   in Loop: Header=BB55_55 Depth=1
	s_wait_xcnt 0x0
	s_or_b32 exec_lo, exec_lo, s17
.LBB55_53:                              ;   in Loop: Header=BB55_55 Depth=1
	s_delay_alu instid0(SALU_CYCLE_1)
	s_or_b32 exec_lo, exec_lo, s2
	v_add_nc_u64_e32 v[4:5], v[56:57], v[52:53]
	v_add_nc_u64_e32 v[8:9], v[34:35], v[52:53]
	;; [unrolled: 1-line block ×6, first 2 shown]
	s_wait_loadcnt 0x0
	ds_bpermute_b32 v93, v2, v3 offset:4
	global_load_b32 v16, v[4:5], off
	s_wait_xcnt 0x0
	v_add_nc_u64_e32 v[4:5], v[36:37], v[52:53]
	global_load_b32 v18, v[8:9], off
	global_load_b32 v17, v[10:11], off
	s_wait_xcnt 0x1
	v_add_nc_u64_e32 v[8:9], v[26:27], v[52:53]
	s_wait_xcnt 0x0
	v_add_nc_u64_e32 v[10:11], v[28:29], v[52:53]
	ds_bpermute_b32 v94, v2, v6 offset:16
	ds_bpermute_b32 v95, v2, v3 offset:8
	global_load_b32 v86, v[4:5], off
	global_load_b32 v7, v[12:13], off
	s_wait_xcnt 0x1
	v_add_nc_u64_e32 v[4:5], v[42:43], v[52:53]
	global_load_b32 v12, v[14:15], off
	global_load_b32 v13, v[8:9], off
	s_wait_xcnt 0x0
	v_add_nc_u64_e32 v[8:9], v[44:45], v[52:53]
	v_add_nc_u64_e32 v[14:15], v[30:31], v[52:53]
	ds_bpermute_b32 v96, v2, v6 offset:20
	global_load_b32 v89, v[4:5], off
	global_load_b32 v19, v[10:11], off
	s_wait_xcnt 0x1
	v_add_nc_u64_e32 v[4:5], v[48:49], v[52:53]
	s_wait_xcnt 0x0
	v_add_nc_u64_e32 v[10:11], v[32:33], v[52:53]
	global_load_b32 v92, v[8:9], off
	global_load_b32 v87, v[14:15], off
	s_wait_xcnt 0x1
	v_add_nc_u64_e32 v[8:9], v[38:39], v[52:53]
	global_load_b32 v14, v[4:5], off
	global_load_b32 v15, v[10:11], off
	s_wait_xcnt 0x1
	v_add_nc_u64_e32 v[4:5], v[50:51], v[52:53]
	s_wait_xcnt 0x0
	ds_bpermute_b32 v10, v2, v6 offset:8
	global_load_b32 v9, v[8:9], off
	global_load_b32 v8, v[4:5], off
	;; [unrolled: 1-line block ×3, first 2 shown]
	s_wait_xcnt 0x1
	ds_bpermute_b32 v4, v2, v6
	ds_bpermute_b32 v5, v2, v6 offset:4
	s_wait_xcnt 0x0
	ds_bpermute_b32 v90, v2, v3
	ds_bpermute_b32 v91, v2, v6 offset:12
	ds_bpermute_b32 v97, v2, v3 offset:12
	;; [unrolled: 1-line block ×5, first 2 shown]
	s_wait_loadcnt_dscnt 0xe06
	v_dual_sub_f32 v4, v16, v4 :: v_dual_sub_f32 v5, v18, v5
	s_wait_loadcnt 0xc
	s_delay_alu instid0(VALU_DEP_1) | instskip(SKIP_1) | instid1(VALU_DEP_2)
	v_dual_mul_f32 v4, v17, v4 :: v_dual_sub_f32 v10, v86, v10
	s_wait_loadcnt_dscnt 0xa04
	v_dual_mul_f32 v5, v7, v5 :: v_dual_sub_f32 v12, v12, v91
	s_delay_alu instid0(VALU_DEP_2)
	v_mul_f32_e32 v16, v4, v90
	ds_bpermute_b32 v90, v2, v6 offset:28
	s_wait_loadcnt 0x9
	v_mul_f32_e32 v10, v13, v10
	v_mul_f32_e32 v6, v5, v93
	v_pk_add_f32 v[4:5], v[20:21], v[16:17]
	ds_bpermute_b32 v16, v2, v3 offset:24
	s_wait_loadcnt 0x7
	v_dual_sub_f32 v17, v89, v94 :: v_dual_mul_f32 v18, v19, v12
	v_mul_f32_e32 v12, v10, v95
	v_pk_add_f32 v[4:5], v[4:5], v[6:7]
	s_wait_loadcnt 0x5
	s_delay_alu instid0(VALU_DEP_3)
	v_dual_sub_f32 v6, v92, v96 :: v_dual_mul_f32 v7, v87, v17
	s_wait_dscnt 0x5
	v_mul_f32_e32 v18, v18, v97
	ds_bpermute_b32 v3, v2, v3 offset:28
	v_pk_add_f32 v[4:5], v[4:5], v[12:13]
	s_wait_loadcnt_dscnt 0x404
	v_dual_sub_f32 v10, v14, v98 :: v_dual_mul_f32 v86, v7, v99
	s_wait_loadcnt 0x3
	v_mul_f32_e32 v6, v15, v6
	v_pk_add_f32 v[4:5], v[4:5], v[18:19]
	s_wait_loadcnt_dscnt 0x203
	s_delay_alu instid0(VALU_DEP_2)
	v_dual_mul_f32 v7, v9, v10 :: v_dual_mul_f32 v14, v6, v100
	s_wait_loadcnt_dscnt 0x102
	v_sub_f32_e32 v6, v8, v90
	v_pk_add_f32 v[4:5], v[4:5], v[86:87]
	s_wait_dscnt 0x1
	v_mul_f32_e32 v8, v7, v16
	s_wait_loadcnt 0x0
	v_mul_f32_e32 v6, v11, v6
	v_pk_add_f32 v[4:5], v[4:5], v[14:15]
	s_wait_dscnt 0x0
	s_delay_alu instid0(VALU_DEP_2) | instskip(NEXT) | instid1(VALU_DEP_2)
	v_mul_f32_e32 v10, v6, v3
	v_pk_add_f32 v[4:5], v[4:5], v[8:9]
.LBB55_54:                              ;   in Loop: Header=BB55_55 Depth=1
	s_add_nc_u64 s[18:19], s[18:19], s[20:21]
	v_add_nc_u64_e32 v[54:55], s[38:39], v[54:55]
	v_cmp_ge_i64_e64 s2, s[18:19], s[4:5]
	v_add_nc_u64_e32 v[56:57], s[38:39], v[56:57]
	v_add_nc_u64_e32 v[24:25], s[38:39], v[24:25]
	;; [unrolled: 1-line block ×29, first 2 shown]
	v_pk_add_f32 v[20:21], v[4:5], v[10:11]
	s_and_b32 vcc_lo, exec_lo, s2
	s_add_nc_u64 s[40:41], s[40:41], s[20:21]
	s_cbranch_vccnz .LBB55_81
.LBB55_55:                              ; =>This Inner Loop Header: Depth=1
	v_cmp_ge_i64_e64 s2, s[40:41], s[4:5]
	v_add_nc_u64_e32 v[86:87], s[40:41], v[22:23]
                                        ; implicit-def: $vgpr4_vgpr5
                                        ; implicit-def: $vgpr10_vgpr11
	s_and_b32 vcc_lo, exec_lo, s2
	s_mov_b32 s2, -1
	s_cbranch_vccz .LBB55_77
; %bb.56:                               ;   in Loop: Header=BB55_55 Depth=1
	s_load_b32 s2, s[36:37], 0xc
	v_dual_mov_b32 v90, 0 :: v_dual_mov_b32 v89, 0
	s_wait_kmcnt 0x0
	s_and_b32 s2, s2, 0xffff
	s_delay_alu instid0(SALU_CYCLE_1) | instskip(SKIP_1) | instid1(VALU_DEP_1)
	v_mad_u32_u24 v3, v1, s2, v88
	s_mov_b32 s2, exec_lo
	v_and_b32_e32 v4, 31, v3
	s_delay_alu instid0(VALU_DEP_1)
	v_cmpx_gt_u32_e32 8, v4
	s_cbranch_execz .LBB55_60
; %bb.57:                               ;   in Loop: Header=BB55_55 Depth=1
	v_dual_mov_b32 v5, v2 :: v_dual_mov_b32 v90, 0
	v_mov_b32_e32 v89, 0
	s_mov_b32 s17, exec_lo
	s_delay_alu instid0(VALU_DEP_2) | instskip(NEXT) | instid1(VALU_DEP_1)
	v_add_nc_u64_e32 v[4:5], v[86:87], v[4:5]
	v_add_nc_u64_e32 v[4:5], s[8:9], v[4:5]
	s_delay_alu instid0(VALU_DEP_1)
	v_cmpx_gt_i64_e64 s[4:5], v[4:5]
	s_cbranch_execz .LBB55_59
; %bb.58:                               ;   in Loop: Header=BB55_55 Depth=1
	v_lshlrev_b64_e32 v[4:5], 2, v[4:5]
	s_delay_alu instid0(VALU_DEP_1)
	v_add_nc_u64_e32 v[6:7], s[12:13], v[4:5]
	v_add_nc_u64_e32 v[4:5], s[14:15], v[4:5]
	global_load_b32 v90, v[6:7], off
	global_load_b32 v89, v[4:5], off
.LBB55_59:                              ;   in Loop: Header=BB55_55 Depth=1
	s_wait_xcnt 0x0
	s_or_b32 exec_lo, exec_lo, s17
.LBB55_60:                              ;   in Loop: Header=BB55_55 Depth=1
	s_delay_alu instid0(SALU_CYCLE_1)
	s_or_b32 exec_lo, exec_lo, s2
	v_add_nc_u64_e32 v[10:11], s[8:9], v[86:87]
	v_dual_mov_b32 v7, v2 :: v_dual_mov_b32 v8, v2
	v_dual_mov_b32 v9, v2 :: v_dual_mov_b32 v3, v2
	;; [unrolled: 1-line block ×3, first 2 shown]
	v_mov_b32_e32 v6, v2
	s_delay_alu instid0(VALU_DEP_3)
	v_mov_b64_e32 v[18:19], v[8:9]
	v_cmp_gt_i64_e32 vcc_lo, s[4:5], v[10:11]
	v_mov_b64_e32 v[12:13], v[2:3]
	v_mov_b64_e32 v[14:15], v[4:5]
	;; [unrolled: 1-line block ×7, first 2 shown]
	s_and_saveexec_b32 s2, vcc_lo
	s_cbranch_execz .LBB55_62
; %bb.61:                               ;   in Loop: Header=BB55_55 Depth=1
	v_add_nc_u64_e32 v[6:7], v[54:55], v[52:53]
	v_add_nc_u64_e32 v[8:9], v[56:57], v[52:53]
	v_dual_mov_b32 v5, v2 :: v_dual_mov_b32 v11, v2
	v_dual_mov_b32 v13, v2 :: v_dual_mov_b32 v14, v2
	v_mov_b32_e32 v15, v2
	global_load_b32 v4, v[6:7], off
	global_load_b32 v12, v[8:9], off
	s_wait_xcnt 0x1
	v_dual_mov_b32 v6, v2 :: v_dual_mov_b32 v7, v2
	s_wait_xcnt 0x0
	v_dual_mov_b32 v8, v2 :: v_dual_mov_b32 v9, v2
	v_dual_mov_b32 v10, v2 :: v_dual_mov_b32 v16, v2
	v_dual_mov_b32 v17, v2 :: v_dual_mov_b32 v18, v2
	v_mov_b32_e32 v19, v2
.LBB55_62:                              ;   in Loop: Header=BB55_55 Depth=1
	s_or_b32 exec_lo, exec_lo, s2
	v_add_nc_u64_e32 v[92:93], s[10:11], v[86:87]
	s_mov_b32 s2, exec_lo
	s_delay_alu instid0(VALU_DEP_1)
	v_cmpx_gt_i64_e64 s[4:5], v[92:93]
	s_cbranch_execz .LBB55_64
; %bb.63:                               ;   in Loop: Header=BB55_55 Depth=1
	v_add_nc_u64_e32 v[92:93], v[82:83], v[52:53]
	v_add_nc_u64_e32 v[94:95], v[84:85], v[52:53]
	global_load_b32 v5, v[92:93], off
	global_load_b32 v13, v[94:95], off
.LBB55_64:                              ;   in Loop: Header=BB55_55 Depth=1
	s_wait_xcnt 0x0
	s_or_b32 exec_lo, exec_lo, s2
	v_add_nc_u64_e32 v[92:93], s[22:23], v[86:87]
	s_mov_b32 s2, exec_lo
	s_delay_alu instid0(VALU_DEP_1)
	v_cmpx_gt_i64_e64 s[4:5], v[92:93]
	s_cbranch_execz .LBB55_66
; %bb.65:                               ;   in Loop: Header=BB55_55 Depth=1
	v_add_nc_u64_e32 v[92:93], v[78:79], v[52:53]
	v_add_nc_u64_e32 v[94:95], v[80:81], v[52:53]
	global_load_b32 v6, v[92:93], off
	global_load_b32 v14, v[94:95], off
.LBB55_66:                              ;   in Loop: Header=BB55_55 Depth=1
	s_wait_xcnt 0x0
	;; [unrolled: 13-line block ×7, first 2 shown]
	s_or_b32 exec_lo, exec_lo, s2
	s_wait_loadcnt 0x1
	ds_bpermute_b32 v3, v2, v90
	ds_bpermute_b32 v92, v2, v90 offset:4
	ds_bpermute_b32 v94, v2, v90 offset:8
	s_wait_loadcnt 0x0
	ds_bpermute_b32 v96, v2, v89
	ds_bpermute_b32 v97, v2, v90 offset:12
	ds_bpermute_b32 v98, v2, v89 offset:4
	;; [unrolled: 1-line block ×7, first 2 shown]
	v_dual_mov_b32 v93, v4 :: v_dual_mov_b32 v91, v6
	ds_bpermute_b32 v105, v2, v90 offset:24
	ds_bpermute_b32 v103, v2, v89 offset:20
	s_mov_b32 s2, 0
	s_wait_dscnt 0xc
	v_dual_mov_b32 v95, v5 :: v_dual_sub_f32 v3, v12, v3
	s_wait_dscnt 0xb
	v_dual_sub_f32 v12, v13, v92 :: v_dual_mov_b32 v13, v7
	s_wait_dscnt 0xa
	s_delay_alu instid0(VALU_DEP_2) | instskip(SKIP_1) | instid1(VALU_DEP_2)
	v_dual_mul_f32 v3, v4, v3 :: v_dual_sub_f32 v4, v14, v94
	s_wait_dscnt 0x8
	v_dual_mul_f32 v5, v5, v12 :: v_dual_sub_f32 v12, v15, v97
	ds_bpermute_b32 v14, v2, v90 offset:28
	v_mul_f32_e32 v92, v3, v96
	s_wait_dscnt 0x6
	v_dual_mul_f32 v6, v6, v4 :: v_dual_sub_f32 v15, v16, v102
	v_mul_f32_e32 v94, v5, v98
	ds_bpermute_b32 v3, v2, v89 offset:24
	v_pk_add_f32 v[4:5], v[20:21], v[92:93]
	v_dual_mul_f32 v12, v7, v12 :: v_dual_mul_f32 v90, v6, v99
	s_wait_dscnt 0x5
	v_dual_mov_b32 v7, v8 :: v_dual_sub_f32 v6, v17, v104
	s_delay_alu instid0(VALU_DEP_3) | instskip(SKIP_2) | instid1(VALU_DEP_3)
	v_pk_add_f32 v[4:5], v[94:95], v[4:5]
	s_wait_dscnt 0x3
	v_dual_mul_f32 v8, v8, v15 :: v_dual_sub_f32 v16, v18, v105
	v_dual_mul_f32 v12, v12, v100 :: v_dual_mul_f32 v17, v9, v6
	s_delay_alu instid0(VALU_DEP_3)
	v_pk_add_f32 v[4:5], v[90:91], v[4:5]
	ds_bpermute_b32 v15, v2, v89 offset:28
	s_wait_dscnt 0x3
	v_dual_mul_f32 v6, v8, v101 :: v_dual_mul_f32 v8, v17, v103
	v_pk_add_f32 v[4:5], v[12:13], v[4:5]
	s_wait_dscnt 0x2
	v_dual_mul_f32 v12, v10, v16 :: v_dual_sub_f32 v13, v19, v14
	s_delay_alu instid0(VALU_DEP_2) | instskip(SKIP_1) | instid1(VALU_DEP_2)
	v_pk_add_f32 v[4:5], v[6:7], v[4:5]
	s_wait_dscnt 0x1
	v_dual_mov_b32 v7, v10 :: v_dual_mul_f32 v6, v12, v3
	s_delay_alu instid0(VALU_DEP_3) | instskip(NEXT) | instid1(VALU_DEP_3)
	v_mul_f32_e32 v3, v11, v13
	v_pk_add_f32 v[4:5], v[8:9], v[4:5]
	s_delay_alu instid0(VALU_DEP_1) | instskip(SKIP_1) | instid1(VALU_DEP_3)
	v_pk_add_f32 v[4:5], v[6:7], v[4:5]
	s_wait_dscnt 0x0
	v_mul_f32_e32 v10, v3, v15
.LBB55_77:                              ;   in Loop: Header=BB55_55 Depth=1
	s_and_b32 vcc_lo, exec_lo, s2
	s_cbranch_vccz .LBB55_54
; %bb.78:                               ;   in Loop: Header=BB55_55 Depth=1
	s_load_b32 s2, s[36:37], 0x0
	v_mov_b32_e32 v6, 0
	s_wait_kmcnt 0x0
	s_cmp_lt_u32 s16, s2
	s_cselect_b32 s2, 12, 18
	s_delay_alu instid0(SALU_CYCLE_1) | instskip(SKIP_4) | instid1(VALU_DEP_1)
	s_add_nc_u64 s[42:43], s[36:37], s[2:3]
	s_load_u16 s2, s[42:43], 0x0
	s_wait_kmcnt 0x0
	v_mad_u32_u24 v3, v1, s2, v88
	s_mov_b32 s2, exec_lo
	v_dual_mov_b32 v3, 0 :: v_dual_bitop2_b32 v4, 31, v3 bitop3:0x40
	s_delay_alu instid0(VALU_DEP_1)
	v_cmpx_gt_u32_e32 8, v4
	s_cbranch_execz .LBB55_53
; %bb.79:                               ;   in Loop: Header=BB55_55 Depth=1
	v_dual_mov_b32 v5, v2 :: v_dual_mov_b32 v6, 0
	v_mov_b32_e32 v3, 0
	s_mov_b32 s17, exec_lo
	s_delay_alu instid0(VALU_DEP_2) | instskip(NEXT) | instid1(VALU_DEP_1)
	v_add_nc_u64_e32 v[4:5], v[86:87], v[4:5]
	v_add_nc_u64_e32 v[4:5], s[8:9], v[4:5]
	s_delay_alu instid0(VALU_DEP_1)
	v_cmpx_gt_i64_e64 s[4:5], v[4:5]
	s_cbranch_execz .LBB55_52
; %bb.80:                               ;   in Loop: Header=BB55_55 Depth=1
	v_lshlrev_b64_e32 v[4:5], 2, v[4:5]
	s_delay_alu instid0(VALU_DEP_1)
	v_add_nc_u64_e32 v[8:9], s[12:13], v[4:5]
	v_add_nc_u64_e32 v[4:5], s[14:15], v[4:5]
	global_load_b32 v6, v[8:9], off
	global_load_b32 v3, v[4:5], off
	s_branch .LBB55_52
.LBB55_81:
	v_and_b32_e32 v1, 0x3ff, v0
	v_bfe_u32 v0, v0, 10, 10
	s_mov_b32 s2, exec_lo
	s_delay_alu instid0(VALU_DEP_1) | instskip(NEXT) | instid1(VALU_DEP_1)
	v_mad_u32_u24 v2, 0x41, v0, v1
	v_lshl_add_u32 v3, v2, 2, 0
	v_sub_nc_u32_e32 v6, v2, v0
	ds_store_b32 v3, v20
	ds_store_b32 v3, v21 offset:2080
	s_wait_dscnt 0x0
	s_barrier_signal -1
	s_barrier_wait -1
	v_cmpx_gt_u32_e32 0x800, v6
	s_cbranch_execz .LBB55_113
; %bb.82:
	s_load_b128 s[8:11], s[0:1], 0x30
	v_dual_lshrrev_b32 v0, 5, v6 :: v_dual_bitop2_b32 v2, 31, v1 bitop3:0x40
	s_delay_alu instid0(VALU_DEP_1)
	v_cmp_lt_u32_e64 s2, 7, v2
	s_wait_xcnt 0x0
	v_cmp_gt_u32_e64 s0, 8, v2
	v_mul_u32_u24_e32 v7, 0x41, v2
                                        ; implicit-def: $vgpr2
	s_and_saveexec_b32 s1, s0
	s_cbranch_execz .LBB55_84
; %bb.83:
	s_delay_alu instid0(VALU_DEP_1) | instskip(NEXT) | instid1(VALU_DEP_1)
	v_add_nc_u32_e32 v2, v0, v7
	v_lshl_add_u32 v2, v2, 2, 0
	ds_load_b32 v3, v2
	ds_load_b32 v2, v2 offset:2080
.LBB55_84:
	s_or_b32 exec_lo, exec_lo, s1
	v_mbcnt_lo_u32_b32 v10, -1, 0
	s_mov_b32 s17, 0
	v_cmp_eq_u32_e64 s1, 0, v1
	s_lshl_b64 s[4:5], s[16:17], 6
	s_wait_kmcnt 0x0
	s_cmp_lg_u64 s[8:9], 0
	v_xor_b32_e32 v9, 2, v10
	v_xor_b32_e32 v4, 4, v10
	s_cselect_b32 s12, -1, 0
	s_cmp_lg_u64 s[10:11], 0
	v_xor_b32_e32 v11, 1, v10
	s_cselect_b32 s3, -1, 0
	v_cmp_gt_i32_e32 vcc_lo, 32, v4
	v_dual_mov_b32 v1, 0 :: v_dual_cndmask_b32 v4, v10, v4
	v_cmp_gt_i32_e32 vcc_lo, 32, v9
	v_cndmask_b32_e32 v9, v10, v9, vcc_lo
	v_cmp_gt_i32_e32 vcc_lo, 32, v11
	s_delay_alu instid0(VALU_DEP_2)
	v_dual_lshlrev_b32 v9, 2, v9 :: v_dual_lshlrev_b32 v8, 2, v4
	v_cndmask_b32_e32 v10, v10, v11, vcc_lo
	s_wait_dscnt 0x1
	ds_bpermute_b32 v5, v8, v3
	s_wait_dscnt 0x1
	ds_bpermute_b32 v4, v8, v2
	v_lshlrev_b32_e32 v10, 2, v10
	s_wait_dscnt 0x0
	v_pk_add_f32 v[2:3], v[2:3], v[4:5]
	ds_bpermute_b32 v5, v9, v3
	ds_bpermute_b32 v4, v9, v2
	s_wait_dscnt 0x0
	v_pk_add_f32 v[2:3], v[2:3], v[4:5]
	v_dual_mov_b32 v5, s5 :: v_dual_bitop2_b32 v4, s4, v0 bitop3:0x54
	ds_bpermute_b32 v13, v10, v3
	ds_bpermute_b32 v12, v10, v2
	v_cmp_gt_i64_e32 vcc_lo, s[6:7], v[4:5]
	s_and_b32 s14, s1, vcc_lo
	s_wait_dscnt 0x0
	v_pk_add_f32 v[2:3], v[2:3], v[12:13]
	s_and_saveexec_b32 s13, s14
	s_cbranch_execz .LBB55_89
; %bb.85:
	s_and_not1_b32 vcc_lo, exec_lo, s12
	s_cbranch_vccnz .LBB55_87
; %bb.86:
	v_lshl_add_u64 v[12:13], v[4:5], 2, s[8:9]
	global_store_b32 v[12:13], v3, off
.LBB55_87:
	s_and_not1_b32 vcc_lo, exec_lo, s3
	s_cbranch_vccnz .LBB55_89
; %bb.88:
	v_lshl_add_u64 v[4:5], v[4:5], 2, s[10:11]
	global_store_b32 v[4:5], v2, off
.LBB55_89:
	s_wait_xcnt 0x0
	s_or_b32 exec_lo, exec_lo, s13
	v_cmp_gt_u32_e32 vcc_lo, 0x600, v6
	s_and_b32 exec_lo, exec_lo, vcc_lo
	s_cbranch_execz .LBB55_113
; %bb.90:
	s_and_saveexec_b32 s13, s2
	s_delay_alu instid0(SALU_CYCLE_1) | instskip(NEXT) | instid1(SALU_CYCLE_1)
	s_xor_b32 s13, exec_lo, s13
	s_and_not1_saveexec_b32 s13, s13
	s_cbranch_execz .LBB55_92
; %bb.91:
	v_add_nc_u32_e32 v2, v0, v7
	s_delay_alu instid0(VALU_DEP_1)
	v_lshl_add_u32 v2, v2, 2, 0
	ds_load_b32 v3, v2 offset:64
	ds_load_b32 v2, v2 offset:2144
.LBB55_92:
	s_or_b32 exec_lo, exec_lo, s13
	s_wait_dscnt 0x1
	ds_bpermute_b32 v5, v8, v3
	s_wait_dscnt 0x1
	ds_bpermute_b32 v4, v8, v2
	v_dual_mov_b32 v13, 0 :: v_dual_add_nc_u32 v12, 16, v0
	s_delay_alu instid0(VALU_DEP_1) | instskip(NEXT) | instid1(VALU_DEP_1)
	v_add_nc_u64_e32 v[12:13], s[4:5], v[12:13]
	v_cmp_gt_i64_e32 vcc_lo, s[6:7], v[12:13]
	s_wait_dscnt 0x0
	v_pk_add_f32 v[2:3], v[2:3], v[4:5]
	s_and_b32 s14, s1, vcc_lo
	ds_bpermute_b32 v5, v9, v3
	ds_bpermute_b32 v4, v9, v2
	s_wait_dscnt 0x0
	v_pk_add_f32 v[2:3], v[2:3], v[4:5]
	ds_bpermute_b32 v5, v10, v3
	ds_bpermute_b32 v4, v10, v2
	s_wait_dscnt 0x0
	v_pk_add_f32 v[2:3], v[2:3], v[4:5]
	s_and_saveexec_b32 s13, s14
	s_cbranch_execz .LBB55_97
; %bb.93:
	s_and_not1_b32 vcc_lo, exec_lo, s12
	s_cbranch_vccnz .LBB55_95
; %bb.94:
	v_add_nc_u64_e32 v[4:5], s[4:5], v[0:1]
	s_delay_alu instid0(VALU_DEP_1)
	v_lshl_add_u64 v[4:5], v[4:5], 2, s[8:9]
	global_store_b32 v[4:5], v3, off offset:64
.LBB55_95:
	s_and_not1_b32 vcc_lo, exec_lo, s3
	s_cbranch_vccnz .LBB55_97
; %bb.96:
	s_wait_xcnt 0x0
	v_add_nc_u64_e32 v[4:5], s[4:5], v[0:1]
	s_delay_alu instid0(VALU_DEP_1)
	v_lshl_add_u64 v[4:5], v[4:5], 2, s[10:11]
	global_store_b32 v[4:5], v2, off offset:64
.LBB55_97:
	s_wait_xcnt 0x0
	s_or_b32 exec_lo, exec_lo, s13
	v_cmp_gt_u32_e32 vcc_lo, 0x400, v6
	s_and_b32 exec_lo, exec_lo, vcc_lo
	s_cbranch_execz .LBB55_113
; %bb.98:
	s_and_saveexec_b32 s13, s2
	s_delay_alu instid0(SALU_CYCLE_1) | instskip(NEXT) | instid1(SALU_CYCLE_1)
	s_xor_b32 s2, exec_lo, s13
	s_and_not1_saveexec_b32 s2, s2
	s_cbranch_execz .LBB55_100
; %bb.99:
	v_add_nc_u32_e32 v2, v0, v7
	s_delay_alu instid0(VALU_DEP_1)
	v_lshl_add_u32 v2, v2, 2, 0
	ds_load_b32 v3, v2 offset:128
	ds_load_b32 v2, v2 offset:2208
.LBB55_100:
	s_or_b32 exec_lo, exec_lo, s2
	s_wait_dscnt 0x1
	ds_bpermute_b32 v5, v8, v3
	s_wait_dscnt 0x1
	ds_bpermute_b32 v4, v8, v2
	v_dual_add_nc_u32 v11, 32, v0 :: v_dual_mov_b32 v13, s5
	s_delay_alu instid0(VALU_DEP_1) | instskip(NEXT) | instid1(VALU_DEP_1)
	v_or_b32_e32 v12, s4, v11
	v_cmp_gt_i64_e32 vcc_lo, s[6:7], v[12:13]
	s_and_b32 s13, s1, vcc_lo
	s_wait_dscnt 0x0
	v_pk_add_f32 v[2:3], v[2:3], v[4:5]
	ds_bpermute_b32 v5, v9, v3
	ds_bpermute_b32 v4, v9, v2
	s_wait_dscnt 0x0
	v_pk_add_f32 v[2:3], v[2:3], v[4:5]
	ds_bpermute_b32 v5, v10, v3
	ds_bpermute_b32 v4, v10, v2
	s_wait_dscnt 0x0
	v_pk_add_f32 v[2:3], v[2:3], v[4:5]
	s_and_saveexec_b32 s2, s13
	s_cbranch_execz .LBB55_105
; %bb.101:
	s_and_not1_b32 vcc_lo, exec_lo, s12
	s_cbranch_vccnz .LBB55_103
; %bb.102:
	v_add_nc_u64_e32 v[4:5], s[4:5], v[0:1]
	s_delay_alu instid0(VALU_DEP_1)
	v_lshl_add_u64 v[4:5], v[4:5], 2, s[8:9]
	global_store_b32 v[4:5], v3, off offset:128
.LBB55_103:
	s_and_not1_b32 vcc_lo, exec_lo, s3
	s_cbranch_vccnz .LBB55_105
; %bb.104:
	s_wait_xcnt 0x0
	v_add_nc_u64_e32 v[4:5], s[4:5], v[0:1]
	s_delay_alu instid0(VALU_DEP_1)
	v_lshl_add_u64 v[4:5], v[4:5], 2, s[10:11]
	global_store_b32 v[4:5], v2, off offset:128
.LBB55_105:
	s_wait_xcnt 0x0
	s_or_b32 exec_lo, exec_lo, s2
	v_cmp_gt_u32_e32 vcc_lo, 0x200, v6
	s_and_b32 exec_lo, exec_lo, vcc_lo
	s_cbranch_execz .LBB55_113
; %bb.106:
	s_and_saveexec_b32 s2, s0
	s_cbranch_execz .LBB55_108
; %bb.107:
	v_add_nc_u32_e32 v2, v0, v7
	s_delay_alu instid0(VALU_DEP_1)
	v_lshl_add_u32 v2, v2, 2, 0
	ds_load_b32 v3, v2 offset:192
	ds_load_b32 v2, v2 offset:2272
.LBB55_108:
	s_or_b32 exec_lo, exec_lo, s2
	s_wait_dscnt 0x1
	ds_bpermute_b32 v4, v8, v3
	s_wait_dscnt 0x1
	ds_bpermute_b32 v5, v8, v2
	v_dual_mov_b32 v7, s5 :: v_dual_add_nc_u32 v6, 48, v0
	s_delay_alu instid0(VALU_DEP_1) | instskip(NEXT) | instid1(VALU_DEP_1)
	v_or_b32_e32 v6, s4, v6
	v_cmp_gt_i64_e32 vcc_lo, s[6:7], v[6:7]
	s_and_b32 s0, s1, vcc_lo
	s_wait_dscnt 0x0
	v_dual_add_f32 v3, v3, v4 :: v_dual_add_f32 v2, v2, v5
	ds_bpermute_b32 v4, v9, v3
	ds_bpermute_b32 v5, v9, v2
	s_wait_dscnt 0x0
	v_dual_add_f32 v4, v3, v4 :: v_dual_add_f32 v2, v2, v5
	ds_bpermute_b32 v5, v10, v4
	ds_bpermute_b32 v3, v10, v2
	s_and_b32 exec_lo, exec_lo, s0
	s_cbranch_execz .LBB55_113
; %bb.109:
	v_add_nc_u64_e32 v[0:1], s[4:5], v[0:1]
	s_and_not1_b32 vcc_lo, exec_lo, s12
	s_cbranch_vccnz .LBB55_111
; %bb.110:
	s_wait_dscnt 0x1
	v_add_f32_e32 v6, v4, v5
	s_delay_alu instid0(VALU_DEP_2)
	v_lshl_add_u64 v[4:5], v[0:1], 2, s[8:9]
	global_store_b32 v[4:5], v6, off offset:192
.LBB55_111:
	s_and_not1_b32 vcc_lo, exec_lo, s3
	s_cbranch_vccnz .LBB55_113
; %bb.112:
	s_wait_dscnt 0x0
	v_add_f32_e32 v2, v2, v3
	v_lshl_add_u64 v[0:1], v[0:1], 2, s[10:11]
	global_store_b32 v[0:1], v2, off offset:192
.LBB55_113:
	s_sendmsg sendmsg(MSG_DEALLOC_VGPRS)
	s_endpgm
	.section	.rodata,"a",@progbits
	.p2align	6, 0x0
	.amdhsa_kernel _ZN2at6native12_GLOBAL__N_135GammaBetaBackwardCUDAKernelTemplateIffLj64ELj8ELj64ELb0ELb0ELb0EEEvllPKT_S5_PKT0_S8_PS3_S9_
		.amdhsa_group_segment_fixed_size 0
		.amdhsa_private_segment_fixed_size 0
		.amdhsa_kernarg_size 320
		.amdhsa_user_sgpr_count 2
		.amdhsa_user_sgpr_dispatch_ptr 0
		.amdhsa_user_sgpr_queue_ptr 0
		.amdhsa_user_sgpr_kernarg_segment_ptr 1
		.amdhsa_user_sgpr_dispatch_id 0
		.amdhsa_user_sgpr_kernarg_preload_length 0
		.amdhsa_user_sgpr_kernarg_preload_offset 0
		.amdhsa_user_sgpr_private_segment_size 0
		.amdhsa_wavefront_size32 1
		.amdhsa_uses_dynamic_stack 0
		.amdhsa_enable_private_segment 0
		.amdhsa_system_sgpr_workgroup_id_x 1
		.amdhsa_system_sgpr_workgroup_id_y 1
		.amdhsa_system_sgpr_workgroup_id_z 0
		.amdhsa_system_sgpr_workgroup_info 0
		.amdhsa_system_vgpr_workitem_id 1
		.amdhsa_next_free_vgpr 106
		.amdhsa_next_free_sgpr 52
		.amdhsa_named_barrier_count 0
		.amdhsa_reserve_vcc 1
		.amdhsa_float_round_mode_32 0
		.amdhsa_float_round_mode_16_64 0
		.amdhsa_float_denorm_mode_32 3
		.amdhsa_float_denorm_mode_16_64 3
		.amdhsa_fp16_overflow 0
		.amdhsa_memory_ordered 1
		.amdhsa_forward_progress 1
		.amdhsa_inst_pref_size 57
		.amdhsa_round_robin_scheduling 0
		.amdhsa_exception_fp_ieee_invalid_op 0
		.amdhsa_exception_fp_denorm_src 0
		.amdhsa_exception_fp_ieee_div_zero 0
		.amdhsa_exception_fp_ieee_overflow 0
		.amdhsa_exception_fp_ieee_underflow 0
		.amdhsa_exception_fp_ieee_inexact 0
		.amdhsa_exception_int_div_zero 0
	.end_amdhsa_kernel
	.section	.text._ZN2at6native12_GLOBAL__N_135GammaBetaBackwardCUDAKernelTemplateIffLj64ELj8ELj64ELb0ELb0ELb0EEEvllPKT_S5_PKT0_S8_PS3_S9_,"axG",@progbits,_ZN2at6native12_GLOBAL__N_135GammaBetaBackwardCUDAKernelTemplateIffLj64ELj8ELj64ELb0ELb0ELb0EEEvllPKT_S5_PKT0_S8_PS3_S9_,comdat
.Lfunc_end55:
	.size	_ZN2at6native12_GLOBAL__N_135GammaBetaBackwardCUDAKernelTemplateIffLj64ELj8ELj64ELb0ELb0ELb0EEEvllPKT_S5_PKT0_S8_PS3_S9_, .Lfunc_end55-_ZN2at6native12_GLOBAL__N_135GammaBetaBackwardCUDAKernelTemplateIffLj64ELj8ELj64ELb0ELb0ELb0EEEvllPKT_S5_PKT0_S8_PS3_S9_
                                        ; -- End function
	.set _ZN2at6native12_GLOBAL__N_135GammaBetaBackwardCUDAKernelTemplateIffLj64ELj8ELj64ELb0ELb0ELb0EEEvllPKT_S5_PKT0_S8_PS3_S9_.num_vgpr, 106
	.set _ZN2at6native12_GLOBAL__N_135GammaBetaBackwardCUDAKernelTemplateIffLj64ELj8ELj64ELb0ELb0ELb0EEEvllPKT_S5_PKT0_S8_PS3_S9_.num_agpr, 0
	.set _ZN2at6native12_GLOBAL__N_135GammaBetaBackwardCUDAKernelTemplateIffLj64ELj8ELj64ELb0ELb0ELb0EEEvllPKT_S5_PKT0_S8_PS3_S9_.numbered_sgpr, 52
	.set _ZN2at6native12_GLOBAL__N_135GammaBetaBackwardCUDAKernelTemplateIffLj64ELj8ELj64ELb0ELb0ELb0EEEvllPKT_S5_PKT0_S8_PS3_S9_.num_named_barrier, 0
	.set _ZN2at6native12_GLOBAL__N_135GammaBetaBackwardCUDAKernelTemplateIffLj64ELj8ELj64ELb0ELb0ELb0EEEvllPKT_S5_PKT0_S8_PS3_S9_.private_seg_size, 0
	.set _ZN2at6native12_GLOBAL__N_135GammaBetaBackwardCUDAKernelTemplateIffLj64ELj8ELj64ELb0ELb0ELb0EEEvllPKT_S5_PKT0_S8_PS3_S9_.uses_vcc, 1
	.set _ZN2at6native12_GLOBAL__N_135GammaBetaBackwardCUDAKernelTemplateIffLj64ELj8ELj64ELb0ELb0ELb0EEEvllPKT_S5_PKT0_S8_PS3_S9_.uses_flat_scratch, 0
	.set _ZN2at6native12_GLOBAL__N_135GammaBetaBackwardCUDAKernelTemplateIffLj64ELj8ELj64ELb0ELb0ELb0EEEvllPKT_S5_PKT0_S8_PS3_S9_.has_dyn_sized_stack, 0
	.set _ZN2at6native12_GLOBAL__N_135GammaBetaBackwardCUDAKernelTemplateIffLj64ELj8ELj64ELb0ELb0ELb0EEEvllPKT_S5_PKT0_S8_PS3_S9_.has_recursion, 0
	.set _ZN2at6native12_GLOBAL__N_135GammaBetaBackwardCUDAKernelTemplateIffLj64ELj8ELj64ELb0ELb0ELb0EEEvllPKT_S5_PKT0_S8_PS3_S9_.has_indirect_call, 0
	.section	.AMDGPU.csdata,"",@progbits
; Kernel info:
; codeLenInByte = 7260
; TotalNumSgprs: 54
; NumVgprs: 106
; ScratchSize: 0
; MemoryBound: 0
; FloatMode: 240
; IeeeMode: 1
; LDSByteSize: 0 bytes/workgroup (compile time only)
; SGPRBlocks: 0
; VGPRBlocks: 6
; NumSGPRsForWavesPerEU: 54
; NumVGPRsForWavesPerEU: 106
; NamedBarCnt: 0
; Occupancy: 9
; WaveLimiterHint : 0
; COMPUTE_PGM_RSRC2:SCRATCH_EN: 0
; COMPUTE_PGM_RSRC2:USER_SGPR: 2
; COMPUTE_PGM_RSRC2:TRAP_HANDLER: 0
; COMPUTE_PGM_RSRC2:TGID_X_EN: 1
; COMPUTE_PGM_RSRC2:TGID_Y_EN: 1
; COMPUTE_PGM_RSRC2:TGID_Z_EN: 0
; COMPUTE_PGM_RSRC2:TIDIG_COMP_CNT: 1
	.section	.text._ZN2at6native12_GLOBAL__N_135GammaBetaBackwardCUDAKernelTemplateIffLj64ELj16ELj128ELb0ELb1ELb0EEEvllPKT_S5_PKT0_S8_PS3_S9_,"axG",@progbits,_ZN2at6native12_GLOBAL__N_135GammaBetaBackwardCUDAKernelTemplateIffLj64ELj16ELj128ELb0ELb1ELb0EEEvllPKT_S5_PKT0_S8_PS3_S9_,comdat
	.globl	_ZN2at6native12_GLOBAL__N_135GammaBetaBackwardCUDAKernelTemplateIffLj64ELj16ELj128ELb0ELb1ELb0EEEvllPKT_S5_PKT0_S8_PS3_S9_ ; -- Begin function _ZN2at6native12_GLOBAL__N_135GammaBetaBackwardCUDAKernelTemplateIffLj64ELj16ELj128ELb0ELb1ELb0EEEvllPKT_S5_PKT0_S8_PS3_S9_
	.p2align	8
	.type	_ZN2at6native12_GLOBAL__N_135GammaBetaBackwardCUDAKernelTemplateIffLj64ELj16ELj128ELb0ELb1ELb0EEEvllPKT_S5_PKT0_S8_PS3_S9_,@function
_ZN2at6native12_GLOBAL__N_135GammaBetaBackwardCUDAKernelTemplateIffLj64ELj16ELj128ELb0ELb1ELb0EEEvllPKT_S5_PKT0_S8_PS3_S9_: ; @_ZN2at6native12_GLOBAL__N_135GammaBetaBackwardCUDAKernelTemplateIffLj64ELj16ELj128ELb0ELb1ELb0EEEvllPKT_S5_PKT0_S8_PS3_S9_
; %bb.0:
	s_load_b128 s[12:15], s[0:1], 0x0
	s_bfe_u32 s2, ttmp6, 0x40010
	s_bfe_u32 s4, ttmp6, 0x40004
	s_add_co_i32 s2, s2, 1
	s_getreg_b32 s3, hwreg(HW_REG_IB_STS2, 6, 4)
	s_mul_i32 s2, ttmp7, s2
	s_mov_b32 s17, 0
	s_add_co_i32 s4, s4, s2
	s_cmp_eq_u32 s3, 0
	v_bfe_u32 v11, v0, 10, 10
	s_cselect_b32 s2, ttmp7, s4
	s_delay_alu instid0(SALU_CYCLE_1)
	s_lshl_b32 s16, s2, 7
	s_wait_kmcnt 0x0
	v_cmp_gt_i64_e64 s2, s[12:13], s[16:17]
	s_and_b32 vcc_lo, exec_lo, s2
	s_cbranch_vccnz .LBB56_2
; %bb.1:
	v_bfe_u32 v1, v0, 10, 10
	s_mov_b32 s2, s17
	s_branch .LBB56_3
.LBB56_2:
	s_mov_b32 s2, -1
                                        ; implicit-def: $vgpr1
.LBB56_3:
	v_mov_b32_e32 v9, 0
	v_and_b32_e32 v10, 0x3ff, v0
	s_and_not1_b32 vcc_lo, exec_lo, s2
	s_delay_alu instid0(VALU_DEP_2)
	v_mov_b32_e32 v8, v9
	s_cbranch_vccnz .LBB56_11
; %bb.4:
	v_dual_mov_b32 v1, 0 :: v_dual_lshlrev_b32 v0, 3, v11
	s_load_b32 s2, s[0:1], 0x4c
	s_bfe_u32 s21, ttmp6, 0x4000c
	s_clause 0x1
	s_load_b32 s18, s[0:1], 0x44
	s_load_b256 s[4:11], s[0:1], 0x10
	s_add_co_i32 s21, s21, 1
	v_add_nc_u64_e32 v[2:3], s[16:17], v[0:1]
	s_and_b32 s20, ttmp6, 15
	s_mul_i32 s21, ttmp9, s21
	v_dual_mov_b32 v13, 12 :: v_dual_mov_b32 v5, v1
	s_add_co_i32 s20, s20, s21
	s_mov_b32 s19, 0
	s_delay_alu instid0(VALU_DEP_2)
	v_mul_u64_e32 v[6:7], s[14:15], v[2:3]
	v_dual_mov_b32 v0, 8 :: v_dual_mov_b32 v12, 4
	v_dual_mov_b32 v14, 16 :: v_dual_mov_b32 v15, 20
	;; [unrolled: 1-line block ×3, first 2 shown]
	s_wait_kmcnt 0x0
	s_and_b32 s2, s2, 0xffff
	s_cmp_eq_u32 s3, 0
	v_mad_u32_u24 v4, v11, s2, v10
	v_mov_b32_e32 v9, v1
	s_cselect_b32 s2, ttmp9, s20
	s_lshl_b32 s18, s18, 7
	v_lshl_add_u32 v8, s2, 6, v10
	v_and_b32_e32 v4, 31, v4
	s_mul_u64 s[22:23], s[14:15], s[18:19]
	s_lshl_b64 s[20:21], s[18:19], 2
	s_lshl_b64 s[22:23], s[22:23], 2
	v_lshlrev_b64_e32 v[18:19], 2, v[8:9]
	v_add_nc_u64_e32 v[2:3], v[2:3], v[4:5]
	v_cmp_gt_u32_e64 s2, 8, v4
	v_mov_b32_e32 v8, 0
	s_lshl_b64 s[14:15], s[14:15], 2
	v_lshlrev_b64_e32 v[4:5], 2, v[2:3]
	v_lshl_add_u64 v[6:7], v[6:7], 2, v[18:19]
	s_branch .LBB56_7
.LBB56_5:                               ;   in Loop: Header=BB56_7 Depth=1
	s_wait_xcnt 0x0
	s_or_b32 exec_lo, exec_lo, s25
.LBB56_6:                               ;   in Loop: Header=BB56_7 Depth=1
	s_delay_alu instid0(SALU_CYCLE_1)
	s_or_b32 exec_lo, exec_lo, s24
	v_add_nc_u64_e32 v[20:21], s[6:7], v[6:7]
	v_add_nc_u64_e32 v[22:23], s[4:5], v[6:7]
	s_wait_loadcnt 0x0
	ds_bpermute_b32 v42, v0, v18
	ds_bpermute_b32 v43, v14, v19
	;; [unrolled: 1-line block ×4, first 2 shown]
	s_add_nc_u64 s[16:17], s[16:17], s[18:19]
	v_add_nc_u64_e32 v[24:25], s[14:15], v[20:21]
	v_add_nc_u64_e32 v[26:27], s[14:15], v[22:23]
	global_load_b32 v30, v[20:21], off
	global_load_b32 v31, v[22:23], off
	v_cmp_lt_i64_e64 s24, s[16:17], s[12:13]
	v_add_nc_u64_e32 v[4:5], s[20:21], v[4:5]
	v_add_nc_u64_e32 v[2:3], s[18:19], v[2:3]
	;; [unrolled: 1-line block ×4, first 2 shown]
	s_wait_xcnt 0x1
	v_add_nc_u64_e32 v[20:21], s[14:15], v[26:27]
	global_load_b32 v24, v[24:25], off
	s_and_b32 vcc_lo, exec_lo, s24
	global_load_b32 v25, v[26:27], off
	global_load_b32 v32, v[28:29], off
	v_add_nc_u64_e32 v[22:23], s[14:15], v[28:29]
	s_wait_xcnt 0x1
	v_add_nc_u64_e32 v[26:27], s[14:15], v[20:21]
	global_load_b32 v33, v[20:21], off
	global_load_b32 v34, v[22:23], off
	s_wait_xcnt 0x2
	v_add_nc_u64_e32 v[28:29], s[14:15], v[22:23]
	s_wait_xcnt 0x1
	v_add_nc_u64_e32 v[20:21], s[14:15], v[26:27]
	global_load_b32 v35, v[26:27], off
	global_load_b32 v36, v[28:29], off
	s_wait_xcnt 0x2
	;; [unrolled: 6-line block ×3, first 2 shown]
	v_add_nc_u64_e32 v[28:29], s[14:15], v[22:23]
	s_wait_xcnt 0x1
	v_add_nc_u64_e32 v[20:21], s[14:15], v[26:27]
	global_load_b32 v23, v[26:27], off
	s_wait_xcnt 0x0
	v_add_nc_u64_e32 v[26:27], s[14:15], v[28:29]
	global_load_b32 v22, v[28:29], off
	;; [unrolled: 3-line block ×3, first 2 shown]
	global_load_b32 v40, v[26:27], off
	global_load_b32 v41, v[28:29], off
	s_wait_xcnt 0x2
	ds_bpermute_b32 v20, v1, v19
	ds_bpermute_b32 v21, v12, v19
	s_wait_xcnt 0x1
	ds_bpermute_b32 v26, v1, v18
	ds_bpermute_b32 v27, v0, v19
	;; [unrolled: 3-line block ×3, first 2 shown]
	s_wait_loadcnt_dscnt 0xd04
	v_dual_sub_f32 v20, v30, v20 :: v_dual_sub_f32 v21, v24, v21
	s_delay_alu instid0(VALU_DEP_1) | instskip(SKIP_1) | instid1(VALU_DEP_1)
	v_mul_f32_e32 v20, v31, v20
	s_wait_loadcnt_dscnt 0xc03
	v_dual_mul_f32 v30, v20, v26 :: v_dual_mul_f32 v20, v25, v21
	s_wait_loadcnt_dscnt 0xb02
	v_sub_f32_e32 v21, v32, v27
	ds_bpermute_b32 v26, v14, v18
	ds_bpermute_b32 v27, v16, v19
	v_pk_add_f32 v[8:9], v[8:9], v[30:31]
	s_wait_loadcnt_dscnt 0xa03
	v_dual_mul_f32 v24, v20, v28 :: v_dual_mul_f32 v20, v33, v21
	s_wait_loadcnt_dscnt 0x902
	v_sub_f32_e32 v21, v34, v29
	ds_bpermute_b32 v28, v15, v18
	ds_bpermute_b32 v19, v17, v19
	v_pk_add_f32 v[8:9], v[8:9], v[24:25]
	s_wait_loadcnt 0x8
	v_dual_mul_f32 v32, v20, v42 :: v_dual_mul_f32 v20, v35, v21
	s_wait_loadcnt 0x7
	v_sub_f32_e32 v21, v36, v43
	ds_bpermute_b32 v24, v16, v18
	ds_bpermute_b32 v18, v17, v18
	v_pk_add_f32 v[8:9], v[8:9], v[32:33]
	s_wait_loadcnt 0x6
	v_dual_mul_f32 v34, v20, v44 :: v_dual_mul_f32 v20, v37, v21
	s_wait_loadcnt 0x5
	v_sub_f32_e32 v21, v38, v45
	s_delay_alu instid0(VALU_DEP_2) | instskip(SKIP_1) | instid1(VALU_DEP_2)
	v_pk_add_f32 v[8:9], v[8:9], v[34:35]
	s_wait_loadcnt_dscnt 0x405
	v_dual_mul_f32 v36, v20, v26 :: v_dual_mul_f32 v20, v23, v21
	s_wait_loadcnt_dscnt 0x304
	v_sub_f32_e32 v21, v22, v27
	s_delay_alu instid0(VALU_DEP_2) | instskip(SKIP_1) | instid1(VALU_DEP_2)
	v_pk_add_f32 v[8:9], v[8:9], v[36:37]
	s_wait_loadcnt_dscnt 0x203
	v_dual_mul_f32 v22, v20, v28 :: v_dual_mul_f32 v20, v39, v21
	s_wait_loadcnt_dscnt 0x102
	v_sub_f32_e32 v19, v40, v19
	s_delay_alu instid0(VALU_DEP_2) | instskip(SKIP_1) | instid1(VALU_DEP_2)
	v_pk_add_f32 v[8:9], v[8:9], v[22:23]
	s_wait_loadcnt_dscnt 0x1
	v_dual_mul_f32 v38, v20, v24 :: v_dual_mul_f32 v19, v41, v19
	s_delay_alu instid0(VALU_DEP_1) | instskip(SKIP_1) | instid1(VALU_DEP_2)
	v_pk_add_f32 v[8:9], v[8:9], v[38:39]
	s_wait_dscnt 0x0
	v_mul_f32_e32 v40, v19, v18
	s_delay_alu instid0(VALU_DEP_1)
	v_pk_add_f32 v[8:9], v[8:9], v[40:41]
	s_cbranch_vccz .LBB56_10
.LBB56_7:                               ; =>This Inner Loop Header: Depth=1
	v_dual_mov_b32 v18, 0 :: v_dual_mov_b32 v19, 0
	s_and_saveexec_b32 s24, s2
	s_cbranch_execz .LBB56_6
; %bb.8:                                ;   in Loop: Header=BB56_7 Depth=1
	v_dual_mov_b32 v19, 0 :: v_dual_mov_b32 v18, 0
	s_mov_b32 s25, exec_lo
	v_cmpx_gt_i64_e64 s[12:13], v[2:3]
	s_cbranch_execz .LBB56_5
; %bb.9:                                ;   in Loop: Header=BB56_7 Depth=1
	v_add_nc_u64_e32 v[20:21], s[8:9], v[4:5]
	v_add_nc_u64_e32 v[22:23], s[10:11], v[4:5]
	global_load_b32 v19, v[20:21], off
	global_load_b32 v18, v[22:23], off
	s_branch .LBB56_5
.LBB56_10:
	v_mov_b32_e32 v1, v11
.LBB56_11:
	s_load_b128 s[4:7], s[0:1], 0x30
	s_delay_alu instid0(VALU_DEP_1) | instskip(SKIP_2) | instid1(VALU_DEP_1)
	v_mad_u32_u24 v0, 0x41, v1, v10
	s_wait_xcnt 0x0
	s_mov_b32 s0, exec_lo
	v_lshl_add_u32 v2, v0, 2, 0
	v_sub_nc_u32_e32 v6, v0, v1
	ds_store_b32 v2, v8
	ds_store_b32 v2, v9 offset:4160
	s_wait_dscnt 0x0
	s_barrier_signal -1
	s_barrier_wait -1
	v_cmpx_gt_u32_e32 0x800, v6
	s_cbranch_execz .LBB56_27
; %bb.12:
	v_and_b32_e32 v1, 31, v10
	v_lshrrev_b32_e32 v0, 5, v6
                                        ; implicit-def: $vgpr2
	s_delay_alu instid0(VALU_DEP_2)
	v_cmp_gt_u32_e64 s0, 16, v1
	v_mul_u32_u24_e32 v7, 0x41, v1
	s_and_saveexec_b32 s1, s0
	s_cbranch_execz .LBB56_14
; %bb.13:
	s_delay_alu instid0(VALU_DEP_1) | instskip(NEXT) | instid1(VALU_DEP_1)
	v_add_nc_u32_e32 v1, v0, v7
	v_lshl_add_u32 v1, v1, 2, 0
	ds_load_b32 v3, v1
	ds_load_b32 v2, v1 offset:4160
.LBB56_14:
	s_or_b32 exec_lo, exec_lo, s1
	v_mbcnt_lo_u32_b32 v1, -1, 0
	s_bfe_u32 s1, ttmp6, 0x4000c
	s_and_b32 s2, ttmp6, 15
	s_add_co_i32 s1, s1, 1
	s_delay_alu instid0(SALU_CYCLE_1)
	s_mul_i32 s1, ttmp9, s1
	v_xor_b32_e32 v12, 1, v1
	v_xor_b32_e32 v11, 2, v1
	;; [unrolled: 1-line block ×3, first 2 shown]
	s_add_co_i32 s2, s2, s1
	s_cmp_eq_u32 s3, 0
	s_mov_b32 s3, 0
	s_cselect_b32 s2, ttmp9, s2
	v_cmp_gt_i32_e32 vcc_lo, 32, v4
	s_lshl_b64 s[2:3], s[2:3], 6
	v_xor_b32_e32 v9, 4, v1
	s_wait_kmcnt 0x0
	s_cmp_lg_u64 s[4:5], 0
	v_cmp_eq_u32_e64 s1, 0, v10
	v_cndmask_b32_e32 v4, v1, v4, vcc_lo
	s_cselect_b32 s9, -1, 0
	v_cmp_gt_i32_e32 vcc_lo, 32, v9
	s_cmp_lg_u64 s[6:7], 0
	s_delay_alu instid0(VALU_DEP_2)
	v_lshlrev_b32_e32 v8, 2, v4
	s_cselect_b32 s8, -1, 0
	v_cndmask_b32_e32 v9, v1, v9, vcc_lo
	v_cmp_gt_i32_e32 vcc_lo, 32, v11
	s_wait_dscnt 0x1
	ds_bpermute_b32 v5, v8, v3
	s_wait_dscnt 0x1
	ds_bpermute_b32 v4, v8, v2
	v_dual_cndmask_b32 v11, v1, v11, vcc_lo :: v_dual_lshlrev_b32 v9, 2, v9
	v_cmp_gt_i32_e32 vcc_lo, 32, v12
	s_delay_alu instid0(VALU_DEP_2) | instskip(NEXT) | instid1(VALU_DEP_1)
	v_dual_lshlrev_b32 v11, 2, v11 :: v_dual_cndmask_b32 v1, v1, v12, vcc_lo
	v_dual_mov_b32 v1, 0 :: v_dual_lshlrev_b32 v12, 2, v1
	s_wait_dscnt 0x0
	v_pk_add_f32 v[2:3], v[2:3], v[4:5]
	ds_bpermute_b32 v5, v9, v3
	ds_bpermute_b32 v4, v9, v2
	s_wait_dscnt 0x0
	v_pk_add_f32 v[2:3], v[2:3], v[4:5]
	ds_bpermute_b32 v5, v11, v3
	ds_bpermute_b32 v4, v11, v2
	;; [unrolled: 4-line block ×3, first 2 shown]
	s_wait_dscnt 0x0
	v_pk_add_f32 v[2:3], v[2:3], v[4:5]
	s_and_saveexec_b32 s10, s1
	s_cbranch_execz .LBB56_19
; %bb.15:
	v_dual_mov_b32 v5, s3 :: v_dual_bitop2_b32 v4, s2, v0 bitop3:0x54
	s_and_not1_b32 vcc_lo, exec_lo, s9
	s_cbranch_vccnz .LBB56_17
; %bb.16:
	s_delay_alu instid0(VALU_DEP_1)
	v_lshl_add_u64 v[14:15], v[4:5], 2, s[4:5]
	global_store_b32 v[14:15], v3, off
.LBB56_17:
	s_and_not1_b32 vcc_lo, exec_lo, s8
	s_cbranch_vccnz .LBB56_19
; %bb.18:
	v_lshl_add_u64 v[4:5], v[4:5], 2, s[6:7]
	global_store_b32 v[4:5], v2, off
.LBB56_19:
	s_wait_xcnt 0x0
	s_or_b32 exec_lo, exec_lo, s10
	v_cmp_gt_u32_e32 vcc_lo, 0x400, v6
	s_and_b32 exec_lo, exec_lo, vcc_lo
	s_cbranch_execz .LBB56_27
; %bb.20:
	s_and_saveexec_b32 s10, s0
	s_cbranch_execz .LBB56_22
; %bb.21:
	v_add_nc_u32_e32 v2, v0, v7
	s_delay_alu instid0(VALU_DEP_1)
	v_lshl_add_u32 v2, v2, 2, 0
	ds_load_b32 v3, v2 offset:128
	ds_load_b32 v2, v2 offset:4288
.LBB56_22:
	s_or_b32 exec_lo, exec_lo, s10
	s_wait_dscnt 0x1
	ds_bpermute_b32 v4, v8, v3
	s_wait_dscnt 0x1
	ds_bpermute_b32 v5, v8, v2
	s_wait_dscnt 0x0
	v_dual_add_f32 v3, v3, v4 :: v_dual_add_f32 v2, v2, v5
	ds_bpermute_b32 v4, v9, v3
	ds_bpermute_b32 v5, v9, v2
	s_wait_dscnt 0x0
	v_dual_add_f32 v3, v3, v4 :: v_dual_add_f32 v2, v2, v5
	ds_bpermute_b32 v4, v11, v3
	;; [unrolled: 4-line block ×3, first 2 shown]
	ds_bpermute_b32 v3, v12, v2
	s_and_b32 exec_lo, exec_lo, s1
	s_cbranch_execz .LBB56_27
; %bb.23:
	v_add_nc_u64_e32 v[0:1], s[2:3], v[0:1]
	s_and_not1_b32 vcc_lo, exec_lo, s9
	s_cbranch_vccnz .LBB56_25
; %bb.24:
	s_wait_dscnt 0x1
	v_add_f32_e32 v6, v4, v5
	s_delay_alu instid0(VALU_DEP_2)
	v_lshl_add_u64 v[4:5], v[0:1], 2, s[4:5]
	global_store_b32 v[4:5], v6, off offset:128
.LBB56_25:
	s_and_not1_b32 vcc_lo, exec_lo, s8
	s_cbranch_vccnz .LBB56_27
; %bb.26:
	s_wait_dscnt 0x0
	v_add_f32_e32 v2, v2, v3
	v_lshl_add_u64 v[0:1], v[0:1], 2, s[6:7]
	global_store_b32 v[0:1], v2, off offset:128
.LBB56_27:
	s_endpgm
	.section	.rodata,"a",@progbits
	.p2align	6, 0x0
	.amdhsa_kernel _ZN2at6native12_GLOBAL__N_135GammaBetaBackwardCUDAKernelTemplateIffLj64ELj16ELj128ELb0ELb1ELb0EEEvllPKT_S5_PKT0_S8_PS3_S9_
		.amdhsa_group_segment_fixed_size 0
		.amdhsa_private_segment_fixed_size 0
		.amdhsa_kernarg_size 320
		.amdhsa_user_sgpr_count 2
		.amdhsa_user_sgpr_dispatch_ptr 0
		.amdhsa_user_sgpr_queue_ptr 0
		.amdhsa_user_sgpr_kernarg_segment_ptr 1
		.amdhsa_user_sgpr_dispatch_id 0
		.amdhsa_user_sgpr_kernarg_preload_length 0
		.amdhsa_user_sgpr_kernarg_preload_offset 0
		.amdhsa_user_sgpr_private_segment_size 0
		.amdhsa_wavefront_size32 1
		.amdhsa_uses_dynamic_stack 0
		.amdhsa_enable_private_segment 0
		.amdhsa_system_sgpr_workgroup_id_x 1
		.amdhsa_system_sgpr_workgroup_id_y 1
		.amdhsa_system_sgpr_workgroup_id_z 0
		.amdhsa_system_sgpr_workgroup_info 0
		.amdhsa_system_vgpr_workitem_id 1
		.amdhsa_next_free_vgpr 46
		.amdhsa_next_free_sgpr 26
		.amdhsa_named_barrier_count 0
		.amdhsa_reserve_vcc 1
		.amdhsa_float_round_mode_32 0
		.amdhsa_float_round_mode_16_64 0
		.amdhsa_float_denorm_mode_32 3
		.amdhsa_float_denorm_mode_16_64 3
		.amdhsa_fp16_overflow 0
		.amdhsa_memory_ordered 1
		.amdhsa_forward_progress 1
		.amdhsa_inst_pref_size 16
		.amdhsa_round_robin_scheduling 0
		.amdhsa_exception_fp_ieee_invalid_op 0
		.amdhsa_exception_fp_denorm_src 0
		.amdhsa_exception_fp_ieee_div_zero 0
		.amdhsa_exception_fp_ieee_overflow 0
		.amdhsa_exception_fp_ieee_underflow 0
		.amdhsa_exception_fp_ieee_inexact 0
		.amdhsa_exception_int_div_zero 0
	.end_amdhsa_kernel
	.section	.text._ZN2at6native12_GLOBAL__N_135GammaBetaBackwardCUDAKernelTemplateIffLj64ELj16ELj128ELb0ELb1ELb0EEEvllPKT_S5_PKT0_S8_PS3_S9_,"axG",@progbits,_ZN2at6native12_GLOBAL__N_135GammaBetaBackwardCUDAKernelTemplateIffLj64ELj16ELj128ELb0ELb1ELb0EEEvllPKT_S5_PKT0_S8_PS3_S9_,comdat
.Lfunc_end56:
	.size	_ZN2at6native12_GLOBAL__N_135GammaBetaBackwardCUDAKernelTemplateIffLj64ELj16ELj128ELb0ELb1ELb0EEEvllPKT_S5_PKT0_S8_PS3_S9_, .Lfunc_end56-_ZN2at6native12_GLOBAL__N_135GammaBetaBackwardCUDAKernelTemplateIffLj64ELj16ELj128ELb0ELb1ELb0EEEvllPKT_S5_PKT0_S8_PS3_S9_
                                        ; -- End function
	.set _ZN2at6native12_GLOBAL__N_135GammaBetaBackwardCUDAKernelTemplateIffLj64ELj16ELj128ELb0ELb1ELb0EEEvllPKT_S5_PKT0_S8_PS3_S9_.num_vgpr, 46
	.set _ZN2at6native12_GLOBAL__N_135GammaBetaBackwardCUDAKernelTemplateIffLj64ELj16ELj128ELb0ELb1ELb0EEEvllPKT_S5_PKT0_S8_PS3_S9_.num_agpr, 0
	.set _ZN2at6native12_GLOBAL__N_135GammaBetaBackwardCUDAKernelTemplateIffLj64ELj16ELj128ELb0ELb1ELb0EEEvllPKT_S5_PKT0_S8_PS3_S9_.numbered_sgpr, 26
	.set _ZN2at6native12_GLOBAL__N_135GammaBetaBackwardCUDAKernelTemplateIffLj64ELj16ELj128ELb0ELb1ELb0EEEvllPKT_S5_PKT0_S8_PS3_S9_.num_named_barrier, 0
	.set _ZN2at6native12_GLOBAL__N_135GammaBetaBackwardCUDAKernelTemplateIffLj64ELj16ELj128ELb0ELb1ELb0EEEvllPKT_S5_PKT0_S8_PS3_S9_.private_seg_size, 0
	.set _ZN2at6native12_GLOBAL__N_135GammaBetaBackwardCUDAKernelTemplateIffLj64ELj16ELj128ELb0ELb1ELb0EEEvllPKT_S5_PKT0_S8_PS3_S9_.uses_vcc, 1
	.set _ZN2at6native12_GLOBAL__N_135GammaBetaBackwardCUDAKernelTemplateIffLj64ELj16ELj128ELb0ELb1ELb0EEEvllPKT_S5_PKT0_S8_PS3_S9_.uses_flat_scratch, 0
	.set _ZN2at6native12_GLOBAL__N_135GammaBetaBackwardCUDAKernelTemplateIffLj64ELj16ELj128ELb0ELb1ELb0EEEvllPKT_S5_PKT0_S8_PS3_S9_.has_dyn_sized_stack, 0
	.set _ZN2at6native12_GLOBAL__N_135GammaBetaBackwardCUDAKernelTemplateIffLj64ELj16ELj128ELb0ELb1ELb0EEEvllPKT_S5_PKT0_S8_PS3_S9_.has_recursion, 0
	.set _ZN2at6native12_GLOBAL__N_135GammaBetaBackwardCUDAKernelTemplateIffLj64ELj16ELj128ELb0ELb1ELb0EEEvllPKT_S5_PKT0_S8_PS3_S9_.has_indirect_call, 0
	.section	.AMDGPU.csdata,"",@progbits
; Kernel info:
; codeLenInByte = 1980
; TotalNumSgprs: 28
; NumVgprs: 46
; ScratchSize: 0
; MemoryBound: 0
; FloatMode: 240
; IeeeMode: 1
; LDSByteSize: 0 bytes/workgroup (compile time only)
; SGPRBlocks: 0
; VGPRBlocks: 2
; NumSGPRsForWavesPerEU: 28
; NumVGPRsForWavesPerEU: 46
; NamedBarCnt: 0
; Occupancy: 16
; WaveLimiterHint : 0
; COMPUTE_PGM_RSRC2:SCRATCH_EN: 0
; COMPUTE_PGM_RSRC2:USER_SGPR: 2
; COMPUTE_PGM_RSRC2:TRAP_HANDLER: 0
; COMPUTE_PGM_RSRC2:TGID_X_EN: 1
; COMPUTE_PGM_RSRC2:TGID_Y_EN: 1
; COMPUTE_PGM_RSRC2:TGID_Z_EN: 0
; COMPUTE_PGM_RSRC2:TIDIG_COMP_CNT: 1
	.section	.text._ZN2at6native12_GLOBAL__N_135GammaBetaBackwardCUDAKernelTemplateIffLj64ELj16ELj128ELb0ELb0ELb0EEEvllPKT_S5_PKT0_S8_PS3_S9_,"axG",@progbits,_ZN2at6native12_GLOBAL__N_135GammaBetaBackwardCUDAKernelTemplateIffLj64ELj16ELj128ELb0ELb0ELb0EEEvllPKT_S5_PKT0_S8_PS3_S9_,comdat
	.globl	_ZN2at6native12_GLOBAL__N_135GammaBetaBackwardCUDAKernelTemplateIffLj64ELj16ELj128ELb0ELb0ELb0EEEvllPKT_S5_PKT0_S8_PS3_S9_ ; -- Begin function _ZN2at6native12_GLOBAL__N_135GammaBetaBackwardCUDAKernelTemplateIffLj64ELj16ELj128ELb0ELb0ELb0EEEvllPKT_S5_PKT0_S8_PS3_S9_
	.p2align	8
	.type	_ZN2at6native12_GLOBAL__N_135GammaBetaBackwardCUDAKernelTemplateIffLj64ELj16ELj128ELb0ELb0ELb0EEEvllPKT_S5_PKT0_S8_PS3_S9_,@function
_ZN2at6native12_GLOBAL__N_135GammaBetaBackwardCUDAKernelTemplateIffLj64ELj16ELj128ELb0ELb0ELb0EEEvllPKT_S5_PKT0_S8_PS3_S9_: ; @_ZN2at6native12_GLOBAL__N_135GammaBetaBackwardCUDAKernelTemplateIffLj64ELj16ELj128ELb0ELb0ELb0EEEvllPKT_S5_PKT0_S8_PS3_S9_
; %bb.0:
	s_load_b256 s[4:11], s[0:1], 0x0
	s_bfe_u32 s3, ttmp6, 0x4000c
	s_bfe_u32 s12, ttmp6, 0x40010
	s_add_co_i32 s3, s3, 1
	s_add_co_i32 s12, s12, 1
	s_and_b32 s2, ttmp6, 15
	s_bfe_u32 s13, ttmp6, 0x40004
	s_mul_i32 s3, ttmp9, s3
	s_mul_i32 s12, ttmp7, s12
	s_getreg_b32 s14, hwreg(HW_REG_IB_STS2, 6, 4)
	s_add_co_i32 s2, s2, s3
	s_add_co_i32 s3, s13, s12
	s_cmp_eq_u32 s14, 0
	s_mov_b32 s19, 0
	s_cselect_b32 s16, ttmp9, s2
	s_cselect_b32 s2, ttmp7, s3
	s_lshl_b32 s3, s16, 6
	s_load_b128 s[12:15], s[0:1], 0x20
	s_or_b32 s18, s3, 63
	s_wait_kmcnt 0x0
	v_cmp_le_i64_e64 s20, s[6:7], s[18:19]
	s_lshl_b32 s18, s2, 7
	s_delay_alu instid0(SALU_CYCLE_1) | instskip(SKIP_2) | instid1(VALU_DEP_1)
	v_cmp_gt_i64_e64 s17, s[4:5], s[18:19]
	s_and_b32 vcc_lo, exec_lo, s20
	v_cndmask_b32_e64 v1, 0, 1, s17
	v_cmp_ne_u32_e64 s2, 1, v1
	s_cbranch_vccz .LBB57_48
; %bb.1:
	v_mov_b32_e32 v21, 0
	s_and_b32 vcc_lo, exec_lo, s2
	s_delay_alu instid0(VALU_DEP_1)
	v_mov_b32_e32 v20, v21
	s_cbranch_vccnz .LBB57_49
; %bb.2:
	v_bfe_u32 v1, v0, 10, 10
	v_mov_b32_e32 v2, 0
	v_and_b32_e32 v62, 0x3ff, v0
	s_load_b32 s20, s[0:1], 0x44
	s_mov_b32 s21, 0
	s_delay_alu instid0(VALU_DEP_2) | instskip(NEXT) | instid1(VALU_DEP_2)
	v_dual_mov_b32 v23, v2 :: v_dual_lshlrev_b32 v22, 3, v1
	v_dual_mov_b32 v19, v2 :: v_dual_add_nc_u32 v18, s3, v62
	s_mov_b32 s37, s21
	s_add_nc_u64 s[22:23], s[0:1], 64
	s_delay_alu instid0(VALU_DEP_2)
	v_add_nc_u64_e32 v[4:5], s[18:19], v[22:23]
	s_mov_b64 s[24:25], 0xffffffffffffff81
	s_mov_b64 s[26:27], 0xffffffffffffff82
	;; [unrolled: 1-line block ×6, first 2 shown]
	v_mul_u64_e32 v[6:7], s[6:7], v[4:5]
	v_add_nc_u64_e32 v[8:9], 7, v[4:5]
	v_add_nc_u64_e32 v[10:11], 6, v[4:5]
	v_add_nc_u64_e32 v[12:13], 5, v[4:5]
	v_add_nc_u64_e32 v[14:15], 4, v[4:5]
	v_add_nc_u64_e32 v[16:17], 3, v[4:5]
	v_add_nc_u64_e32 v[4:5], 2, v[4:5]
	s_wait_kmcnt 0x0
	s_lshl_b32 s36, s20, 7
	v_mul_u64_e32 v[8:9], s[6:7], v[8:9]
	v_mul_u64_e32 v[10:11], s[6:7], v[10:11]
	;; [unrolled: 1-line block ×6, first 2 shown]
	s_mul_u64 s[44:45], s[6:7], s[36:37]
	s_mov_b64 s[40:41], 0xffffffffffffff87
	s_mov_b64 s[42:43], 0xffffffffffffff88
	s_lshl_b64 s[44:45], s[44:45], 2
	s_add_nc_u64 s[46:47], s[18:19], 0x7f
	s_mov_b64 s[48:49], s[18:19]
	v_lshlrev_b64_e32 v[20:21], 2, v[6:7]
	v_add_nc_u64_e32 v[6:7], s[6:7], v[6:7]
	s_delay_alu instid0(VALU_DEP_2)
	v_add_nc_u64_e32 v[26:27], s[8:9], v[20:21]
	v_lshlrev_b64_e32 v[8:9], 2, v[8:9]
	v_lshlrev_b64_e32 v[10:11], 2, v[10:11]
	;; [unrolled: 1-line block ×7, first 2 shown]
	v_add_nc_u64_e32 v[28:29], s[10:11], v[20:21]
	v_add_nc_u64_e32 v[30:31], s[8:9], v[8:9]
	;; [unrolled: 1-line block ×15, first 2 shown]
	v_mov_b32_e32 v20, 0
	v_cmp_gt_i64_e64 s2, s[6:7], v[18:19]
	v_lshlrev_b64_e32 v[24:25], 2, v[18:19]
	v_mov_b32_e32 v21, v2
	s_branch .LBB57_5
.LBB57_3:                               ;   in Loop: Header=BB57_5 Depth=1
	s_wait_xcnt 0x0
	s_or_b32 exec_lo, exec_lo, s20
	s_wait_loadcnt 0x1
	ds_bpermute_b32 v3, v2, v60
	ds_bpermute_b32 v58, v2, v60 offset:4
	ds_bpermute_b32 v63, v2, v60 offset:8
	s_wait_loadcnt 0x0
	ds_bpermute_b32 v64, v2, v61
	ds_bpermute_b32 v66, v2, v60 offset:12
	ds_bpermute_b32 v67, v2, v61 offset:4
	;; [unrolled: 1-line block ×6, first 2 shown]
	v_mov_b32_e32 v59, v4
	ds_bpermute_b32 v71, v2, v61 offset:16
	ds_bpermute_b32 v74, v2, v60 offset:24
	;; [unrolled: 1-line block ×3, first 2 shown]
	s_wait_dscnt 0xc
	v_dual_mov_b32 v65, v5 :: v_dual_sub_f32 v3, v12, v3
	s_wait_dscnt 0xb
	v_dual_sub_f32 v12, v13, v58 :: v_dual_mov_b32 v13, v6
	s_delay_alu instid0(VALU_DEP_2) | instskip(SKIP_1) | instid1(VALU_DEP_2)
	v_mul_f32_e32 v3, v4, v3
	s_wait_dscnt 0xa
	v_dual_sub_f32 v4, v14, v63 :: v_dual_mul_f32 v12, v5, v12
	v_mov_b32_e32 v5, v7
	s_wait_dscnt 0x9
	v_mul_f32_e32 v58, v3, v64
	s_wait_dscnt 0x8
	v_dual_mul_f32 v4, v6, v4 :: v_dual_sub_f32 v3, v15, v66
	s_wait_dscnt 0x7
	v_mul_f32_e32 v64, v12, v67
	v_pk_add_f32 v[14:15], v[20:21], v[58:59]
	ds_bpermute_b32 v20, v2, v61 offset:24
	s_wait_dscnt 0x7
	v_mul_f32_e32 v12, v4, v68
	s_wait_dscnt 0x6
	v_dual_sub_f32 v16, v16, v70 :: v_dual_mul_f32 v3, v7, v3
	v_pk_add_f32 v[6:7], v[64:65], v[14:15]
	s_wait_dscnt 0x4
	v_dual_mov_b32 v15, v8 :: v_dual_sub_f32 v14, v17, v73
	s_delay_alu instid0(VALU_DEP_3) | instskip(NEXT) | instid1(VALU_DEP_3)
	v_dual_mul_f32 v8, v8, v16 :: v_dual_mul_f32 v4, v3, v69
	v_pk_add_f32 v[6:7], v[12:13], v[6:7]
	ds_bpermute_b32 v3, v2, v61 offset:28
	s_wait_dscnt 0x3
	v_sub_f32_e32 v12, v18, v74
	v_dual_mul_f32 v13, v9, v14 :: v_dual_mul_f32 v14, v8, v71
	v_pk_add_f32 v[6:7], v[4:5], v[6:7]
	ds_bpermute_b32 v4, v2, v60 offset:28
	v_mul_f32_e32 v5, v10, v12
	s_wait_dscnt 0x3
	v_dual_mul_f32 v8, v13, v72 :: v_dual_mov_b32 v13, v10
	v_pk_add_f32 v[6:7], v[14:15], v[6:7]
	s_wait_dscnt 0x2
	v_mul_f32_e32 v12, v5, v20
	s_delay_alu instid0(VALU_DEP_2) | instskip(NEXT) | instid1(VALU_DEP_1)
	v_pk_add_f32 v[6:7], v[8:9], v[6:7]
	v_pk_add_f32 v[60:61], v[12:13], v[6:7]
.LBB57_4:                               ;   in Loop: Header=BB57_5 Depth=1
	s_wait_dscnt 0x0
	v_sub_f32_e32 v4, v19, v4
	s_add_nc_u64 s[48:49], s[48:49], s[36:37]
	v_add_nc_u64_e32 v[26:27], s[44:45], v[26:27]
	v_cmp_lt_i64_e64 s20, s[48:49], s[4:5]
	v_add_nc_u64_e32 v[28:29], s[44:45], v[28:29]
	v_mul_f32_e32 v4, v11, v4
	v_add_nc_u64_e32 v[30:31], s[44:45], v[30:31]
	v_add_nc_u64_e32 v[32:33], s[44:45], v[32:33]
	;; [unrolled: 1-line block ×4, first 2 shown]
	v_mul_f32_e32 v10, v4, v3
	v_add_nc_u64_e32 v[38:39], s[44:45], v[38:39]
	v_add_nc_u64_e32 v[40:41], s[44:45], v[40:41]
	;; [unrolled: 1-line block ×10, first 2 shown]
	v_pk_add_f32 v[20:21], v[60:61], v[10:11]
	s_and_b32 vcc_lo, exec_lo, s20
	s_add_nc_u64 s[46:47], s[46:47], s[36:37]
	s_cbranch_vccz .LBB57_49
.LBB57_5:                               ; =>This Inner Loop Header: Depth=1
	v_cmp_ge_i64_e64 s20, s[46:47], s[4:5]
	v_add_nc_u64_e32 v[58:59], s[46:47], v[22:23]
                                        ; implicit-def: $vgpr4_vgpr5_vgpr6_vgpr7_vgpr8_vgpr9_vgpr10_vgpr11
                                        ; implicit-def: $vgpr60_vgpr61
                                        ; implicit-def: $vgpr3
                                        ; implicit-def: $vgpr12_vgpr13_vgpr14_vgpr15_vgpr16_vgpr17_vgpr18_vgpr19
                                        ; implicit-def: $vgpr4
	s_and_b32 vcc_lo, exec_lo, s20
	s_mov_b32 s20, -1
	s_cbranch_vccz .LBB57_27
; %bb.6:                                ;   in Loop: Header=BB57_5 Depth=1
	s_load_b32 s20, s[22:23], 0xc
	v_dual_mov_b32 v60, 0 :: v_dual_mov_b32 v61, 0
	s_wait_kmcnt 0x0
	s_and_b32 s20, s20, 0xffff
	s_delay_alu instid0(SALU_CYCLE_1) | instskip(SKIP_1) | instid1(VALU_DEP_1)
	v_mad_u32_u24 v3, v1, s20, v62
	s_mov_b32 s20, exec_lo
	v_and_b32_e32 v4, 31, v3
	s_delay_alu instid0(VALU_DEP_1)
	v_cmpx_gt_u32_e32 8, v4
	s_cbranch_execz .LBB57_10
; %bb.7:                                ;   in Loop: Header=BB57_5 Depth=1
	v_dual_mov_b32 v5, v2 :: v_dual_mov_b32 v60, 0
	v_mov_b32_e32 v61, 0
	s_mov_b32 s33, exec_lo
	s_delay_alu instid0(VALU_DEP_2) | instskip(NEXT) | instid1(VALU_DEP_1)
	v_add_nc_u64_e32 v[4:5], v[58:59], v[4:5]
	v_add_nc_u64_e32 v[4:5], s[24:25], v[4:5]
	s_delay_alu instid0(VALU_DEP_1)
	v_cmpx_gt_i64_e64 s[4:5], v[4:5]
	s_cbranch_execz .LBB57_9
; %bb.8:                                ;   in Loop: Header=BB57_5 Depth=1
	v_lshlrev_b64_e32 v[4:5], 2, v[4:5]
	s_delay_alu instid0(VALU_DEP_1)
	v_add_nc_u64_e32 v[6:7], s[12:13], v[4:5]
	v_add_nc_u64_e32 v[4:5], s[14:15], v[4:5]
	global_load_b32 v60, v[6:7], off
	global_load_b32 v61, v[4:5], off
.LBB57_9:                               ;   in Loop: Header=BB57_5 Depth=1
	s_wait_xcnt 0x0
	s_or_b32 exec_lo, exec_lo, s33
.LBB57_10:                              ;   in Loop: Header=BB57_5 Depth=1
	s_delay_alu instid0(SALU_CYCLE_1)
	s_or_b32 exec_lo, exec_lo, s20
	v_add_nc_u64_e32 v[10:11], s[24:25], v[58:59]
	v_dual_mov_b32 v7, v2 :: v_dual_mov_b32 v8, v2
	v_dual_mov_b32 v9, v2 :: v_dual_mov_b32 v3, v2
	;; [unrolled: 1-line block ×3, first 2 shown]
	v_mov_b32_e32 v6, v2
	v_cmp_gt_i64_e32 vcc_lo, s[4:5], v[10:11]
	s_delay_alu instid0(VALU_DEP_4)
	v_mov_b64_e32 v[18:19], v[8:9]
	v_mov_b64_e32 v[12:13], v[2:3]
	;; [unrolled: 1-line block ×8, first 2 shown]
	s_and_b32 s33, s2, vcc_lo
	s_delay_alu instid0(SALU_CYCLE_1)
	s_and_saveexec_b32 s20, s33
	s_cbranch_execz .LBB57_12
; %bb.11:                               ;   in Loop: Header=BB57_5 Depth=1
	v_add_nc_u64_e32 v[6:7], v[26:27], v[24:25]
	v_add_nc_u64_e32 v[8:9], v[28:29], v[24:25]
	v_dual_mov_b32 v5, v2 :: v_dual_mov_b32 v11, v2
	v_dual_mov_b32 v13, v2 :: v_dual_mov_b32 v14, v2
	v_mov_b32_e32 v15, v2
	global_load_b32 v4, v[6:7], off
	global_load_b32 v12, v[8:9], off
	s_wait_xcnt 0x1
	v_dual_mov_b32 v6, v2 :: v_dual_mov_b32 v7, v2
	s_wait_xcnt 0x0
	v_dual_mov_b32 v8, v2 :: v_dual_mov_b32 v9, v2
	v_dual_mov_b32 v10, v2 :: v_dual_mov_b32 v16, v2
	;; [unrolled: 1-line block ×3, first 2 shown]
	v_mov_b32_e32 v19, v2
.LBB57_12:                              ;   in Loop: Header=BB57_5 Depth=1
	s_or_b32 exec_lo, exec_lo, s20
	v_add_nc_u64_e32 v[64:65], s[26:27], v[58:59]
	s_delay_alu instid0(VALU_DEP_1) | instskip(SKIP_1) | instid1(SALU_CYCLE_1)
	v_cmp_gt_i64_e32 vcc_lo, s[4:5], v[64:65]
	s_and_b32 s33, s2, vcc_lo
	s_and_saveexec_b32 s20, s33
	s_cbranch_execz .LBB57_14
; %bb.13:                               ;   in Loop: Header=BB57_5 Depth=1
	v_add_nc_u64_e32 v[64:65], v[54:55], v[24:25]
	v_add_nc_u64_e32 v[66:67], v[56:57], v[24:25]
	global_load_b32 v5, v[64:65], off
	global_load_b32 v13, v[66:67], off
.LBB57_14:                              ;   in Loop: Header=BB57_5 Depth=1
	s_wait_xcnt 0x0
	s_or_b32 exec_lo, exec_lo, s20
	v_add_nc_u64_e32 v[64:65], s[28:29], v[58:59]
	s_delay_alu instid0(VALU_DEP_1) | instskip(SKIP_1) | instid1(SALU_CYCLE_1)
	v_cmp_gt_i64_e32 vcc_lo, s[4:5], v[64:65]
	s_and_b32 s33, s2, vcc_lo
	s_and_saveexec_b32 s20, s33
	s_cbranch_execz .LBB57_16
; %bb.15:                               ;   in Loop: Header=BB57_5 Depth=1
	v_add_nc_u64_e32 v[64:65], v[50:51], v[24:25]
	v_add_nc_u64_e32 v[66:67], v[52:53], v[24:25]
	global_load_b32 v6, v[64:65], off
	global_load_b32 v14, v[66:67], off
.LBB57_16:                              ;   in Loop: Header=BB57_5 Depth=1
	s_wait_xcnt 0x0
	;; [unrolled: 14-line block ×7, first 2 shown]
	s_or_b32 exec_lo, exec_lo, s20
	s_wait_loadcnt 0x1
	ds_bpermute_b32 v3, v2, v60
	ds_bpermute_b32 v63, v2, v60 offset:4
	ds_bpermute_b32 v64, v2, v60 offset:8
	s_wait_loadcnt 0x0
	ds_bpermute_b32 v66, v2, v61
	ds_bpermute_b32 v68, v2, v60 offset:12
	ds_bpermute_b32 v69, v2, v61 offset:4
	ds_bpermute_b32 v70, v2, v61 offset:8
	ds_bpermute_b32 v72, v2, v60 offset:16
	ds_bpermute_b32 v71, v2, v61 offset:12
	ds_bpermute_b32 v75, v2, v60 offset:20
	v_mov_b32_e32 v65, v4
	ds_bpermute_b32 v73, v2, v61 offset:16
	ds_bpermute_b32 v74, v2, v61 offset:20
	s_mov_b32 s20, 0
	s_wait_dscnt 0xb
	v_dual_mov_b32 v67, v5 :: v_dual_sub_f32 v3, v12, v3
	s_wait_dscnt 0xa
	v_sub_f32_e32 v12, v13, v63
	ds_bpermute_b32 v63, v2, v60 offset:24
	v_dual_mov_b32 v13, v6 :: v_dual_mul_f32 v3, v4, v3
	s_wait_dscnt 0xa
	v_sub_f32_e32 v4, v14, v64
	v_dual_mul_f32 v12, v5, v12 :: v_dual_mov_b32 v5, v7
	s_wait_dscnt 0x5
	v_dual_sub_f32 v16, v16, v72 :: v_dual_mul_f32 v64, v3, v66
	s_delay_alu instid0(VALU_DEP_2) | instskip(SKIP_1) | instid1(VALU_DEP_3)
	v_dual_sub_f32 v3, v15, v68 :: v_dual_mul_f32 v66, v12, v69
	v_mul_f32_e32 v4, v6, v4
	v_pk_add_f32 v[14:15], v[20:21], v[64:65]
	ds_bpermute_b32 v64, v2, v61 offset:24
	v_dual_mul_f32 v3, v7, v3 :: v_dual_mul_f32 v12, v4, v70
	v_pk_add_f32 v[6:7], v[66:67], v[14:15]
	s_wait_dscnt 0x4
	v_dual_sub_f32 v14, v17, v75 :: v_dual_mov_b32 v15, v8
	s_delay_alu instid0(VALU_DEP_3) | instskip(NEXT) | instid1(VALU_DEP_3)
	v_dual_mul_f32 v8, v8, v16 :: v_dual_mul_f32 v4, v3, v71
	v_pk_add_f32 v[6:7], v[12:13], v[6:7]
	ds_bpermute_b32 v3, v2, v61 offset:28
	s_wait_dscnt 0x2
	v_dual_sub_f32 v12, v18, v63 :: v_dual_mul_f32 v13, v9, v14
	v_mul_f32_e32 v14, v8, v73
	v_pk_add_f32 v[6:7], v[4:5], v[6:7]
	ds_bpermute_b32 v4, v2, v60 offset:28
	v_dual_mul_f32 v5, v10, v12 :: v_dual_mul_f32 v8, v13, v74
	v_mov_b32_e32 v13, v10
	v_pk_add_f32 v[6:7], v[14:15], v[6:7]
	s_wait_dscnt 0x2
	s_delay_alu instid0(VALU_DEP_3) | instskip(NEXT) | instid1(VALU_DEP_2)
	v_mul_f32_e32 v12, v5, v64
	v_pk_add_f32 v[6:7], v[8:9], v[6:7]
	s_delay_alu instid0(VALU_DEP_1)
	v_pk_add_f32 v[60:61], v[12:13], v[6:7]
.LBB57_27:                              ;   in Loop: Header=BB57_5 Depth=1
	s_and_b32 vcc_lo, exec_lo, s20
	s_cbranch_vccz .LBB57_4
; %bb.28:                               ;   in Loop: Header=BB57_5 Depth=1
	s_load_b32 s20, s[22:23], 0x0
	v_dual_mov_b32 v60, 0 :: v_dual_mov_b32 v61, 0
	s_wait_kmcnt 0x0
	s_cmp_lt_u32 s16, s20
	s_cselect_b32 s20, 12, 18
	s_delay_alu instid0(SALU_CYCLE_1)
	s_add_nc_u64 s[50:51], s[22:23], s[20:21]
	s_load_u16 s20, s[50:51], 0x0
	s_wait_dscnt 0x1
	s_wait_kmcnt 0x0
	v_mad_u32_u24 v3, v1, s20, v62
	s_mov_b32 s20, exec_lo
	s_wait_dscnt 0x0
	s_delay_alu instid0(VALU_DEP_1) | instskip(NEXT) | instid1(VALU_DEP_1)
	v_and_b32_e32 v4, 31, v3
	v_cmpx_gt_u32_e32 8, v4
	s_cbranch_execz .LBB57_32
; %bb.29:                               ;   in Loop: Header=BB57_5 Depth=1
	v_dual_mov_b32 v5, v2 :: v_dual_mov_b32 v60, 0
	v_mov_b32_e32 v61, 0
	s_mov_b32 s33, exec_lo
	s_delay_alu instid0(VALU_DEP_2) | instskip(NEXT) | instid1(VALU_DEP_1)
	v_add_nc_u64_e32 v[4:5], v[58:59], v[4:5]
	v_add_nc_u64_e32 v[4:5], s[24:25], v[4:5]
	s_delay_alu instid0(VALU_DEP_1)
	v_cmpx_gt_i64_e64 s[4:5], v[4:5]
	s_cbranch_execz .LBB57_31
; %bb.30:                               ;   in Loop: Header=BB57_5 Depth=1
	v_lshlrev_b64_e32 v[4:5], 2, v[4:5]
	s_delay_alu instid0(VALU_DEP_1)
	v_add_nc_u64_e32 v[6:7], s[12:13], v[4:5]
	v_add_nc_u64_e32 v[4:5], s[14:15], v[4:5]
	global_load_b32 v60, v[6:7], off
	global_load_b32 v61, v[4:5], off
.LBB57_31:                              ;   in Loop: Header=BB57_5 Depth=1
	s_wait_xcnt 0x0
	s_or_b32 exec_lo, exec_lo, s33
.LBB57_32:                              ;   in Loop: Header=BB57_5 Depth=1
	s_delay_alu instid0(SALU_CYCLE_1) | instskip(SKIP_4) | instid1(VALU_DEP_3)
	s_or_b32 exec_lo, exec_lo, s20
	v_dual_mov_b32 v7, v2 :: v_dual_mov_b32 v8, v2
	v_dual_mov_b32 v9, v2 :: v_dual_mov_b32 v3, v2
	;; [unrolled: 1-line block ×3, first 2 shown]
	v_mov_b32_e32 v6, v2
	v_mov_b64_e32 v[18:19], v[8:9]
	s_delay_alu instid0(VALU_DEP_4) | instskip(NEXT) | instid1(VALU_DEP_4)
	v_mov_b64_e32 v[12:13], v[2:3]
	v_mov_b64_e32 v[14:15], v[4:5]
	s_delay_alu instid0(VALU_DEP_4)
	v_mov_b64_e32 v[16:17], v[6:7]
	v_mov_b64_e32 v[10:11], v[8:9]
	;; [unrolled: 1-line block ×5, first 2 shown]
	s_and_saveexec_b32 s20, s2
	s_cbranch_execnz .LBB57_40
; %bb.33:                               ;   in Loop: Header=BB57_5 Depth=1
	s_or_b32 exec_lo, exec_lo, s20
	s_and_saveexec_b32 s20, s2
	s_cbranch_execnz .LBB57_41
.LBB57_34:                              ;   in Loop: Header=BB57_5 Depth=1
	s_or_b32 exec_lo, exec_lo, s20
	s_and_saveexec_b32 s20, s2
	s_cbranch_execnz .LBB57_42
.LBB57_35:                              ;   in Loop: Header=BB57_5 Depth=1
	s_or_b32 exec_lo, exec_lo, s20
	s_and_saveexec_b32 s20, s2
	s_cbranch_execnz .LBB57_43
.LBB57_36:                              ;   in Loop: Header=BB57_5 Depth=1
	s_or_b32 exec_lo, exec_lo, s20
	s_and_saveexec_b32 s20, s2
	s_cbranch_execnz .LBB57_44
.LBB57_37:                              ;   in Loop: Header=BB57_5 Depth=1
	s_or_b32 exec_lo, exec_lo, s20
	s_and_saveexec_b32 s20, s2
	s_cbranch_execnz .LBB57_45
.LBB57_38:                              ;   in Loop: Header=BB57_5 Depth=1
	s_or_b32 exec_lo, exec_lo, s20
	s_and_saveexec_b32 s20, s2
	s_cbranch_execnz .LBB57_46
.LBB57_39:                              ;   in Loop: Header=BB57_5 Depth=1
	s_or_b32 exec_lo, exec_lo, s20
	s_and_saveexec_b32 s20, s2
	s_cbranch_execz .LBB57_3
	s_branch .LBB57_47
.LBB57_40:                              ;   in Loop: Header=BB57_5 Depth=1
	v_add_nc_u64_e32 v[6:7], v[26:27], v[24:25]
	v_add_nc_u64_e32 v[8:9], v[28:29], v[24:25]
	v_dual_mov_b32 v5, v2 :: v_dual_mov_b32 v11, v2
	v_dual_mov_b32 v13, v2 :: v_dual_mov_b32 v14, v2
	v_mov_b32_e32 v15, v2
	global_load_b32 v4, v[6:7], off
	global_load_b32 v12, v[8:9], off
	s_wait_xcnt 0x1
	v_dual_mov_b32 v6, v2 :: v_dual_mov_b32 v7, v2
	s_wait_xcnt 0x0
	v_dual_mov_b32 v8, v2 :: v_dual_mov_b32 v9, v2
	v_dual_mov_b32 v10, v2 :: v_dual_mov_b32 v16, v2
	;; [unrolled: 1-line block ×3, first 2 shown]
	v_mov_b32_e32 v19, v2
	s_or_b32 exec_lo, exec_lo, s20
	s_and_saveexec_b32 s20, s2
	s_cbranch_execz .LBB57_34
.LBB57_41:                              ;   in Loop: Header=BB57_5 Depth=1
	v_add_nc_u64_e32 v[58:59], v[54:55], v[24:25]
	v_add_nc_u64_e32 v[64:65], v[56:57], v[24:25]
	global_load_b32 v5, v[58:59], off
	global_load_b32 v13, v[64:65], off
	s_wait_xcnt 0x0
	s_or_b32 exec_lo, exec_lo, s20
	s_and_saveexec_b32 s20, s2
	s_cbranch_execz .LBB57_35
.LBB57_42:                              ;   in Loop: Header=BB57_5 Depth=1
	v_add_nc_u64_e32 v[58:59], v[50:51], v[24:25]
	v_add_nc_u64_e32 v[64:65], v[52:53], v[24:25]
	global_load_b32 v6, v[58:59], off
	global_load_b32 v14, v[64:65], off
	s_wait_xcnt 0x0
	s_or_b32 exec_lo, exec_lo, s20
	s_and_saveexec_b32 s20, s2
	s_cbranch_execz .LBB57_36
.LBB57_43:                              ;   in Loop: Header=BB57_5 Depth=1
	v_add_nc_u64_e32 v[58:59], v[46:47], v[24:25]
	v_add_nc_u64_e32 v[64:65], v[48:49], v[24:25]
	global_load_b32 v7, v[58:59], off
	global_load_b32 v15, v[64:65], off
	s_wait_xcnt 0x0
	s_or_b32 exec_lo, exec_lo, s20
	s_and_saveexec_b32 s20, s2
	s_cbranch_execz .LBB57_37
.LBB57_44:                              ;   in Loop: Header=BB57_5 Depth=1
	v_add_nc_u64_e32 v[58:59], v[42:43], v[24:25]
	v_add_nc_u64_e32 v[64:65], v[44:45], v[24:25]
	global_load_b32 v8, v[58:59], off
	global_load_b32 v16, v[64:65], off
	s_wait_xcnt 0x0
	s_or_b32 exec_lo, exec_lo, s20
	s_and_saveexec_b32 s20, s2
	s_cbranch_execz .LBB57_38
.LBB57_45:                              ;   in Loop: Header=BB57_5 Depth=1
	v_add_nc_u64_e32 v[58:59], v[38:39], v[24:25]
	v_add_nc_u64_e32 v[64:65], v[40:41], v[24:25]
	global_load_b32 v9, v[58:59], off
	global_load_b32 v17, v[64:65], off
	s_wait_xcnt 0x0
	s_or_b32 exec_lo, exec_lo, s20
	s_and_saveexec_b32 s20, s2
	s_cbranch_execz .LBB57_39
.LBB57_46:                              ;   in Loop: Header=BB57_5 Depth=1
	v_add_nc_u64_e32 v[58:59], v[34:35], v[24:25]
	v_add_nc_u64_e32 v[64:65], v[36:37], v[24:25]
	global_load_b32 v10, v[58:59], off
	global_load_b32 v18, v[64:65], off
	s_wait_xcnt 0x0
	s_or_b32 exec_lo, exec_lo, s20
	s_and_saveexec_b32 s20, s2
	s_cbranch_execz .LBB57_3
.LBB57_47:                              ;   in Loop: Header=BB57_5 Depth=1
	v_add_nc_u64_e32 v[58:59], v[30:31], v[24:25]
	v_add_nc_u64_e32 v[64:65], v[32:33], v[24:25]
	global_load_b32 v11, v[58:59], off
	global_load_b32 v19, v[64:65], off
	s_branch .LBB57_3
.LBB57_48:
                                        ; implicit-def: $vgpr21
	s_branch .LBB57_50
.LBB57_49:
	s_cbranch_execnz .LBB57_81
.LBB57_50:
	v_mov_b32_e32 v21, 0
	s_and_not1_b32 vcc_lo, exec_lo, s17
	s_delay_alu instid0(VALU_DEP_1)
	v_mov_b32_e32 v20, v21
	s_cbranch_vccnz .LBB57_81
; %bb.51:
	v_bfe_u32 v1, v0, 10, 10
	v_mov_b32_e32 v2, 0
	v_and_b32_e32 v88, 0x3ff, v0
	s_load_b32 s2, s[0:1], 0x44
	s_mov_b64 s[22:23], 0xffffffffffffff83
	s_delay_alu instid0(VALU_DEP_2) | instskip(SKIP_3) | instid1(VALU_DEP_2)
	v_dual_mov_b32 v5, v2 :: v_dual_lshlrev_b32 v4, 5, v1
	v_dual_mov_b32 v23, v2 :: v_dual_lshlrev_b32 v22, 3, v1
	s_mov_b64 s[24:25], 0xffffffffffffff84
	s_mov_b64 s[26:27], 0xffffffffffffff85
	v_lshl_add_u64 v[8:9], s[18:19], 2, v[4:5]
	s_mov_b64 s[28:29], 0xffffffffffffff86
	v_add_nc_u64_e32 v[4:5], s[18:19], v[22:23]
	s_mov_b64 s[30:31], 0xffffffffffffff87
	s_mov_b64 s[34:35], 0xffffffffffffff88
	v_add_nc_u64_e32 v[10:11], 4, v[8:9]
	v_add_nc_u64_e32 v[12:13], 8, v[8:9]
	;; [unrolled: 1-line block ×4, first 2 shown]
	v_mul_u64_e32 v[6:7], s[6:7], v[4:5]
	v_add_nc_u64_e32 v[44:45], 4, v[4:5]
	v_add_nc_u64_e32 v[18:19], 20, v[8:9]
	v_mad_nc_u64_u32 v[24:25], s6, v10, s[8:9]
	v_mul_lo_u32 v3, s6, v11
	v_mul_lo_u32 v42, s7, v10
	v_mad_nc_u64_u32 v[26:27], s6, v12, s[8:9]
	v_mul_lo_u32 v43, s6, v13
	v_mul_lo_u32 v46, s7, v12
	v_mad_nc_u64_u32 v[34:35], s6, v10, s[10:11]
	v_mad_nc_u64_u32 v[36:37], s6, v12, s[10:11]
	v_add_nc_u64_e32 v[10:11], 7, v[4:5]
	v_add_nc_u64_e32 v[12:13], 6, v[4:5]
	v_mad_nc_u64_u32 v[28:29], s6, v14, s[8:9]
	v_mul_lo_u32 v52, s6, v15
	v_mul_lo_u32 v53, s7, v14
	v_mad_nc_u64_u32 v[30:31], s6, v16, s[8:9]
	v_mul_lo_u32 v54, s6, v17
	v_mul_lo_u32 v55, s7, v16
	v_add3_u32 v25, v42, v25, v3
	v_add3_u32 v27, v46, v27, v43
	v_mad_nc_u64_u32 v[40:41], s6, v14, s[10:11]
	v_mul_u64_e32 v[10:11], s[6:7], v[10:11]
	v_add3_u32 v35, v42, v35, v3
	v_add_nc_u64_e32 v[14:15], 5, v[4:5]
	v_mul_u64_e32 v[12:13], s[6:7], v[12:13]
	v_add3_u32 v37, v46, v37, v43
	v_mad_nc_u64_u32 v[42:43], s6, v16, s[10:11]
	v_add_nc_u64_e32 v[16:17], 3, v[4:5]
	v_add_nc_u64_e32 v[4:5], 2, v[4:5]
	v_mul_u64_e32 v[62:63], s[6:7], v[44:45]
	v_mul_u64_e32 v[14:15], s[6:7], v[14:15]
	v_add_nc_u64_e32 v[20:21], 24, v[8:9]
	v_add_nc_u64_e32 v[8:9], 28, v[8:9]
	v_mad_nc_u64_u32 v[32:33], s6, v18, s[8:9]
	v_mul_u64_e32 v[16:17], s[6:7], v[16:17]
	v_mul_u64_e32 v[4:5], s[6:7], v[4:5]
	v_mul_lo_u32 v19, s6, v19
	v_mul_lo_u32 v56, s7, v18
	v_mad_nc_u64_u32 v[44:45], s6, v18, s[10:11]
	v_mad_nc_u64_u32 v[46:47], s6, v8, s[8:9]
	v_mul_lo_u32 v3, s6, v9
	v_mul_lo_u32 v18, s7, v8
	v_mad_nc_u64_u32 v[50:51], s6, v8, s[10:11]
	v_dual_mov_b32 v9, v2 :: v_dual_add_nc_u32 v8, s3, v88
	v_add3_u32 v29, v53, v29, v52
	v_mad_nc_u64_u32 v[38:39], s6, v20, s[8:9]
	v_mul_lo_u32 v57, s7, v20
	v_add3_u32 v33, v56, v33, v19
	v_mad_nc_u64_u32 v[48:49], s6, v20, s[10:11]
	v_add3_u32 v41, v53, v41, v52
	v_add3_u32 v45, v56, v45, v19
	;; [unrolled: 1-line block ×4, first 2 shown]
	v_lshlrev_b64_e32 v[18:19], 2, v[6:7]
	v_lshlrev_b64_e32 v[10:11], 2, v[10:11]
	v_add_nc_u64_e32 v[6:7], s[6:7], v[6:7]
	v_mov_b32_e32 v20, 0
	v_lshlrev_b64_e32 v[52:53], 2, v[8:9]
	v_lshlrev_b64_e32 v[8:9], 2, v[12:13]
	v_mul_lo_u32 v21, s6, v21
	v_lshlrev_b64_e32 v[12:13], 2, v[62:63]
	v_add_nc_u64_e32 v[58:59], s[8:9], v[10:11]
	v_add_nc_u64_e32 v[60:61], s[10:11], v[10:11]
	v_lshlrev_b64_e32 v[10:11], 2, v[14:15]
	v_lshlrev_b64_e32 v[6:7], 2, v[6:7]
	v_add_nc_u64_e32 v[62:63], s[8:9], v[8:9]
	v_add_nc_u64_e32 v[64:65], s[10:11], v[8:9]
	v_lshlrev_b64_e32 v[8:9], 2, v[16:17]
	v_lshlrev_b64_e32 v[4:5], 2, v[4:5]
	s_mov_b32 s3, 0
	v_add3_u32 v31, v55, v31, v54
	v_add3_u32 v43, v55, v43, v54
	;; [unrolled: 1-line block ×4, first 2 shown]
	v_add_nc_u64_e32 v[54:55], s[8:9], v[18:19]
	v_add_nc_u64_e32 v[56:57], s[10:11], v[18:19]
	;; [unrolled: 1-line block ×12, first 2 shown]
	s_wait_kmcnt 0x0
	s_lshl_b32 s20, s2, 7
	s_mov_b32 s21, s3
	v_mov_b32_e32 v21, v2
	s_mul_u64 s[38:39], s[6:7], s[20:21]
	s_mov_b64 s[8:9], 0xffffffffffffff81
	s_mov_b64 s[10:11], 0xffffffffffffff82
	s_add_nc_u64 s[36:37], s[0:1], 64
	s_lshl_b64 s[38:39], s[38:39], 2
	s_add_nc_u64 s[40:41], s[18:19], 0x7f
	s_branch .LBB57_55
.LBB57_52:                              ;   in Loop: Header=BB57_55 Depth=1
	s_wait_xcnt 0x0
	s_or_b32 exec_lo, exec_lo, s17
.LBB57_53:                              ;   in Loop: Header=BB57_55 Depth=1
	s_delay_alu instid0(SALU_CYCLE_1)
	s_or_b32 exec_lo, exec_lo, s2
	v_add_nc_u64_e32 v[4:5], v[56:57], v[52:53]
	v_add_nc_u64_e32 v[8:9], v[34:35], v[52:53]
	;; [unrolled: 1-line block ×7, first 2 shown]
	global_load_b32 v86, v[4:5], off
	s_wait_xcnt 0x0
	v_add_nc_u64_e32 v[4:5], v[36:37], v[52:53]
	global_load_b32 v8, v[8:9], off
	global_load_b32 v9, v[10:11], off
	s_wait_xcnt 0x0
	v_add_nc_u64_e32 v[10:11], v[26:27], v[52:53]
	s_wait_loadcnt 0x3
	ds_bpermute_b32 v91, v2, v3
	ds_bpermute_b32 v92, v2, v6 offset:12
	ds_bpermute_b32 v93, v2, v3 offset:4
	global_load_b32 v4, v[4:5], off
	global_load_b32 v5, v[12:13], off
	s_wait_xcnt 0x0
	v_add_nc_u64_e32 v[12:13], v[42:43], v[52:53]
	global_load_b32 v89, v[14:15], off
	global_load_b32 v7, v[10:11], off
	s_wait_xcnt 0x0
	v_add_nc_u64_e32 v[10:11], v[44:45], v[52:53]
	v_add_nc_u64_e32 v[14:15], v[30:31], v[52:53]
	ds_bpermute_b32 v94, v2, v6 offset:16
	global_load_b32 v12, v[12:13], off
	global_load_b32 v13, v[16:17], off
	s_wait_xcnt 0x0
	v_add_nc_u64_e32 v[16:17], v[48:49], v[52:53]
	global_load_b32 v90, v[10:11], off
	global_load_b32 v15, v[14:15], off
	s_wait_xcnt 0x1
	v_add_nc_u64_e32 v[10:11], v[38:39], v[52:53]
	ds_bpermute_b32 v95, v2, v3 offset:8
	global_load_b32 v14, v[16:17], off
	global_load_b32 v17, v[18:19], off
	s_wait_xcnt 0x0
	v_add_nc_u64_e32 v[18:19], v[50:51], v[52:53]
	global_load_b32 v87, v[10:11], off
	s_wait_xcnt 0x0
	v_add_nc_u64_e32 v[10:11], v[46:47], v[52:53]
	global_load_b32 v18, v[18:19], off
	global_load_b32 v11, v[10:11], off
	s_wait_xcnt 0x0
	ds_bpermute_b32 v10, v2, v6
	ds_bpermute_b32 v16, v2, v6 offset:4
	ds_bpermute_b32 v19, v2, v6 offset:8
	;; [unrolled: 1-line block ×5, first 2 shown]
	s_wait_loadcnt_dscnt 0xe04
	v_dual_sub_f32 v10, v86, v10 :: v_dual_sub_f32 v8, v8, v16
	ds_bpermute_b32 v86, v2, v6 offset:20
	ds_bpermute_b32 v16, v2, v3 offset:16
	s_wait_loadcnt_dscnt 0xc05
	v_dual_mul_f32 v10, v9, v10 :: v_dual_sub_f32 v4, v4, v19
	s_wait_loadcnt 0xb
	s_delay_alu instid0(VALU_DEP_1)
	v_dual_mul_f32 v19, v5, v8 :: v_dual_mul_f32 v8, v10, v91
	ds_bpermute_b32 v10, v2, v6 offset:28
	s_wait_loadcnt 0xa
	v_sub_f32_e32 v6, v89, v92
	s_wait_loadcnt 0x9
	v_mul_f32_e32 v89, v7, v4
	v_mul_f32_e32 v4, v19, v93
	v_pk_add_f32 v[8:9], v[20:21], v[8:9]
	ds_bpermute_b32 v19, v2, v3 offset:24
	s_wait_loadcnt 0x8
	v_sub_f32_e32 v12, v12, v94
	s_wait_loadcnt 0x7
	v_mul_f32_e32 v20, v13, v6
	v_mul_f32_e32 v6, v89, v95
	v_pk_add_f32 v[4:5], v[8:9], v[4:5]
	ds_bpermute_b32 v3, v2, v3 offset:28
	s_wait_loadcnt_dscnt 0x504
	v_dual_sub_f32 v8, v90, v86 :: v_dual_mul_f32 v9, v15, v12
	v_mul_f32_e32 v12, v20, v96
	v_pk_add_f32 v[4:5], v[4:5], v[6:7]
	s_wait_loadcnt 0x3
	s_delay_alu instid0(VALU_DEP_3) | instskip(NEXT) | instid1(VALU_DEP_2)
	v_dual_sub_f32 v6, v14, v97 :: v_dual_mul_f32 v7, v17, v8
	v_pk_add_f32 v[4:5], v[4:5], v[12:13]
	s_wait_loadcnt_dscnt 0x203
	s_delay_alu instid0(VALU_DEP_2) | instskip(NEXT) | instid1(VALU_DEP_3)
	v_dual_mul_f32 v6, v87, v6 :: v_dual_mul_f32 v14, v9, v16
	v_mul_f32_e32 v16, v7, v98
	s_wait_loadcnt_dscnt 0x102
	v_sub_f32_e32 v7, v18, v10
	s_wait_dscnt 0x1
	v_mul_f32_e32 v86, v6, v19
	v_pk_add_f32 v[4:5], v[4:5], v[14:15]
	s_wait_loadcnt 0x0
	v_mul_f32_e32 v6, v11, v7
	s_delay_alu instid0(VALU_DEP_2) | instskip(SKIP_1) | instid1(VALU_DEP_2)
	v_pk_add_f32 v[4:5], v[4:5], v[16:17]
	s_wait_dscnt 0x0
	v_mul_f32_e32 v10, v6, v3
	s_delay_alu instid0(VALU_DEP_2)
	v_pk_add_f32 v[4:5], v[4:5], v[86:87]
.LBB57_54:                              ;   in Loop: Header=BB57_55 Depth=1
	s_add_nc_u64 s[18:19], s[18:19], s[20:21]
	v_add_nc_u64_e32 v[54:55], s[38:39], v[54:55]
	v_cmp_ge_i64_e64 s2, s[18:19], s[4:5]
	v_add_nc_u64_e32 v[56:57], s[38:39], v[56:57]
	v_add_nc_u64_e32 v[24:25], s[38:39], v[24:25]
	;; [unrolled: 1-line block ×29, first 2 shown]
	v_pk_add_f32 v[20:21], v[4:5], v[10:11]
	s_and_b32 vcc_lo, exec_lo, s2
	s_add_nc_u64 s[40:41], s[40:41], s[20:21]
	s_cbranch_vccnz .LBB57_81
.LBB57_55:                              ; =>This Inner Loop Header: Depth=1
	v_cmp_ge_i64_e64 s2, s[40:41], s[4:5]
	v_add_nc_u64_e32 v[86:87], s[40:41], v[22:23]
                                        ; implicit-def: $vgpr4_vgpr5
                                        ; implicit-def: $vgpr10_vgpr11
	s_and_b32 vcc_lo, exec_lo, s2
	s_mov_b32 s2, -1
	s_cbranch_vccz .LBB57_77
; %bb.56:                               ;   in Loop: Header=BB57_55 Depth=1
	s_load_b32 s2, s[36:37], 0xc
	v_dual_mov_b32 v90, 0 :: v_dual_mov_b32 v89, 0
	s_wait_kmcnt 0x0
	s_and_b32 s2, s2, 0xffff
	s_delay_alu instid0(SALU_CYCLE_1) | instskip(SKIP_1) | instid1(VALU_DEP_1)
	v_mad_u32_u24 v3, v1, s2, v88
	s_mov_b32 s2, exec_lo
	v_and_b32_e32 v4, 31, v3
	s_delay_alu instid0(VALU_DEP_1)
	v_cmpx_gt_u32_e32 8, v4
	s_cbranch_execz .LBB57_60
; %bb.57:                               ;   in Loop: Header=BB57_55 Depth=1
	v_dual_mov_b32 v5, v2 :: v_dual_mov_b32 v90, 0
	v_mov_b32_e32 v89, 0
	s_mov_b32 s17, exec_lo
	s_delay_alu instid0(VALU_DEP_2) | instskip(NEXT) | instid1(VALU_DEP_1)
	v_add_nc_u64_e32 v[4:5], v[86:87], v[4:5]
	v_add_nc_u64_e32 v[4:5], s[8:9], v[4:5]
	s_delay_alu instid0(VALU_DEP_1)
	v_cmpx_gt_i64_e64 s[4:5], v[4:5]
	s_cbranch_execz .LBB57_59
; %bb.58:                               ;   in Loop: Header=BB57_55 Depth=1
	v_lshlrev_b64_e32 v[4:5], 2, v[4:5]
	s_delay_alu instid0(VALU_DEP_1)
	v_add_nc_u64_e32 v[6:7], s[12:13], v[4:5]
	v_add_nc_u64_e32 v[4:5], s[14:15], v[4:5]
	global_load_b32 v90, v[6:7], off
	global_load_b32 v89, v[4:5], off
.LBB57_59:                              ;   in Loop: Header=BB57_55 Depth=1
	s_wait_xcnt 0x0
	s_or_b32 exec_lo, exec_lo, s17
.LBB57_60:                              ;   in Loop: Header=BB57_55 Depth=1
	s_delay_alu instid0(SALU_CYCLE_1)
	s_or_b32 exec_lo, exec_lo, s2
	v_add_nc_u64_e32 v[10:11], s[8:9], v[86:87]
	v_dual_mov_b32 v7, v2 :: v_dual_mov_b32 v8, v2
	v_dual_mov_b32 v9, v2 :: v_dual_mov_b32 v3, v2
	;; [unrolled: 1-line block ×3, first 2 shown]
	v_mov_b32_e32 v6, v2
	s_delay_alu instid0(VALU_DEP_3)
	v_mov_b64_e32 v[18:19], v[8:9]
	v_cmp_gt_i64_e32 vcc_lo, s[4:5], v[10:11]
	v_mov_b64_e32 v[12:13], v[2:3]
	v_mov_b64_e32 v[14:15], v[4:5]
	;; [unrolled: 1-line block ×7, first 2 shown]
	s_and_saveexec_b32 s2, vcc_lo
	s_cbranch_execz .LBB57_62
; %bb.61:                               ;   in Loop: Header=BB57_55 Depth=1
	v_add_nc_u64_e32 v[4:5], v[54:55], v[52:53]
	v_add_nc_u64_e32 v[6:7], v[56:57], v[52:53]
	v_dual_mov_b32 v9, v2 :: v_dual_mov_b32 v10, v2
	v_dual_mov_b32 v11, v2 :: v_dual_mov_b32 v13, v2
	v_dual_mov_b32 v14, v2 :: v_dual_mov_b32 v15, v2
	global_load_b32 v4, v[4:5], off
	global_load_b32 v12, v[6:7], off
	s_wait_xcnt 0x0
	v_dual_mov_b32 v5, v2 :: v_dual_mov_b32 v6, v2
	v_dual_mov_b32 v7, v2 :: v_dual_mov_b32 v8, v2
	;; [unrolled: 1-line block ×4, first 2 shown]
.LBB57_62:                              ;   in Loop: Header=BB57_55 Depth=1
	s_or_b32 exec_lo, exec_lo, s2
	v_add_nc_u64_e32 v[92:93], s[10:11], v[86:87]
	s_mov_b32 s2, exec_lo
	s_delay_alu instid0(VALU_DEP_1)
	v_cmpx_gt_i64_e64 s[4:5], v[92:93]
	s_cbranch_execz .LBB57_64
; %bb.63:                               ;   in Loop: Header=BB57_55 Depth=1
	v_add_nc_u64_e32 v[92:93], v[82:83], v[52:53]
	v_add_nc_u64_e32 v[94:95], v[84:85], v[52:53]
	global_load_b32 v5, v[92:93], off
	global_load_b32 v13, v[94:95], off
.LBB57_64:                              ;   in Loop: Header=BB57_55 Depth=1
	s_wait_xcnt 0x0
	s_or_b32 exec_lo, exec_lo, s2
	v_add_nc_u64_e32 v[92:93], s[22:23], v[86:87]
	s_mov_b32 s2, exec_lo
	s_delay_alu instid0(VALU_DEP_1)
	v_cmpx_gt_i64_e64 s[4:5], v[92:93]
	s_cbranch_execz .LBB57_66
; %bb.65:                               ;   in Loop: Header=BB57_55 Depth=1
	v_add_nc_u64_e32 v[92:93], v[78:79], v[52:53]
	v_add_nc_u64_e32 v[94:95], v[80:81], v[52:53]
	global_load_b32 v6, v[92:93], off
	global_load_b32 v14, v[94:95], off
.LBB57_66:                              ;   in Loop: Header=BB57_55 Depth=1
	s_wait_xcnt 0x0
	s_or_b32 exec_lo, exec_lo, s2
	v_add_nc_u64_e32 v[92:93], s[24:25], v[86:87]
	s_mov_b32 s2, exec_lo
	s_delay_alu instid0(VALU_DEP_1)
	v_cmpx_gt_i64_e64 s[4:5], v[92:93]
	s_cbranch_execz .LBB57_68
; %bb.67:                               ;   in Loop: Header=BB57_55 Depth=1
	v_add_nc_u64_e32 v[92:93], v[74:75], v[52:53]
	v_add_nc_u64_e32 v[94:95], v[76:77], v[52:53]
	global_load_b32 v7, v[92:93], off
	global_load_b32 v15, v[94:95], off
.LBB57_68:                              ;   in Loop: Header=BB57_55 Depth=1
	s_wait_xcnt 0x0
	s_or_b32 exec_lo, exec_lo, s2
	v_add_nc_u64_e32 v[92:93], s[26:27], v[86:87]
	s_mov_b32 s2, exec_lo
	s_delay_alu instid0(VALU_DEP_1)
	v_cmpx_gt_i64_e64 s[4:5], v[92:93]
	s_cbranch_execz .LBB57_70
; %bb.69:                               ;   in Loop: Header=BB57_55 Depth=1
	v_add_nc_u64_e32 v[92:93], v[70:71], v[52:53]
	v_add_nc_u64_e32 v[94:95], v[72:73], v[52:53]
	global_load_b32 v8, v[92:93], off
	global_load_b32 v16, v[94:95], off
.LBB57_70:                              ;   in Loop: Header=BB57_55 Depth=1
	s_wait_xcnt 0x0
	s_or_b32 exec_lo, exec_lo, s2
	v_add_nc_u64_e32 v[92:93], s[28:29], v[86:87]
	s_mov_b32 s2, exec_lo
	s_delay_alu instid0(VALU_DEP_1)
	v_cmpx_gt_i64_e64 s[4:5], v[92:93]
	s_cbranch_execz .LBB57_72
; %bb.71:                               ;   in Loop: Header=BB57_55 Depth=1
	v_add_nc_u64_e32 v[92:93], v[66:67], v[52:53]
	v_add_nc_u64_e32 v[94:95], v[68:69], v[52:53]
	global_load_b32 v9, v[92:93], off
	global_load_b32 v17, v[94:95], off
.LBB57_72:                              ;   in Loop: Header=BB57_55 Depth=1
	s_wait_xcnt 0x0
	s_or_b32 exec_lo, exec_lo, s2
	v_add_nc_u64_e32 v[92:93], s[30:31], v[86:87]
	s_mov_b32 s2, exec_lo
	s_delay_alu instid0(VALU_DEP_1)
	v_cmpx_gt_i64_e64 s[4:5], v[92:93]
	s_cbranch_execz .LBB57_74
; %bb.73:                               ;   in Loop: Header=BB57_55 Depth=1
	v_add_nc_u64_e32 v[92:93], v[62:63], v[52:53]
	v_add_nc_u64_e32 v[94:95], v[64:65], v[52:53]
	global_load_b32 v10, v[92:93], off
	global_load_b32 v18, v[94:95], off
.LBB57_74:                              ;   in Loop: Header=BB57_55 Depth=1
	s_wait_xcnt 0x0
	s_or_b32 exec_lo, exec_lo, s2
	v_add_nc_u64_e32 v[92:93], s[34:35], v[86:87]
	s_mov_b32 s2, exec_lo
	s_delay_alu instid0(VALU_DEP_1)
	v_cmpx_gt_i64_e64 s[4:5], v[92:93]
	s_cbranch_execz .LBB57_76
; %bb.75:                               ;   in Loop: Header=BB57_55 Depth=1
	v_add_nc_u64_e32 v[92:93], v[58:59], v[52:53]
	v_add_nc_u64_e32 v[94:95], v[60:61], v[52:53]
	global_load_b32 v11, v[92:93], off
	global_load_b32 v19, v[94:95], off
.LBB57_76:                              ;   in Loop: Header=BB57_55 Depth=1
	s_wait_xcnt 0x0
	s_or_b32 exec_lo, exec_lo, s2
	s_wait_loadcnt 0x1
	ds_bpermute_b32 v3, v2, v90
	ds_bpermute_b32 v92, v2, v90 offset:4
	ds_bpermute_b32 v94, v2, v90 offset:8
	s_wait_loadcnt 0x0
	ds_bpermute_b32 v96, v2, v89
	ds_bpermute_b32 v97, v2, v90 offset:12
	ds_bpermute_b32 v98, v2, v89 offset:4
	;; [unrolled: 1-line block ×7, first 2 shown]
	v_dual_mov_b32 v93, v4 :: v_dual_mov_b32 v91, v6
	ds_bpermute_b32 v105, v2, v90 offset:24
	ds_bpermute_b32 v103, v2, v89 offset:20
	s_mov_b32 s2, 0
	s_wait_dscnt 0xc
	v_dual_mov_b32 v95, v5 :: v_dual_sub_f32 v3, v12, v3
	s_wait_dscnt 0xb
	v_dual_sub_f32 v12, v13, v92 :: v_dual_mov_b32 v13, v7
	s_wait_dscnt 0xa
	s_delay_alu instid0(VALU_DEP_2) | instskip(SKIP_1) | instid1(VALU_DEP_2)
	v_dual_mul_f32 v3, v4, v3 :: v_dual_sub_f32 v4, v14, v94
	s_wait_dscnt 0x8
	v_dual_mul_f32 v5, v5, v12 :: v_dual_sub_f32 v12, v15, v97
	ds_bpermute_b32 v14, v2, v90 offset:28
	v_mul_f32_e32 v92, v3, v96
	s_wait_dscnt 0x6
	v_dual_mul_f32 v6, v6, v4 :: v_dual_sub_f32 v15, v16, v102
	v_mul_f32_e32 v94, v5, v98
	ds_bpermute_b32 v3, v2, v89 offset:24
	v_pk_add_f32 v[4:5], v[20:21], v[92:93]
	v_dual_mul_f32 v12, v7, v12 :: v_dual_mul_f32 v90, v6, v99
	s_wait_dscnt 0x5
	v_dual_mov_b32 v7, v8 :: v_dual_sub_f32 v6, v17, v104
	s_delay_alu instid0(VALU_DEP_3) | instskip(SKIP_2) | instid1(VALU_DEP_3)
	v_pk_add_f32 v[4:5], v[94:95], v[4:5]
	s_wait_dscnt 0x3
	v_dual_mul_f32 v8, v8, v15 :: v_dual_sub_f32 v16, v18, v105
	v_dual_mul_f32 v12, v12, v100 :: v_dual_mul_f32 v17, v9, v6
	s_delay_alu instid0(VALU_DEP_3)
	v_pk_add_f32 v[4:5], v[90:91], v[4:5]
	ds_bpermute_b32 v15, v2, v89 offset:28
	s_wait_dscnt 0x3
	v_dual_mul_f32 v6, v8, v101 :: v_dual_mul_f32 v8, v17, v103
	v_pk_add_f32 v[4:5], v[12:13], v[4:5]
	s_wait_dscnt 0x2
	v_dual_mul_f32 v12, v10, v16 :: v_dual_sub_f32 v13, v19, v14
	s_delay_alu instid0(VALU_DEP_2) | instskip(SKIP_1) | instid1(VALU_DEP_2)
	v_pk_add_f32 v[4:5], v[6:7], v[4:5]
	s_wait_dscnt 0x1
	v_dual_mov_b32 v7, v10 :: v_dual_mul_f32 v6, v12, v3
	s_delay_alu instid0(VALU_DEP_3) | instskip(NEXT) | instid1(VALU_DEP_3)
	v_mul_f32_e32 v3, v11, v13
	v_pk_add_f32 v[4:5], v[8:9], v[4:5]
	s_delay_alu instid0(VALU_DEP_1) | instskip(SKIP_1) | instid1(VALU_DEP_3)
	v_pk_add_f32 v[4:5], v[6:7], v[4:5]
	s_wait_dscnt 0x0
	v_mul_f32_e32 v10, v3, v15
.LBB57_77:                              ;   in Loop: Header=BB57_55 Depth=1
	s_and_b32 vcc_lo, exec_lo, s2
	s_cbranch_vccz .LBB57_54
; %bb.78:                               ;   in Loop: Header=BB57_55 Depth=1
	s_load_b32 s2, s[36:37], 0x0
	v_mov_b32_e32 v6, 0
	s_wait_kmcnt 0x0
	s_cmp_lt_u32 s16, s2
	s_cselect_b32 s2, 12, 18
	s_delay_alu instid0(SALU_CYCLE_1) | instskip(SKIP_4) | instid1(VALU_DEP_1)
	s_add_nc_u64 s[42:43], s[36:37], s[2:3]
	s_load_u16 s2, s[42:43], 0x0
	s_wait_kmcnt 0x0
	v_mad_u32_u24 v3, v1, s2, v88
	s_mov_b32 s2, exec_lo
	v_dual_mov_b32 v3, 0 :: v_dual_bitop2_b32 v4, 31, v3 bitop3:0x40
	s_delay_alu instid0(VALU_DEP_1)
	v_cmpx_gt_u32_e32 8, v4
	s_cbranch_execz .LBB57_53
; %bb.79:                               ;   in Loop: Header=BB57_55 Depth=1
	v_dual_mov_b32 v5, v2 :: v_dual_mov_b32 v6, 0
	v_mov_b32_e32 v3, 0
	s_mov_b32 s17, exec_lo
	s_delay_alu instid0(VALU_DEP_2) | instskip(NEXT) | instid1(VALU_DEP_1)
	v_add_nc_u64_e32 v[4:5], v[86:87], v[4:5]
	v_add_nc_u64_e32 v[4:5], s[8:9], v[4:5]
	s_delay_alu instid0(VALU_DEP_1)
	v_cmpx_gt_i64_e64 s[4:5], v[4:5]
	s_cbranch_execz .LBB57_52
; %bb.80:                               ;   in Loop: Header=BB57_55 Depth=1
	v_lshlrev_b64_e32 v[4:5], 2, v[4:5]
	s_delay_alu instid0(VALU_DEP_1)
	v_add_nc_u64_e32 v[6:7], s[12:13], v[4:5]
	v_add_nc_u64_e32 v[4:5], s[14:15], v[4:5]
	global_load_b32 v6, v[6:7], off
	global_load_b32 v3, v[4:5], off
	s_branch .LBB57_52
.LBB57_81:
	v_and_b32_e32 v1, 0x3ff, v0
	v_bfe_u32 v0, v0, 10, 10
	s_mov_b32 s2, exec_lo
	s_delay_alu instid0(VALU_DEP_1) | instskip(NEXT) | instid1(VALU_DEP_1)
	v_mad_u32_u24 v2, 0x41, v0, v1
	v_lshl_add_u32 v3, v2, 2, 0
	v_sub_nc_u32_e32 v6, v2, v0
	ds_store_b32 v3, v20
	ds_store_b32 v3, v21 offset:4160
	s_wait_dscnt 0x0
	s_barrier_signal -1
	s_barrier_wait -1
	v_cmpx_gt_u32_e32 0x800, v6
	s_cbranch_execz .LBB57_97
; %bb.82:
	s_load_b128 s[8:11], s[0:1], 0x30
	v_dual_lshrrev_b32 v0, 5, v6 :: v_dual_bitop2_b32 v2, 31, v1 bitop3:0x40
	s_wait_xcnt 0x0
	s_delay_alu instid0(VALU_DEP_1)
	v_cmp_gt_u32_e64 s0, 16, v2
	v_mul_u32_u24_e32 v7, 0x41, v2
                                        ; implicit-def: $vgpr2
	s_and_saveexec_b32 s1, s0
	s_cbranch_execz .LBB57_84
; %bb.83:
	s_delay_alu instid0(VALU_DEP_1) | instskip(NEXT) | instid1(VALU_DEP_1)
	v_add_nc_u32_e32 v2, v0, v7
	v_lshl_add_u32 v2, v2, 2, 0
	ds_load_b32 v3, v2
	ds_load_b32 v2, v2 offset:4160
.LBB57_84:
	s_or_b32 exec_lo, exec_lo, s1
	v_mbcnt_lo_u32_b32 v11, -1, 0
	s_mov_b32 s17, 0
	v_cmp_eq_u32_e64 s1, 0, v1
	s_lshl_b64 s[2:3], s[16:17], 6
	s_wait_kmcnt 0x0
	s_cmp_lg_u64 s[8:9], 0
	v_xor_b32_e32 v9, 4, v11
	v_dual_mov_b32 v1, 0 :: v_dual_bitop2_b32 v4, 8, v11 bitop3:0x14
	s_cselect_b32 s5, -1, 0
	s_cmp_lg_u64 s[10:11], 0
	v_xor_b32_e32 v10, 2, v11
	s_delay_alu instid0(VALU_DEP_2)
	v_cmp_gt_i32_e32 vcc_lo, 32, v4
	s_cselect_b32 s4, -1, 0
	v_dual_cndmask_b32 v4, v11, v4, vcc_lo :: v_dual_bitop2_b32 v12, 1, v11 bitop3:0x14
	v_cmp_gt_i32_e32 vcc_lo, 32, v9
	v_cndmask_b32_e32 v9, v11, v9, vcc_lo
	v_cmp_gt_i32_e32 vcc_lo, 32, v10
	s_delay_alu instid0(VALU_DEP_2)
	v_dual_lshlrev_b32 v9, 2, v9 :: v_dual_lshlrev_b32 v8, 2, v4
	v_cndmask_b32_e32 v10, v11, v10, vcc_lo
	v_cmp_gt_i32_e32 vcc_lo, 32, v12
	s_wait_dscnt 0x1
	ds_bpermute_b32 v5, v8, v3
	s_wait_dscnt 0x1
	ds_bpermute_b32 v4, v8, v2
	v_dual_cndmask_b32 v11, v11, v12 :: v_dual_lshlrev_b32 v10, 2, v10
	s_wait_dscnt 0x0
	v_pk_add_f32 v[2:3], v[2:3], v[4:5]
	ds_bpermute_b32 v5, v9, v3
	ds_bpermute_b32 v4, v9, v2
	s_wait_dscnt 0x0
	v_pk_add_f32 v[2:3], v[2:3], v[4:5]
	ds_bpermute_b32 v5, v10, v3
	ds_bpermute_b32 v4, v10, v2
	s_wait_dscnt 0x0
	v_pk_add_f32 v[2:3], v[2:3], v[4:5]
	v_dual_mov_b32 v5, s3 :: v_dual_lshlrev_b32 v11, 2, v11
	v_or_b32_e32 v4, s2, v0
	ds_bpermute_b32 v13, v11, v3
	ds_bpermute_b32 v12, v11, v2
	v_cmp_gt_i64_e32 vcc_lo, s[6:7], v[4:5]
	s_and_b32 s13, s1, vcc_lo
	s_wait_dscnt 0x0
	v_pk_add_f32 v[2:3], v[2:3], v[12:13]
	s_and_saveexec_b32 s12, s13
	s_cbranch_execz .LBB57_89
; %bb.85:
	s_and_not1_b32 vcc_lo, exec_lo, s5
	s_cbranch_vccnz .LBB57_87
; %bb.86:
	v_lshl_add_u64 v[12:13], v[4:5], 2, s[8:9]
	global_store_b32 v[12:13], v3, off
.LBB57_87:
	s_and_not1_b32 vcc_lo, exec_lo, s4
	s_cbranch_vccnz .LBB57_89
; %bb.88:
	v_lshl_add_u64 v[4:5], v[4:5], 2, s[10:11]
	global_store_b32 v[4:5], v2, off
.LBB57_89:
	s_wait_xcnt 0x0
	s_or_b32 exec_lo, exec_lo, s12
	v_cmp_gt_u32_e32 vcc_lo, 0x400, v6
	s_and_b32 exec_lo, exec_lo, vcc_lo
	s_cbranch_execz .LBB57_97
; %bb.90:
	s_and_saveexec_b32 s12, s0
	s_cbranch_execz .LBB57_92
; %bb.91:
	v_add_nc_u32_e32 v2, v0, v7
	s_delay_alu instid0(VALU_DEP_1)
	v_lshl_add_u32 v2, v2, 2, 0
	ds_load_b32 v3, v2 offset:128
	ds_load_b32 v2, v2 offset:4288
.LBB57_92:
	s_or_b32 exec_lo, exec_lo, s12
	s_wait_dscnt 0x1
	ds_bpermute_b32 v4, v8, v3
	s_wait_dscnt 0x1
	ds_bpermute_b32 v5, v8, v2
	v_dual_mov_b32 v7, s3 :: v_dual_add_nc_u32 v6, 32, v0
	s_delay_alu instid0(VALU_DEP_1) | instskip(NEXT) | instid1(VALU_DEP_1)
	v_or_b32_e32 v6, s2, v6
	v_cmp_gt_i64_e32 vcc_lo, s[6:7], v[6:7]
	s_and_b32 s0, s1, vcc_lo
	s_wait_dscnt 0x0
	v_dual_add_f32 v3, v3, v4 :: v_dual_add_f32 v2, v2, v5
	ds_bpermute_b32 v4, v9, v3
	ds_bpermute_b32 v5, v9, v2
	s_wait_dscnt 0x0
	v_dual_add_f32 v3, v3, v4 :: v_dual_add_f32 v2, v2, v5
	ds_bpermute_b32 v4, v10, v3
	ds_bpermute_b32 v5, v10, v2
	;; [unrolled: 4-line block ×3, first 2 shown]
	s_and_b32 exec_lo, exec_lo, s0
	s_cbranch_execz .LBB57_97
; %bb.93:
	v_add_nc_u64_e32 v[0:1], s[2:3], v[0:1]
	s_and_not1_b32 vcc_lo, exec_lo, s5
	s_cbranch_vccnz .LBB57_95
; %bb.94:
	s_wait_dscnt 0x1
	v_add_f32_e32 v6, v4, v5
	s_delay_alu instid0(VALU_DEP_2)
	v_lshl_add_u64 v[4:5], v[0:1], 2, s[8:9]
	global_store_b32 v[4:5], v6, off offset:128
.LBB57_95:
	s_and_not1_b32 vcc_lo, exec_lo, s4
	s_cbranch_vccnz .LBB57_97
; %bb.96:
	s_wait_dscnt 0x0
	v_add_f32_e32 v2, v2, v3
	v_lshl_add_u64 v[0:1], v[0:1], 2, s[10:11]
	global_store_b32 v[0:1], v2, off offset:128
.LBB57_97:
	s_sendmsg sendmsg(MSG_DEALLOC_VGPRS)
	s_endpgm
	.section	.rodata,"a",@progbits
	.p2align	6, 0x0
	.amdhsa_kernel _ZN2at6native12_GLOBAL__N_135GammaBetaBackwardCUDAKernelTemplateIffLj64ELj16ELj128ELb0ELb0ELb0EEEvllPKT_S5_PKT0_S8_PS3_S9_
		.amdhsa_group_segment_fixed_size 0
		.amdhsa_private_segment_fixed_size 0
		.amdhsa_kernarg_size 320
		.amdhsa_user_sgpr_count 2
		.amdhsa_user_sgpr_dispatch_ptr 0
		.amdhsa_user_sgpr_queue_ptr 0
		.amdhsa_user_sgpr_kernarg_segment_ptr 1
		.amdhsa_user_sgpr_dispatch_id 0
		.amdhsa_user_sgpr_kernarg_preload_length 0
		.amdhsa_user_sgpr_kernarg_preload_offset 0
		.amdhsa_user_sgpr_private_segment_size 0
		.amdhsa_wavefront_size32 1
		.amdhsa_uses_dynamic_stack 0
		.amdhsa_enable_private_segment 0
		.amdhsa_system_sgpr_workgroup_id_x 1
		.amdhsa_system_sgpr_workgroup_id_y 1
		.amdhsa_system_sgpr_workgroup_id_z 0
		.amdhsa_system_sgpr_workgroup_info 0
		.amdhsa_system_vgpr_workitem_id 1
		.amdhsa_next_free_vgpr 106
		.amdhsa_next_free_sgpr 52
		.amdhsa_named_barrier_count 0
		.amdhsa_reserve_vcc 1
		.amdhsa_float_round_mode_32 0
		.amdhsa_float_round_mode_16_64 0
		.amdhsa_float_denorm_mode_32 3
		.amdhsa_float_denorm_mode_16_64 3
		.amdhsa_fp16_overflow 0
		.amdhsa_memory_ordered 1
		.amdhsa_forward_progress 1
		.amdhsa_inst_pref_size 53
		.amdhsa_round_robin_scheduling 0
		.amdhsa_exception_fp_ieee_invalid_op 0
		.amdhsa_exception_fp_denorm_src 0
		.amdhsa_exception_fp_ieee_div_zero 0
		.amdhsa_exception_fp_ieee_overflow 0
		.amdhsa_exception_fp_ieee_underflow 0
		.amdhsa_exception_fp_ieee_inexact 0
		.amdhsa_exception_int_div_zero 0
	.end_amdhsa_kernel
	.section	.text._ZN2at6native12_GLOBAL__N_135GammaBetaBackwardCUDAKernelTemplateIffLj64ELj16ELj128ELb0ELb0ELb0EEEvllPKT_S5_PKT0_S8_PS3_S9_,"axG",@progbits,_ZN2at6native12_GLOBAL__N_135GammaBetaBackwardCUDAKernelTemplateIffLj64ELj16ELj128ELb0ELb0ELb0EEEvllPKT_S5_PKT0_S8_PS3_S9_,comdat
.Lfunc_end57:
	.size	_ZN2at6native12_GLOBAL__N_135GammaBetaBackwardCUDAKernelTemplateIffLj64ELj16ELj128ELb0ELb0ELb0EEEvllPKT_S5_PKT0_S8_PS3_S9_, .Lfunc_end57-_ZN2at6native12_GLOBAL__N_135GammaBetaBackwardCUDAKernelTemplateIffLj64ELj16ELj128ELb0ELb0ELb0EEEvllPKT_S5_PKT0_S8_PS3_S9_
                                        ; -- End function
	.set _ZN2at6native12_GLOBAL__N_135GammaBetaBackwardCUDAKernelTemplateIffLj64ELj16ELj128ELb0ELb0ELb0EEEvllPKT_S5_PKT0_S8_PS3_S9_.num_vgpr, 106
	.set _ZN2at6native12_GLOBAL__N_135GammaBetaBackwardCUDAKernelTemplateIffLj64ELj16ELj128ELb0ELb0ELb0EEEvllPKT_S5_PKT0_S8_PS3_S9_.num_agpr, 0
	.set _ZN2at6native12_GLOBAL__N_135GammaBetaBackwardCUDAKernelTemplateIffLj64ELj16ELj128ELb0ELb0ELb0EEEvllPKT_S5_PKT0_S8_PS3_S9_.numbered_sgpr, 52
	.set _ZN2at6native12_GLOBAL__N_135GammaBetaBackwardCUDAKernelTemplateIffLj64ELj16ELj128ELb0ELb0ELb0EEEvllPKT_S5_PKT0_S8_PS3_S9_.num_named_barrier, 0
	.set _ZN2at6native12_GLOBAL__N_135GammaBetaBackwardCUDAKernelTemplateIffLj64ELj16ELj128ELb0ELb0ELb0EEEvllPKT_S5_PKT0_S8_PS3_S9_.private_seg_size, 0
	.set _ZN2at6native12_GLOBAL__N_135GammaBetaBackwardCUDAKernelTemplateIffLj64ELj16ELj128ELb0ELb0ELb0EEEvllPKT_S5_PKT0_S8_PS3_S9_.uses_vcc, 1
	.set _ZN2at6native12_GLOBAL__N_135GammaBetaBackwardCUDAKernelTemplateIffLj64ELj16ELj128ELb0ELb0ELb0EEEvllPKT_S5_PKT0_S8_PS3_S9_.uses_flat_scratch, 0
	.set _ZN2at6native12_GLOBAL__N_135GammaBetaBackwardCUDAKernelTemplateIffLj64ELj16ELj128ELb0ELb0ELb0EEEvllPKT_S5_PKT0_S8_PS3_S9_.has_dyn_sized_stack, 0
	.set _ZN2at6native12_GLOBAL__N_135GammaBetaBackwardCUDAKernelTemplateIffLj64ELj16ELj128ELb0ELb0ELb0EEEvllPKT_S5_PKT0_S8_PS3_S9_.has_recursion, 0
	.set _ZN2at6native12_GLOBAL__N_135GammaBetaBackwardCUDAKernelTemplateIffLj64ELj16ELj128ELb0ELb0ELb0EEEvllPKT_S5_PKT0_S8_PS3_S9_.has_indirect_call, 0
	.section	.AMDGPU.csdata,"",@progbits
; Kernel info:
; codeLenInByte = 6764
; TotalNumSgprs: 54
; NumVgprs: 106
; ScratchSize: 0
; MemoryBound: 0
; FloatMode: 240
; IeeeMode: 1
; LDSByteSize: 0 bytes/workgroup (compile time only)
; SGPRBlocks: 0
; VGPRBlocks: 6
; NumSGPRsForWavesPerEU: 54
; NumVGPRsForWavesPerEU: 106
; NamedBarCnt: 0
; Occupancy: 9
; WaveLimiterHint : 0
; COMPUTE_PGM_RSRC2:SCRATCH_EN: 0
; COMPUTE_PGM_RSRC2:USER_SGPR: 2
; COMPUTE_PGM_RSRC2:TRAP_HANDLER: 0
; COMPUTE_PGM_RSRC2:TGID_X_EN: 1
; COMPUTE_PGM_RSRC2:TGID_Y_EN: 1
; COMPUTE_PGM_RSRC2:TGID_Z_EN: 0
; COMPUTE_PGM_RSRC2:TIDIG_COMP_CNT: 1
	.section	.text._ZN2at6native12_GLOBAL__N_135GammaBetaBackwardCUDAKernelTemplateIffLj64ELj16ELj256ELb0ELb1ELb0EEEvllPKT_S5_PKT0_S8_PS3_S9_,"axG",@progbits,_ZN2at6native12_GLOBAL__N_135GammaBetaBackwardCUDAKernelTemplateIffLj64ELj16ELj256ELb0ELb1ELb0EEEvllPKT_S5_PKT0_S8_PS3_S9_,comdat
	.globl	_ZN2at6native12_GLOBAL__N_135GammaBetaBackwardCUDAKernelTemplateIffLj64ELj16ELj256ELb0ELb1ELb0EEEvllPKT_S5_PKT0_S8_PS3_S9_ ; -- Begin function _ZN2at6native12_GLOBAL__N_135GammaBetaBackwardCUDAKernelTemplateIffLj64ELj16ELj256ELb0ELb1ELb0EEEvllPKT_S5_PKT0_S8_PS3_S9_
	.p2align	8
	.type	_ZN2at6native12_GLOBAL__N_135GammaBetaBackwardCUDAKernelTemplateIffLj64ELj16ELj256ELb0ELb1ELb0EEEvllPKT_S5_PKT0_S8_PS3_S9_,@function
_ZN2at6native12_GLOBAL__N_135GammaBetaBackwardCUDAKernelTemplateIffLj64ELj16ELj256ELb0ELb1ELb0EEEvllPKT_S5_PKT0_S8_PS3_S9_: ; @_ZN2at6native12_GLOBAL__N_135GammaBetaBackwardCUDAKernelTemplateIffLj64ELj16ELj256ELb0ELb1ELb0EEEvllPKT_S5_PKT0_S8_PS3_S9_
; %bb.0:
	s_load_b128 s[12:15], s[0:1], 0x0
	s_bfe_u32 s2, ttmp6, 0x40010
	s_bfe_u32 s4, ttmp6, 0x40004
	s_add_co_i32 s2, s2, 1
	s_getreg_b32 s3, hwreg(HW_REG_IB_STS2, 6, 4)
	s_mul_i32 s2, ttmp7, s2
	s_mov_b32 s17, 0
	s_add_co_i32 s4, s4, s2
	s_cmp_eq_u32 s3, 0
	v_bfe_u32 v29, v0, 10, 10
	s_cselect_b32 s2, ttmp7, s4
	s_delay_alu instid0(SALU_CYCLE_1)
	s_lshl_b32 s16, s2, 8
	s_wait_kmcnt 0x0
	v_cmp_gt_i64_e64 s2, s[12:13], s[16:17]
	s_and_b32 vcc_lo, exec_lo, s2
	s_cbranch_vccnz .LBB58_2
; %bb.1:
	v_bfe_u32 v1, v0, 10, 10
	s_mov_b32 s2, s17
	s_branch .LBB58_3
.LBB58_2:
	s_mov_b32 s2, -1
                                        ; implicit-def: $vgpr1
.LBB58_3:
	v_mov_b32_e32 v9, 0
	v_and_b32_e32 v28, 0x3ff, v0
	s_and_not1_b32 vcc_lo, exec_lo, s2
	s_delay_alu instid0(VALU_DEP_2)
	v_mov_b32_e32 v8, v9
	s_cbranch_vccnz .LBB58_11
; %bb.4:
	v_dual_mov_b32 v1, 0 :: v_dual_lshlrev_b32 v0, 4, v29
	s_clause 0x1
	s_load_b32 s2, s[0:1], 0x44
	s_load_b32 s18, s[0:1], 0x4c
	s_bfe_u32 s21, ttmp6, 0x4000c
	s_and_b32 s20, ttmp6, 15
	s_add_co_i32 s21, s21, 1
	v_add_nc_u64_e32 v[2:3], s[16:17], v[0:1]
	s_mul_i32 s21, ttmp9, s21
	s_load_b256 s[4:11], s[0:1], 0x10
	s_add_co_i32 s20, s20, s21
	v_dual_mov_b32 v39, 44 :: v_dual_mov_b32 v5, v1
	s_mov_b32 s19, 0
	s_delay_alu instid0(VALU_DEP_2)
	v_mul_u64_e32 v[6:7], s[14:15], v[2:3]
	v_dual_mov_b32 v0, 16 :: v_dual_mov_b32 v30, 4
	v_dual_mov_b32 v31, 8 :: v_dual_mov_b32 v32, 12
	;; [unrolled: 1-line block ×4, first 2 shown]
	s_wait_kmcnt 0x0
	s_and_b32 s18, s18, 0xffff
	s_cmp_eq_u32 s3, 0
	v_mad_u32_u24 v4, v29, s18, v28
	v_mov_b32_e32 v9, v1
	s_cselect_b32 s18, ttmp9, s20
	v_dual_mov_b32 v37, 36 :: v_dual_mov_b32 v38, 40
	s_delay_alu instid0(VALU_DEP_3) | instskip(SKIP_3) | instid1(VALU_DEP_3)
	v_and_b32_e32 v4, 31, v4
	v_lshl_add_u32 v8, s18, 6, v28
	s_lshl_b32 s18, s2, 8
	v_dual_mov_b32 v40, 48 :: v_dual_mov_b32 v41, 52
	v_add_nc_u64_e32 v[2:3], v[2:3], v[4:5]
	s_delay_alu instid0(VALU_DEP_3)
	v_lshlrev_b64_e32 v[10:11], 2, v[8:9]
	v_cmp_gt_u32_e64 s2, 16, v4
	v_dual_mov_b32 v42, 56 :: v_dual_mov_b32 v43, 60
	v_mov_b32_e32 v8, 0
	s_mul_u64 s[22:23], s[14:15], s[18:19]
	v_lshlrev_b64_e32 v[4:5], 2, v[2:3]
	s_lshl_b64 s[20:21], s[18:19], 2
	s_lshl_b64 s[22:23], s[22:23], 2
	s_lshl_b64 s[14:15], s[14:15], 2
	v_lshl_add_u64 v[6:7], v[6:7], 2, v[10:11]
	s_branch .LBB58_7
.LBB58_5:                               ;   in Loop: Header=BB58_7 Depth=1
	s_wait_xcnt 0x0
	s_or_b32 exec_lo, exec_lo, s25
.LBB58_6:                               ;   in Loop: Header=BB58_7 Depth=1
	s_delay_alu instid0(SALU_CYCLE_1)
	s_or_b32 exec_lo, exec_lo, s24
	v_add_nc_u64_e32 v[10:11], s[6:7], v[6:7]
	v_add_nc_u64_e32 v[12:13], s[4:5], v[6:7]
	s_wait_loadcnt 0x1
	ds_bpermute_b32 v27, v1, v26
	ds_bpermute_b32 v44, v30, v26
	s_wait_loadcnt 0x0
	ds_bpermute_b32 v50, v1, v24
	ds_bpermute_b32 v51, v31, v26
	ds_bpermute_b32 v52, v31, v24
	global_load_b32 v18, v[10:11], off
	s_wait_xcnt 0x0
	v_add_nc_u64_e32 v[10:11], s[14:15], v[10:11]
	global_load_b32 v21, v[12:13], off
	s_wait_xcnt 0x0
	v_add_nc_u64_e32 v[12:13], s[14:15], v[12:13]
	ds_bpermute_b32 v56, v32, v24
	ds_bpermute_b32 v61, v0, v26
	s_add_nc_u64 s[16:17], s[16:17], s[18:19]
	global_load_b32 v20, v[10:11], off
	global_load_b32 v45, v[12:13], off
	v_add_nc_u64_e32 v[14:15], s[14:15], v[10:11]
	s_wait_xcnt 0x1
	v_add_nc_u64_e32 v[10:11], s[14:15], v[12:13]
	v_cmp_lt_i64_e64 s24, s[16:17], s[12:13]
	v_add_nc_u64_e32 v[4:5], s[20:21], v[4:5]
	v_add_nc_u64_e32 v[2:3], s[18:19], v[2:3]
	;; [unrolled: 1-line block ×3, first 2 shown]
	global_load_b32 v22, v[14:15], off
	s_wait_xcnt 0x1
	v_add_nc_u64_e32 v[12:13], s[14:15], v[14:15]
	global_load_b32 v19, v[10:11], off
	s_wait_xcnt 0x0
	v_add_nc_u64_e32 v[10:11], s[14:15], v[10:11]
	global_load_b32 v14, v[12:13], off
	global_load_b32 v23, v[10:11], off
	s_wait_xcnt 0x1
	v_add_nc_u64_e32 v[12:13], s[14:15], v[12:13]
	s_wait_xcnt 0x0
	v_add_nc_u64_e32 v[10:11], s[14:15], v[10:11]
	global_load_b32 v25, v[12:13], off
	global_load_b32 v15, v[10:11], off
	s_wait_xcnt 0x1
	v_add_nc_u64_e32 v[12:13], s[14:15], v[12:13]
	v_add_nc_u64_e32 v[16:17], s[14:15], v[10:11]
	global_load_b32 v10, v[12:13], off
	global_load_b32 v11, v[16:17], off
	s_wait_xcnt 0x1
	v_add_nc_u64_e32 v[12:13], s[14:15], v[12:13]
	s_wait_xcnt 0x0
	v_add_nc_u64_e32 v[16:17], s[14:15], v[16:17]
	s_and_b32 vcc_lo, exec_lo, s24
	s_delay_alu instid0(VALU_DEP_2)
	v_add_nc_u64_e32 v[46:47], s[14:15], v[12:13]
	s_clause 0x1
	global_load_b32 v58, v[12:13], off
	global_load_b32 v59, v[46:47], off
	v_add_nc_u64_e32 v[48:49], s[14:15], v[46:47]
	global_load_b32 v60, v[48:49], off
	global_load_b32 v13, v[16:17], off
	s_wait_xcnt 0x0
	v_add_nc_u64_e32 v[16:17], s[14:15], v[16:17]
	ds_bpermute_b32 v12, v30, v24
	v_add_nc_u64_e32 v[48:49], s[14:15], v[48:49]
	v_add_nc_u64_e32 v[46:47], s[14:15], v[16:17]
	global_load_b32 v17, v[16:17], off
	s_wait_loadcnt_dscnt 0x1007
	v_sub_f32_e32 v18, v18, v27
	ds_bpermute_b32 v27, v32, v26
	s_wait_loadcnt_dscnt 0xe07
	v_dual_sub_f32 v44, v20, v44 :: v_dual_mul_f32 v18, v21, v18
	s_wait_loadcnt_dscnt 0xc05
	v_sub_f32_e32 v22, v22, v51
	s_delay_alu instid0(VALU_DEP_2)
	v_dual_mul_f32 v20, v18, v50 :: v_dual_mul_f32 v18, v45, v44
	v_add_nc_u64_e32 v[50:51], s[14:15], v[46:47]
	global_load_b32 v47, v[46:47], off
	s_wait_xcnt 0x1
	ds_bpermute_b32 v16, v0, v24
	v_pk_add_f32 v[8:9], v[8:9], v[20:21]
	s_wait_loadcnt_dscnt 0xc02
	v_dual_mul_f32 v44, v18, v12 :: v_dual_mul_f32 v12, v19, v22
	s_wait_loadcnt_dscnt 0xb01
	v_sub_f32_e32 v14, v14, v27
	ds_bpermute_b32 v27, v33, v26
	global_load_b32 v20, v[48:49], off
	s_wait_xcnt 0x0
	v_add_nc_u64_e32 v[48:49], s[14:15], v[48:49]
	v_pk_add_f32 v[8:9], v[8:9], v[44:45]
	s_wait_loadcnt 0xb
	v_dual_mul_f32 v18, v12, v52 :: v_dual_mul_f32 v12, v23, v14
	v_add_nc_u64_e32 v[44:45], s[14:15], v[50:51]
	ds_bpermute_b32 v46, v33, v24
	v_add_nc_u64_e32 v[52:53], s[14:15], v[48:49]
	v_pk_add_f32 v[8:9], v[8:9], v[18:19]
	global_load_b32 v21, v[50:51], off
	global_load_b32 v18, v[48:49], off
	v_add_nc_u64_e32 v[54:55], s[14:15], v[44:45]
	global_load_b32 v19, v[44:45], off
	s_wait_loadcnt_dscnt 0xb01
	v_dual_sub_f32 v10, v10, v27 :: v_dual_mul_f32 v22, v12, v56
	v_sub_f32_e32 v12, v25, v61
	v_add_nc_u64_e32 v[56:57], s[14:15], v[52:53]
	s_wait_xcnt 0x0
	v_add_nc_u64_e32 v[44:45], s[14:15], v[54:55]
	v_pk_add_f32 v[8:9], v[8:9], v[22:23]
	global_load_b32 v22, v[52:53], off
	global_load_b32 v23, v[54:55], off
	;; [unrolled: 1-line block ×3, first 2 shown]
	v_add_nc_u64_e32 v[48:49], s[14:15], v[56:57]
	v_add_nc_u64_e32 v[50:51], s[14:15], v[44:45]
	v_mul_f32_e32 v12, v15, v12
	global_load_b32 v25, v[44:45], off
	global_load_b32 v54, v[48:49], off
	s_wait_xcnt 0x0
	v_add_nc_u64_e32 v[48:49], s[14:15], v[48:49]
	v_add_nc_u64_e32 v[52:53], s[14:15], v[50:51]
	v_mul_f32_e32 v14, v12, v16
	global_load_b32 v27, v[50:51], off
	ds_bpermute_b32 v12, v34, v26
	ds_bpermute_b32 v16, v34, v24
	v_pk_add_f32 v[44:45], v[8:9], v[14:15]
	global_load_b32 v8, v[48:49], off
	s_wait_xcnt 0x0
	v_add_nc_u64_e32 v[48:49], s[14:15], v[48:49]
	s_wait_loadcnt 0x11
	v_mul_f32_e32 v9, v11, v10
	v_add_nc_u64_e32 v[50:51], s[14:15], v[52:53]
	s_wait_dscnt 0x2
	s_delay_alu instid0(VALU_DEP_2)
	v_mul_f32_e32 v10, v9, v46
	global_load_b32 v15, v[52:53], off
	global_load_b32 v14, v[48:49], off
	global_load_b32 v9, v[50:51], off
	ds_bpermute_b32 v46, v37, v26
	s_wait_xcnt 0x1
	ds_bpermute_b32 v49, v39, v26
	ds_bpermute_b32 v48, v36, v24
	v_pk_add_f32 v[10:11], v[44:45], v[10:11]
	ds_bpermute_b32 v45, v36, v26
	ds_bpermute_b32 v44, v35, v26
	s_wait_xcnt 0x0
	ds_bpermute_b32 v51, v39, v24
	s_wait_loadcnt_dscnt 0x1307
	v_sub_f32_e32 v12, v58, v12
	ds_bpermute_b32 v50, v40, v26
	s_wait_loadcnt_dscnt 0x1003
	v_dual_sub_f32 v45, v60, v45 :: v_dual_mul_f32 v12, v13, v12
	s_wait_dscnt 0x2
	v_sub_f32_e32 v44, v59, v44
	s_wait_loadcnt 0xe
	s_delay_alu instid0(VALU_DEP_2)
	v_dual_mul_f32 v45, v47, v45 :: v_dual_mul_f32 v12, v12, v16
	ds_bpermute_b32 v16, v35, v24
	v_pk_add_f32 v[10:11], v[10:11], v[12:13]
	ds_bpermute_b32 v12, v38, v26
	ds_bpermute_b32 v13, v37, v24
	s_wait_loadcnt 0xd
	v_dual_sub_f32 v20, v20, v46 :: v_dual_mul_f32 v44, v17, v44
	s_wait_dscnt 0x2
	s_delay_alu instid0(VALU_DEP_1)
	v_mul_f32_e32 v16, v44, v16
	ds_bpermute_b32 v44, v38, v24
	v_pk_add_f32 v[10:11], v[10:11], v[16:17]
	s_wait_loadcnt 0xc
	v_mul_f32_e32 v17, v21, v20
	s_wait_loadcnt_dscnt 0xb02
	v_sub_f32_e32 v12, v18, v12
	ds_bpermute_b32 v16, v41, v26
	s_wait_loadcnt_dscnt 0xa02
	v_dual_mul_f32 v20, v17, v13 :: v_dual_mul_f32 v12, v19, v12
	s_wait_loadcnt 0x9
	v_sub_f32_e32 v13, v22, v49
	ds_bpermute_b32 v17, v41, v24
	s_wait_loadcnt_dscnt 0x802
	v_dual_mul_f32 v18, v12, v44 :: v_dual_mul_f32 v12, v23, v13
	v_mul_f32_e32 v46, v45, v48
	ds_bpermute_b32 v45, v40, v24
	ds_bpermute_b32 v48, v42, v26
	s_wait_loadcnt 0x7
	v_dual_sub_f32 v13, v61, v50 :: v_dual_mul_f32 v22, v12, v51
	v_pk_add_f32 v[10:11], v[10:11], v[46:47]
	ds_bpermute_b32 v46, v43, v26
	s_wait_loadcnt_dscnt 0x504
	v_dual_mul_f32 v12, v25, v13 :: v_dual_sub_f32 v13, v54, v16
	v_pk_add_f32 v[10:11], v[10:11], v[20:21]
	ds_bpermute_b32 v20, v42, v24
	ds_bpermute_b32 v16, v43, v24
	v_pk_add_f32 v[10:11], v[10:11], v[18:19]
	s_delay_alu instid0(VALU_DEP_1) | instskip(SKIP_4) | instid1(VALU_DEP_2)
	v_pk_add_f32 v[10:11], v[10:11], v[22:23]
	s_wait_dscnt 0x4
	v_mul_f32_e32 v24, v12, v45
	s_wait_loadcnt_dscnt 0x303
	v_dual_mul_f32 v12, v27, v13 :: v_dual_sub_f32 v8, v8, v48
	v_pk_add_f32 v[10:11], v[10:11], v[24:25]
	s_wait_loadcnt 0x2
	s_delay_alu instid0(VALU_DEP_2) | instskip(SKIP_2) | instid1(VALU_DEP_2)
	v_dual_mul_f32 v26, v12, v17 :: v_dual_mul_f32 v8, v15, v8
	s_wait_loadcnt_dscnt 0x102
	v_sub_f32_e32 v12, v14, v46
	v_pk_add_f32 v[10:11], v[10:11], v[26:27]
	s_wait_dscnt 0x1
	v_mul_f32_e32 v14, v8, v20
	s_wait_loadcnt 0x0
	v_mul_f32_e32 v8, v9, v12
	s_delay_alu instid0(VALU_DEP_2) | instskip(SKIP_1) | instid1(VALU_DEP_2)
	v_pk_add_f32 v[10:11], v[10:11], v[14:15]
	s_wait_dscnt 0x0
	v_mul_f32_e32 v8, v8, v16
	s_delay_alu instid0(VALU_DEP_1)
	v_pk_add_f32 v[8:9], v[10:11], v[8:9]
	s_cbranch_vccz .LBB58_10
.LBB58_7:                               ; =>This Inner Loop Header: Depth=1
	v_dual_mov_b32 v24, 0 :: v_dual_mov_b32 v26, 0
	s_and_saveexec_b32 s24, s2
	s_cbranch_execz .LBB58_6
; %bb.8:                                ;   in Loop: Header=BB58_7 Depth=1
	v_dual_mov_b32 v26, 0 :: v_dual_mov_b32 v24, 0
	s_mov_b32 s25, exec_lo
	v_cmpx_gt_i64_e64 s[12:13], v[2:3]
	s_cbranch_execz .LBB58_5
; %bb.9:                                ;   in Loop: Header=BB58_7 Depth=1
	v_add_nc_u64_e32 v[10:11], s[8:9], v[4:5]
	v_add_nc_u64_e32 v[12:13], s[10:11], v[4:5]
	global_load_b32 v26, v[10:11], off
	global_load_b32 v24, v[12:13], off
	s_branch .LBB58_5
.LBB58_10:
	v_mov_b32_e32 v1, v29
.LBB58_11:
	s_load_b128 s[4:7], s[0:1], 0x30
	s_delay_alu instid0(VALU_DEP_1) | instskip(SKIP_2) | instid1(VALU_DEP_1)
	v_mad_u32_u24 v0, 0x41, v1, v28
	s_wait_xcnt 0x0
	s_mov_b32 s0, exec_lo
	v_lshl_add_u32 v2, v0, 2, 0
	v_sub_nc_u32_e32 v6, v0, v1
	ds_store_b32 v2, v8
	ds_store_b32 v2, v9 offset:4160
	s_wait_dscnt 0x0
	s_barrier_signal -1
	s_barrier_wait -1
	v_cmpx_gt_u32_e32 0x800, v6
	s_cbranch_execz .LBB58_27
; %bb.12:
	v_dual_lshrrev_b32 v0, 5, v6 :: v_dual_bitop2_b32 v1, 31, v28 bitop3:0x40
                                        ; implicit-def: $vgpr2
	s_delay_alu instid0(VALU_DEP_1)
	v_cmp_gt_u32_e64 s0, 16, v1
	v_mul_u32_u24_e32 v7, 0x41, v1
	s_and_saveexec_b32 s1, s0
	s_cbranch_execz .LBB58_14
; %bb.13:
	s_delay_alu instid0(VALU_DEP_1) | instskip(NEXT) | instid1(VALU_DEP_1)
	v_add_nc_u32_e32 v1, v0, v7
	v_lshl_add_u32 v1, v1, 2, 0
	ds_load_b32 v3, v1
	ds_load_b32 v2, v1 offset:4160
.LBB58_14:
	s_or_b32 exec_lo, exec_lo, s1
	v_mbcnt_lo_u32_b32 v1, -1, 0
	s_bfe_u32 s1, ttmp6, 0x4000c
	s_and_b32 s2, ttmp6, 15
	s_add_co_i32 s1, s1, 1
	s_delay_alu instid0(SALU_CYCLE_1)
	s_mul_i32 s1, ttmp9, s1
	v_xor_b32_e32 v11, 1, v1
	v_xor_b32_e32 v10, 2, v1
	;; [unrolled: 1-line block ×3, first 2 shown]
	s_add_co_i32 s2, s2, s1
	s_cmp_eq_u32 s3, 0
	s_mov_b32 s3, 0
	s_cselect_b32 s2, ttmp9, s2
	v_cmp_gt_i32_e32 vcc_lo, 32, v4
	s_lshl_b64 s[2:3], s[2:3], 6
	v_xor_b32_e32 v9, 4, v1
	s_wait_kmcnt 0x0
	s_cmp_lg_u64 s[4:5], 0
	v_cmp_eq_u32_e64 s1, 0, v28
	v_cndmask_b32_e32 v4, v1, v4, vcc_lo
	s_cselect_b32 s9, -1, 0
	v_cmp_gt_i32_e32 vcc_lo, 32, v9
	s_cmp_lg_u64 s[6:7], 0
	s_delay_alu instid0(VALU_DEP_2)
	v_lshlrev_b32_e32 v8, 2, v4
	s_cselect_b32 s8, -1, 0
	v_cndmask_b32_e32 v9, v1, v9, vcc_lo
	v_cmp_gt_i32_e32 vcc_lo, 32, v10
	s_wait_dscnt 0x1
	ds_bpermute_b32 v5, v8, v3
	s_wait_dscnt 0x1
	ds_bpermute_b32 v4, v8, v2
	v_dual_cndmask_b32 v10, v1, v10 :: v_dual_lshlrev_b32 v9, 2, v9
	v_cmp_gt_i32_e32 vcc_lo, 32, v11
	s_delay_alu instid0(VALU_DEP_2) | instskip(NEXT) | instid1(VALU_DEP_1)
	v_dual_cndmask_b32 v1, v1, v11 :: v_dual_lshlrev_b32 v10, 2, v10
	v_dual_lshlrev_b32 v11, 2, v1 :: v_dual_mov_b32 v1, 0
	s_wait_dscnt 0x0
	v_pk_add_f32 v[2:3], v[2:3], v[4:5]
	ds_bpermute_b32 v5, v9, v3
	ds_bpermute_b32 v4, v9, v2
	s_wait_dscnt 0x0
	v_pk_add_f32 v[2:3], v[2:3], v[4:5]
	ds_bpermute_b32 v5, v10, v3
	ds_bpermute_b32 v4, v10, v2
	;; [unrolled: 4-line block ×3, first 2 shown]
	s_wait_dscnt 0x0
	v_pk_add_f32 v[2:3], v[2:3], v[4:5]
	s_and_saveexec_b32 s10, s1
	s_cbranch_execz .LBB58_19
; %bb.15:
	v_dual_mov_b32 v5, s3 :: v_dual_bitop2_b32 v4, s2, v0 bitop3:0x54
	s_and_not1_b32 vcc_lo, exec_lo, s9
	s_cbranch_vccnz .LBB58_17
; %bb.16:
	s_delay_alu instid0(VALU_DEP_1)
	v_lshl_add_u64 v[12:13], v[4:5], 2, s[4:5]
	global_store_b32 v[12:13], v3, off
.LBB58_17:
	s_and_not1_b32 vcc_lo, exec_lo, s8
	s_cbranch_vccnz .LBB58_19
; %bb.18:
	v_lshl_add_u64 v[4:5], v[4:5], 2, s[6:7]
	global_store_b32 v[4:5], v2, off
.LBB58_19:
	s_wait_xcnt 0x0
	s_or_b32 exec_lo, exec_lo, s10
	v_cmp_gt_u32_e32 vcc_lo, 0x400, v6
	s_and_b32 exec_lo, exec_lo, vcc_lo
	s_cbranch_execz .LBB58_27
; %bb.20:
	s_and_saveexec_b32 s10, s0
	s_cbranch_execz .LBB58_22
; %bb.21:
	v_add_nc_u32_e32 v2, v0, v7
	s_delay_alu instid0(VALU_DEP_1)
	v_lshl_add_u32 v2, v2, 2, 0
	ds_load_b32 v3, v2 offset:128
	ds_load_b32 v2, v2 offset:4288
.LBB58_22:
	s_or_b32 exec_lo, exec_lo, s10
	s_wait_dscnt 0x1
	ds_bpermute_b32 v4, v8, v3
	s_wait_dscnt 0x1
	ds_bpermute_b32 v5, v8, v2
	s_wait_dscnt 0x0
	v_dual_add_f32 v3, v3, v4 :: v_dual_add_f32 v2, v2, v5
	ds_bpermute_b32 v4, v9, v3
	ds_bpermute_b32 v5, v9, v2
	s_wait_dscnt 0x0
	v_dual_add_f32 v3, v3, v4 :: v_dual_add_f32 v2, v2, v5
	ds_bpermute_b32 v4, v10, v3
	;; [unrolled: 4-line block ×3, first 2 shown]
	ds_bpermute_b32 v3, v11, v2
	s_and_b32 exec_lo, exec_lo, s1
	s_cbranch_execz .LBB58_27
; %bb.23:
	v_add_nc_u64_e32 v[0:1], s[2:3], v[0:1]
	s_and_not1_b32 vcc_lo, exec_lo, s9
	s_cbranch_vccnz .LBB58_25
; %bb.24:
	s_wait_dscnt 0x1
	v_add_f32_e32 v6, v4, v5
	s_delay_alu instid0(VALU_DEP_2)
	v_lshl_add_u64 v[4:5], v[0:1], 2, s[4:5]
	global_store_b32 v[4:5], v6, off offset:128
.LBB58_25:
	s_and_not1_b32 vcc_lo, exec_lo, s8
	s_cbranch_vccnz .LBB58_27
; %bb.26:
	s_wait_dscnt 0x0
	v_add_f32_e32 v2, v2, v3
	v_lshl_add_u64 v[0:1], v[0:1], 2, s[6:7]
	global_store_b32 v[0:1], v2, off offset:128
.LBB58_27:
	s_endpgm
	.section	.rodata,"a",@progbits
	.p2align	6, 0x0
	.amdhsa_kernel _ZN2at6native12_GLOBAL__N_135GammaBetaBackwardCUDAKernelTemplateIffLj64ELj16ELj256ELb0ELb1ELb0EEEvllPKT_S5_PKT0_S8_PS3_S9_
		.amdhsa_group_segment_fixed_size 0
		.amdhsa_private_segment_fixed_size 0
		.amdhsa_kernarg_size 320
		.amdhsa_user_sgpr_count 2
		.amdhsa_user_sgpr_dispatch_ptr 0
		.amdhsa_user_sgpr_queue_ptr 0
		.amdhsa_user_sgpr_kernarg_segment_ptr 1
		.amdhsa_user_sgpr_dispatch_id 0
		.amdhsa_user_sgpr_kernarg_preload_length 0
		.amdhsa_user_sgpr_kernarg_preload_offset 0
		.amdhsa_user_sgpr_private_segment_size 0
		.amdhsa_wavefront_size32 1
		.amdhsa_uses_dynamic_stack 0
		.amdhsa_enable_private_segment 0
		.amdhsa_system_sgpr_workgroup_id_x 1
		.amdhsa_system_sgpr_workgroup_id_y 1
		.amdhsa_system_sgpr_workgroup_id_z 0
		.amdhsa_system_sgpr_workgroup_info 0
		.amdhsa_system_vgpr_workitem_id 1
		.amdhsa_next_free_vgpr 62
		.amdhsa_next_free_sgpr 26
		.amdhsa_named_barrier_count 0
		.amdhsa_reserve_vcc 1
		.amdhsa_float_round_mode_32 0
		.amdhsa_float_round_mode_16_64 0
		.amdhsa_float_denorm_mode_32 3
		.amdhsa_float_denorm_mode_16_64 3
		.amdhsa_fp16_overflow 0
		.amdhsa_memory_ordered 1
		.amdhsa_forward_progress 1
		.amdhsa_inst_pref_size 21
		.amdhsa_round_robin_scheduling 0
		.amdhsa_exception_fp_ieee_invalid_op 0
		.amdhsa_exception_fp_denorm_src 0
		.amdhsa_exception_fp_ieee_div_zero 0
		.amdhsa_exception_fp_ieee_overflow 0
		.amdhsa_exception_fp_ieee_underflow 0
		.amdhsa_exception_fp_ieee_inexact 0
		.amdhsa_exception_int_div_zero 0
	.end_amdhsa_kernel
	.section	.text._ZN2at6native12_GLOBAL__N_135GammaBetaBackwardCUDAKernelTemplateIffLj64ELj16ELj256ELb0ELb1ELb0EEEvllPKT_S5_PKT0_S8_PS3_S9_,"axG",@progbits,_ZN2at6native12_GLOBAL__N_135GammaBetaBackwardCUDAKernelTemplateIffLj64ELj16ELj256ELb0ELb1ELb0EEEvllPKT_S5_PKT0_S8_PS3_S9_,comdat
.Lfunc_end58:
	.size	_ZN2at6native12_GLOBAL__N_135GammaBetaBackwardCUDAKernelTemplateIffLj64ELj16ELj256ELb0ELb1ELb0EEEvllPKT_S5_PKT0_S8_PS3_S9_, .Lfunc_end58-_ZN2at6native12_GLOBAL__N_135GammaBetaBackwardCUDAKernelTemplateIffLj64ELj16ELj256ELb0ELb1ELb0EEEvllPKT_S5_PKT0_S8_PS3_S9_
                                        ; -- End function
	.set _ZN2at6native12_GLOBAL__N_135GammaBetaBackwardCUDAKernelTemplateIffLj64ELj16ELj256ELb0ELb1ELb0EEEvllPKT_S5_PKT0_S8_PS3_S9_.num_vgpr, 62
	.set _ZN2at6native12_GLOBAL__N_135GammaBetaBackwardCUDAKernelTemplateIffLj64ELj16ELj256ELb0ELb1ELb0EEEvllPKT_S5_PKT0_S8_PS3_S9_.num_agpr, 0
	.set _ZN2at6native12_GLOBAL__N_135GammaBetaBackwardCUDAKernelTemplateIffLj64ELj16ELj256ELb0ELb1ELb0EEEvllPKT_S5_PKT0_S8_PS3_S9_.numbered_sgpr, 26
	.set _ZN2at6native12_GLOBAL__N_135GammaBetaBackwardCUDAKernelTemplateIffLj64ELj16ELj256ELb0ELb1ELb0EEEvllPKT_S5_PKT0_S8_PS3_S9_.num_named_barrier, 0
	.set _ZN2at6native12_GLOBAL__N_135GammaBetaBackwardCUDAKernelTemplateIffLj64ELj16ELj256ELb0ELb1ELb0EEEvllPKT_S5_PKT0_S8_PS3_S9_.private_seg_size, 0
	.set _ZN2at6native12_GLOBAL__N_135GammaBetaBackwardCUDAKernelTemplateIffLj64ELj16ELj256ELb0ELb1ELb0EEEvllPKT_S5_PKT0_S8_PS3_S9_.uses_vcc, 1
	.set _ZN2at6native12_GLOBAL__N_135GammaBetaBackwardCUDAKernelTemplateIffLj64ELj16ELj256ELb0ELb1ELb0EEEvllPKT_S5_PKT0_S8_PS3_S9_.uses_flat_scratch, 0
	.set _ZN2at6native12_GLOBAL__N_135GammaBetaBackwardCUDAKernelTemplateIffLj64ELj16ELj256ELb0ELb1ELb0EEEvllPKT_S5_PKT0_S8_PS3_S9_.has_dyn_sized_stack, 0
	.set _ZN2at6native12_GLOBAL__N_135GammaBetaBackwardCUDAKernelTemplateIffLj64ELj16ELj256ELb0ELb1ELb0EEEvllPKT_S5_PKT0_S8_PS3_S9_.has_recursion, 0
	.set _ZN2at6native12_GLOBAL__N_135GammaBetaBackwardCUDAKernelTemplateIffLj64ELj16ELj256ELb0ELb1ELb0EEEvllPKT_S5_PKT0_S8_PS3_S9_.has_indirect_call, 0
	.section	.AMDGPU.csdata,"",@progbits
; Kernel info:
; codeLenInByte = 2684
; TotalNumSgprs: 28
; NumVgprs: 62
; ScratchSize: 0
; MemoryBound: 0
; FloatMode: 240
; IeeeMode: 1
; LDSByteSize: 0 bytes/workgroup (compile time only)
; SGPRBlocks: 0
; VGPRBlocks: 3
; NumSGPRsForWavesPerEU: 28
; NumVGPRsForWavesPerEU: 62
; NamedBarCnt: 0
; Occupancy: 16
; WaveLimiterHint : 0
; COMPUTE_PGM_RSRC2:SCRATCH_EN: 0
; COMPUTE_PGM_RSRC2:USER_SGPR: 2
; COMPUTE_PGM_RSRC2:TRAP_HANDLER: 0
; COMPUTE_PGM_RSRC2:TGID_X_EN: 1
; COMPUTE_PGM_RSRC2:TGID_Y_EN: 1
; COMPUTE_PGM_RSRC2:TGID_Z_EN: 0
; COMPUTE_PGM_RSRC2:TIDIG_COMP_CNT: 1
	.section	.text._ZN2at6native12_GLOBAL__N_135GammaBetaBackwardCUDAKernelTemplateIffLj64ELj16ELj256ELb0ELb0ELb0EEEvllPKT_S5_PKT0_S8_PS3_S9_,"axG",@progbits,_ZN2at6native12_GLOBAL__N_135GammaBetaBackwardCUDAKernelTemplateIffLj64ELj16ELj256ELb0ELb0ELb0EEEvllPKT_S5_PKT0_S8_PS3_S9_,comdat
	.globl	_ZN2at6native12_GLOBAL__N_135GammaBetaBackwardCUDAKernelTemplateIffLj64ELj16ELj256ELb0ELb0ELb0EEEvllPKT_S5_PKT0_S8_PS3_S9_ ; -- Begin function _ZN2at6native12_GLOBAL__N_135GammaBetaBackwardCUDAKernelTemplateIffLj64ELj16ELj256ELb0ELb0ELb0EEEvllPKT_S5_PKT0_S8_PS3_S9_
	.p2align	8
	.type	_ZN2at6native12_GLOBAL__N_135GammaBetaBackwardCUDAKernelTemplateIffLj64ELj16ELj256ELb0ELb0ELb0EEEvllPKT_S5_PKT0_S8_PS3_S9_,@function
_ZN2at6native12_GLOBAL__N_135GammaBetaBackwardCUDAKernelTemplateIffLj64ELj16ELj256ELb0ELb0ELb0EEEvllPKT_S5_PKT0_S8_PS3_S9_: ; @_ZN2at6native12_GLOBAL__N_135GammaBetaBackwardCUDAKernelTemplateIffLj64ELj16ELj256ELb0ELb0ELb0EEEvllPKT_S5_PKT0_S8_PS3_S9_
; %bb.0:
	s_load_b256 s[4:11], s[0:1], 0x0
	s_bfe_u32 s3, ttmp6, 0x4000c
	s_bfe_u32 s12, ttmp6, 0x40010
	s_add_co_i32 s3, s3, 1
	s_add_co_i32 s12, s12, 1
	s_and_b32 s2, ttmp6, 15
	s_bfe_u32 s13, ttmp6, 0x40004
	s_mul_i32 s3, ttmp9, s3
	s_mul_i32 s12, ttmp7, s12
	s_getreg_b32 s14, hwreg(HW_REG_IB_STS2, 6, 4)
	s_add_co_i32 s2, s2, s3
	s_add_co_i32 s3, s13, s12
	s_cmp_eq_u32 s14, 0
	s_mov_b32 s19, 0
	s_cselect_b32 s16, ttmp9, s2
	s_cselect_b32 s2, ttmp7, s3
	s_lshl_b32 s3, s16, 6
	s_load_b128 s[12:15], s[0:1], 0x20
	s_or_b32 s18, s3, 63
	v_mov_b32_e32 v114, v0
	s_wait_kmcnt 0x0
	v_cmp_le_i64_e64 s20, s[6:7], s[18:19]
	s_lshl_b32 s18, s2, 8
	s_delay_alu instid0(SALU_CYCLE_1) | instskip(SKIP_2) | instid1(VALU_DEP_1)
	v_cmp_gt_i64_e64 s17, s[4:5], s[18:19]
	s_and_b32 vcc_lo, exec_lo, s20
	v_cndmask_b32_e64 v0, 0, 1, s17
	v_cmp_ne_u32_e64 s2, 1, v0
	s_cbranch_vccz .LBB59_80
; %bb.1:
	v_mov_b32_e32 v117, 0
	s_and_b32 vcc_lo, exec_lo, s2
	s_delay_alu instid0(VALU_DEP_1)
	v_mov_b32_e32 v116, v117
	s_cbranch_vccnz .LBB59_81
; %bb.2:
	v_bfe_u32 v106, v114, 10, 10
	v_mov_b32_e32 v2, 0
	v_and_b32_e32 v107, 0x3ff, v114
	s_load_b32 s20, s[0:1], 0x44
	s_mov_b32 s21, 0
	s_delay_alu instid0(VALU_DEP_2) | instskip(NEXT) | instid1(VALU_DEP_2)
	v_dual_mov_b32 v39, v2 :: v_dual_lshlrev_b32 v38, 4, v106
	v_dual_mov_b32 v21, v2 :: v_dual_add_nc_u32 v20, s3, v107
	v_mov_b32_e32 v116, 0
	s_mov_b32 s25, s21
	s_delay_alu instid0(VALU_DEP_3)
	v_add_nc_u64_e32 v[4:5], s[18:19], v[38:39]
	v_mov_b32_e32 v117, v2
	v_cmp_gt_i64_e64 s2, s[6:7], v[20:21]
	v_lshlrev_b64_e32 v[40:41], 2, v[20:21]
	s_add_nc_u64 s[22:23], s[0:1], 64
	s_mov_b64 s[26:27], 0xffffffffffffff01
	s_mov_b64 s[28:29], 0xffffffffffffff02
	v_add_nc_u64_e32 v[6:7], 15, v[4:5]
	v_add_nc_u64_e32 v[8:9], 14, v[4:5]
	;; [unrolled: 1-line block ×6, first 2 shown]
	v_mul_u64_e32 v[0:1], s[6:7], v[4:5]
	v_mul_u64_e32 v[6:7], s[6:7], v[6:7]
	;; [unrolled: 1-line block ×4, first 2 shown]
	v_add_nc_u64_e32 v[12:13], 12, v[4:5]
	v_add_nc_u64_e32 v[14:15], 11, v[4:5]
	;; [unrolled: 1-line block ×6, first 2 shown]
	v_mul_u64_e32 v[22:23], s[6:7], v[22:23]
	v_add_nc_u64_e32 v[32:33], 3, v[4:5]
	v_mul_u64_e32 v[24:25], s[6:7], v[24:25]
	v_add_nc_u64_e32 v[4:5], 2, v[4:5]
	v_mul_u64_e32 v[26:27], s[6:7], v[26:27]
	v_mul_u64_e32 v[12:13], s[6:7], v[12:13]
	v_mul_u64_e32 v[14:15], s[6:7], v[14:15]
	v_mul_u64_e32 v[16:17], s[6:7], v[16:17]
	v_mul_u64_e32 v[18:19], s[6:7], v[18:19]
	v_mul_u64_e32 v[20:21], s[6:7], v[28:29]
	v_mul_u64_e32 v[28:29], s[6:7], v[30:31]
	v_mul_u64_e32 v[30:31], s[6:7], v[32:33]
	v_mul_u64_e32 v[4:5], s[6:7], v[4:5]
	s_wait_kmcnt 0x0
	s_lshl_b32 s24, s20, 8
	s_mov_b64 s[30:31], 0xffffffffffffff03
	s_mul_u64 s[60:61], s[6:7], s[24:25]
	s_mov_b64 s[34:35], 0xffffffffffffff04
	s_mov_b64 s[36:37], 0xffffffffffffff05
	;; [unrolled: 1-line block ×6, first 2 shown]
	v_lshlrev_b64_e32 v[34:35], 2, v[0:1]
	v_lshlrev_b64_e32 v[6:7], 2, v[6:7]
	;; [unrolled: 1-line block ×4, first 2 shown]
	v_add_nc_u64_e32 v[0:1], s[6:7], v[0:1]
	s_mov_b64 s[46:47], 0xffffffffffffff0a
	s_mov_b64 s[48:49], 0xffffffffffffff0b
	v_add_nc_u64_e32 v[42:43], s[8:9], v[34:35]
	v_add_nc_u64_e32 v[46:47], s[8:9], v[6:7]
	;; [unrolled: 1-line block ×7, first 2 shown]
	v_lshlrev_b64_e32 v[6:7], 2, v[22:23]
	v_lshlrev_b64_e32 v[8:9], 2, v[24:25]
	;; [unrolled: 1-line block ×7, first 2 shown]
	v_add_nc_u64_e32 v[74:75], s[8:9], v[6:7]
	v_add_nc_u64_e32 v[76:77], s[10:11], v[6:7]
	;; [unrolled: 1-line block ×3, first 2 shown]
	v_lshlrev_b64_e32 v[6:7], 2, v[20:21]
	v_add_nc_u64_e32 v[80:81], s[10:11], v[8:9]
	v_add_nc_u64_e32 v[82:83], s[8:9], v[10:11]
	v_lshlrev_b64_e32 v[8:9], 2, v[28:29]
	v_add_nc_u64_e32 v[84:85], s[10:11], v[10:11]
	v_lshlrev_b64_e32 v[10:11], 2, v[30:31]
	v_lshlrev_b64_e32 v[4:5], 2, v[4:5]
	v_lshlrev_b64_e32 v[0:1], 2, v[0:1]
	v_add_nc_u64_e32 v[44:45], s[10:11], v[34:35]
	v_add_nc_u64_e32 v[58:59], s[8:9], v[12:13]
	;; [unrolled: 1-line block ×19, first 2 shown]
	s_mov_b64 s[50:51], 0xffffffffffffff0c
	s_mov_b64 s[52:53], 0xffffffffffffff0d
	;; [unrolled: 1-line block ×5, first 2 shown]
	s_lshl_b64 s[60:61], s[60:61], 2
	s_add_nc_u64 s[62:63], s[18:19], 0xff
	s_mov_b64 s[64:65], s[18:19]
	s_branch .LBB59_5
.LBB59_3:                               ;   in Loop: Header=BB59_5 Depth=1
	s_wait_xcnt 0x0
	s_or_b32 exec_lo, exec_lo, s20
	s_wait_loadcnt 0x1
	ds_bpermute_b32 v1, v2, v108
	ds_bpermute_b32 v3, v2, v108 offset:4
	s_wait_loadcnt 0x0
	ds_bpermute_b32 v0, v2, v109
	v_dual_mov_b32 v37, v7 :: v_dual_mov_b32 v111, v9
	s_wait_dscnt 0x1
	v_dual_sub_f32 v1, v20, v1 :: v_dual_sub_f32 v3, v21, v3
	s_delay_alu instid0(VALU_DEP_1) | instskip(NEXT) | instid1(VALU_DEP_2)
	v_dual_mov_b32 v21, v5 :: v_dual_mul_f32 v1, v4, v1
	v_mul_f32_e32 v3, v5, v3
	ds_bpermute_b32 v5, v2, v108 offset:28
	s_wait_dscnt 0x1
	v_mul_f32_e32 v0, v1, v0
	ds_bpermute_b32 v1, v2, v109 offset:4
	s_wait_dscnt 0x1
	v_dual_sub_f32 v5, v27, v5 :: v_dual_mov_b32 v27, v16
	s_wait_dscnt 0x0
	v_mul_f32_e32 v20, v3, v1
	ds_bpermute_b32 v3, v2, v108 offset:8
	ds_bpermute_b32 v1, v2, v109 offset:8
	s_wait_dscnt 0x1
	v_dual_mul_f32 v5, v11, v5 :: v_dual_sub_f32 v3, v22, v3
	s_delay_alu instid0(VALU_DEP_1) | instskip(SKIP_1) | instid1(VALU_DEP_1)
	v_mul_f32_e32 v3, v6, v3
	s_wait_dscnt 0x0
	v_mul_f32_e32 v22, v3, v1
	ds_bpermute_b32 v3, v2, v108 offset:12
	ds_bpermute_b32 v1, v2, v109 offset:12
	s_wait_dscnt 0x1
	v_dual_sub_f32 v3, v23, v3 :: v_dual_mov_b32 v23, v6
	s_delay_alu instid0(VALU_DEP_1) | instskip(SKIP_2) | instid1(VALU_DEP_2)
	v_mul_f32_e32 v3, v7, v3
	v_mov_b32_e32 v7, v11
	s_wait_dscnt 0x0
	v_mul_f32_e32 v36, v3, v1
	ds_bpermute_b32 v3, v2, v108 offset:16
	ds_bpermute_b32 v1, v2, v109 offset:16
	s_wait_dscnt 0x1
	v_sub_f32_e32 v3, v24, v3
	s_delay_alu instid0(VALU_DEP_1) | instskip(SKIP_1) | instid1(VALU_DEP_1)
	v_mul_f32_e32 v3, v8, v3
	s_wait_dscnt 0x0
	v_mul_f32_e32 v24, v3, v1
	ds_bpermute_b32 v3, v2, v108 offset:20
	ds_bpermute_b32 v1, v2, v109 offset:20
	s_wait_dscnt 0x1
	v_dual_sub_f32 v3, v25, v3 :: v_dual_mov_b32 v25, v8
	s_delay_alu instid0(VALU_DEP_1) | instskip(SKIP_1) | instid1(VALU_DEP_1)
	v_dual_mul_f32 v3, v9, v3 :: v_dual_mov_b32 v9, v12
	s_wait_dscnt 0x0
	v_dual_mul_f32 v110, v3, v1 :: v_dual_mov_b32 v1, v4
	ds_bpermute_b32 v4, v2, v108 offset:24
	ds_bpermute_b32 v3, v2, v109 offset:24
	v_pk_add_f32 v[0:1], v[116:117], v[0:1]
	s_delay_alu instid0(VALU_DEP_1) | instskip(SKIP_1) | instid1(VALU_DEP_2)
	v_pk_add_f32 v[0:1], v[20:21], v[0:1]
	v_mov_b32_e32 v21, v13
	v_pk_add_f32 v[0:1], v[22:23], v[0:1]
	v_mov_b32_e32 v23, v14
	s_delay_alu instid0(VALU_DEP_2) | instskip(SKIP_2) | instid1(VALU_DEP_2)
	v_pk_add_f32 v[0:1], v[36:37], v[0:1]
	s_wait_dscnt 0x1
	v_sub_f32_e32 v4, v26, v4
	v_pk_add_f32 v[0:1], v[24:25], v[0:1]
	s_delay_alu instid0(VALU_DEP_2) | instskip(NEXT) | instid1(VALU_DEP_2)
	v_dual_mul_f32 v4, v10, v4 :: v_dual_mov_b32 v25, v15
	v_pk_add_f32 v[0:1], v[110:111], v[0:1]
	s_wait_dscnt 0x0
	s_delay_alu instid0(VALU_DEP_2)
	v_mul_f32_e32 v4, v4, v3
	ds_bpermute_b32 v3, v2, v109 offset:28
	s_wait_dscnt 0x0
	v_mul_f32_e32 v6, v5, v3
	ds_bpermute_b32 v5, v2, v108 offset:32
	ds_bpermute_b32 v3, v2, v109 offset:32
	s_wait_dscnt 0x1
	v_sub_f32_e32 v5, v28, v5
	s_delay_alu instid0(VALU_DEP_1) | instskip(SKIP_1) | instid1(VALU_DEP_1)
	v_mul_f32_e32 v5, v12, v5
	s_wait_dscnt 0x0
	v_mul_f32_e32 v8, v5, v3
	ds_bpermute_b32 v5, v2, v108 offset:36
	ds_bpermute_b32 v3, v2, v109 offset:36
	s_wait_dscnt 0x1
	v_sub_f32_e32 v5, v29, v5
	v_mov_b32_e32 v29, v17
	s_delay_alu instid0(VALU_DEP_2) | instskip(SKIP_1) | instid1(VALU_DEP_1)
	v_mul_f32_e32 v5, v13, v5
	s_wait_dscnt 0x0
	v_mul_f32_e32 v20, v5, v3
	ds_bpermute_b32 v5, v2, v108 offset:40
	ds_bpermute_b32 v3, v2, v109 offset:40
	s_wait_dscnt 0x1
	v_sub_f32_e32 v5, v30, v5
	s_delay_alu instid0(VALU_DEP_1) | instskip(SKIP_1) | instid1(VALU_DEP_1)
	v_mul_f32_e32 v5, v14, v5
	s_wait_dscnt 0x0
	v_mul_f32_e32 v22, v5, v3
	ds_bpermute_b32 v5, v2, v108 offset:44
	ds_bpermute_b32 v3, v2, v109 offset:44
	s_wait_dscnt 0x1
	v_sub_f32_e32 v5, v31, v5
	s_delay_alu instid0(VALU_DEP_1) | instskip(SKIP_1) | instid1(VALU_DEP_1)
	;; [unrolled: 8-line block ×4, first 2 shown]
	v_mul_f32_e32 v5, v17, v5
	s_wait_dscnt 0x0
	v_dual_mul_f32 v28, v5, v3 :: v_dual_mov_b32 v5, v10
	ds_bpermute_b32 v3, v2, v109 offset:56
	v_pk_add_f32 v[0:1], v[4:5], v[0:1]
	ds_bpermute_b32 v4, v2, v108 offset:56
	v_mov_b32_e32 v5, v18
	v_pk_add_f32 v[0:1], v[6:7], v[0:1]
	s_delay_alu instid0(VALU_DEP_1) | instskip(NEXT) | instid1(VALU_DEP_1)
	v_pk_add_f32 v[0:1], v[8:9], v[0:1]
	v_pk_add_f32 v[0:1], v[20:21], v[0:1]
	s_delay_alu instid0(VALU_DEP_1) | instskip(SKIP_2) | instid1(VALU_DEP_2)
	v_pk_add_f32 v[0:1], v[22:23], v[0:1]
	s_wait_dscnt 0x0
	v_sub_f32_e32 v4, v34, v4
	v_pk_add_f32 v[0:1], v[24:25], v[0:1]
	s_delay_alu instid0(VALU_DEP_2) | instskip(NEXT) | instid1(VALU_DEP_2)
	v_mul_f32_e32 v4, v18, v4
	v_pk_add_f32 v[0:1], v[26:27], v[0:1]
	s_delay_alu instid0(VALU_DEP_2) | instskip(SKIP_2) | instid1(VALU_DEP_1)
	v_mul_f32_e32 v4, v4, v3
	ds_bpermute_b32 v3, v2, v109 offset:60
	v_pk_add_f32 v[0:1], v[28:29], v[0:1]
	v_pk_add_f32 v[36:37], v[4:5], v[0:1]
	ds_bpermute_b32 v4, v2, v108 offset:60
.LBB59_4:                               ;   in Loop: Header=BB59_5 Depth=1
	s_wait_dscnt 0x0
	v_sub_f32_e32 v0, v35, v4
	s_add_nc_u64 s[64:65], s[64:65], s[24:25]
	v_add_nc_u64_e32 v[42:43], s[60:61], v[42:43]
	v_cmp_lt_i64_e64 s20, s[64:65], s[4:5]
	v_add_nc_u64_e32 v[44:45], s[60:61], v[44:45]
	v_mul_f32_e32 v0, v19, v0
	v_add_nc_u64_e32 v[46:47], s[60:61], v[46:47]
	v_add_nc_u64_e32 v[48:49], s[60:61], v[48:49]
	;; [unrolled: 1-line block ×4, first 2 shown]
	v_mul_f32_e32 v18, v0, v3
	v_add_nc_u64_e32 v[54:55], s[60:61], v[54:55]
	v_add_nc_u64_e32 v[56:57], s[60:61], v[56:57]
	;; [unrolled: 1-line block ×26, first 2 shown]
	v_pk_add_f32 v[116:117], v[36:37], v[18:19]
	s_and_b32 vcc_lo, exec_lo, s20
	s_add_nc_u64 s[62:63], s[62:63], s[24:25]
	s_cbranch_vccz .LBB59_81
.LBB59_5:                               ; =>This Inner Loop Header: Depth=1
	v_cmp_ge_i64_e64 s20, s[62:63], s[4:5]
	v_add_nc_u64_e32 v[0:1], s[62:63], v[38:39]
                                        ; implicit-def: $vgpr4_vgpr5_vgpr6_vgpr7_vgpr8_vgpr9_vgpr10_vgpr11_vgpr12_vgpr13_vgpr14_vgpr15_vgpr16_vgpr17_vgpr18_vgpr19
                                        ; implicit-def: $vgpr36_vgpr37
                                        ; implicit-def: $vgpr3
                                        ; implicit-def: $vgpr20_vgpr21_vgpr22_vgpr23_vgpr24_vgpr25_vgpr26_vgpr27_vgpr28_vgpr29_vgpr30_vgpr31_vgpr32_vgpr33_vgpr34_vgpr35
                                        ; implicit-def: $vgpr4
	s_and_b32 vcc_lo, exec_lo, s20
	s_mov_b32 s20, -1
	s_cbranch_vccz .LBB59_43
; %bb.6:                                ;   in Loop: Header=BB59_5 Depth=1
	s_load_b32 s20, s[22:23], 0xc
	v_dual_mov_b32 v108, 0 :: v_dual_mov_b32 v109, 0
	s_wait_kmcnt 0x0
	s_and_b32 s20, s20, 0xffff
	s_delay_alu instid0(SALU_CYCLE_1) | instskip(SKIP_1) | instid1(VALU_DEP_1)
	v_mad_u32_u24 v3, v106, s20, v107
	s_mov_b32 s20, exec_lo
	v_and_b32_e32 v4, 31, v3
	s_delay_alu instid0(VALU_DEP_1)
	v_cmpx_gt_u32_e32 16, v4
	s_cbranch_execz .LBB59_10
; %bb.7:                                ;   in Loop: Header=BB59_5 Depth=1
	v_dual_mov_b32 v5, v2 :: v_dual_mov_b32 v108, 0
	v_mov_b32_e32 v109, 0
	s_mov_b32 s33, exec_lo
	s_delay_alu instid0(VALU_DEP_2) | instskip(NEXT) | instid1(VALU_DEP_1)
	v_add_nc_u64_e32 v[4:5], v[0:1], v[4:5]
	v_add_nc_u64_e32 v[4:5], s[26:27], v[4:5]
	s_delay_alu instid0(VALU_DEP_1)
	v_cmpx_gt_i64_e64 s[4:5], v[4:5]
	s_cbranch_execz .LBB59_9
; %bb.8:                                ;   in Loop: Header=BB59_5 Depth=1
	v_lshlrev_b64_e32 v[4:5], 2, v[4:5]
	s_delay_alu instid0(VALU_DEP_1)
	v_add_nc_u64_e32 v[6:7], s[12:13], v[4:5]
	v_add_nc_u64_e32 v[4:5], s[14:15], v[4:5]
	global_load_b32 v108, v[6:7], off
	global_load_b32 v109, v[4:5], off
.LBB59_9:                               ;   in Loop: Header=BB59_5 Depth=1
	s_wait_xcnt 0x0
	s_or_b32 exec_lo, exec_lo, s33
.LBB59_10:                              ;   in Loop: Header=BB59_5 Depth=1
	s_delay_alu instid0(SALU_CYCLE_1)
	s_or_b32 exec_lo, exec_lo, s20
	v_add_nc_u64_e32 v[18:19], s[26:27], v[0:1]
	v_dual_mov_b32 v15, v2 :: v_dual_mov_b32 v16, v2
	v_dual_mov_b32 v17, v2 :: v_dual_mov_b32 v3, v2
	;; [unrolled: 1-line block ×7, first 2 shown]
	v_mov_b32_e32 v14, v2
	v_cmp_gt_i64_e32 vcc_lo, s[4:5], v[18:19]
	v_mov_b64_e32 v[34:35], v[16:17]
	v_mov_b64_e32 v[28:29], v[10:11]
	;; [unrolled: 1-line block ×16, first 2 shown]
	s_and_b32 s33, s2, vcc_lo
	s_delay_alu instid0(SALU_CYCLE_1)
	s_and_saveexec_b32 s20, s33
	s_cbranch_execz .LBB59_12
; %bb.11:                               ;   in Loop: Header=BB59_5 Depth=1
	v_add_nc_u64_e32 v[4:5], v[42:43], v[40:41]
	v_add_nc_u64_e32 v[6:7], v[44:45], v[40:41]
	v_dual_mov_b32 v9, v2 :: v_dual_mov_b32 v10, v2
	v_dual_mov_b32 v11, v2 :: v_dual_mov_b32 v12, v2
	;; [unrolled: 1-line block ×3, first 2 shown]
	global_load_b32 v4, v[4:5], off
	global_load_b32 v20, v[6:7], off
	s_wait_xcnt 0x0
	v_dual_mov_b32 v5, v2 :: v_dual_mov_b32 v6, v2
	v_dual_mov_b32 v7, v2 :: v_dual_mov_b32 v8, v2
	;; [unrolled: 1-line block ×12, first 2 shown]
.LBB59_12:                              ;   in Loop: Header=BB59_5 Depth=1
	s_or_b32 exec_lo, exec_lo, s20
	v_add_nc_u64_e32 v[36:37], s[28:29], v[0:1]
	s_delay_alu instid0(VALU_DEP_1) | instskip(SKIP_1) | instid1(SALU_CYCLE_1)
	v_cmp_gt_i64_e32 vcc_lo, s[4:5], v[36:37]
	s_and_b32 s33, s2, vcc_lo
	s_and_saveexec_b32 s20, s33
	s_cbranch_execz .LBB59_14
; %bb.13:                               ;   in Loop: Header=BB59_5 Depth=1
	v_add_nc_u64_e32 v[36:37], v[102:103], v[40:41]
	v_add_nc_u64_e32 v[110:111], v[104:105], v[40:41]
	global_load_b32 v5, v[36:37], off
	global_load_b32 v21, v[110:111], off
.LBB59_14:                              ;   in Loop: Header=BB59_5 Depth=1
	s_wait_xcnt 0x0
	s_or_b32 exec_lo, exec_lo, s20
	v_add_nc_u64_e32 v[36:37], s[30:31], v[0:1]
	s_delay_alu instid0(VALU_DEP_1) | instskip(SKIP_1) | instid1(SALU_CYCLE_1)
	v_cmp_gt_i64_e32 vcc_lo, s[4:5], v[36:37]
	s_and_b32 s33, s2, vcc_lo
	s_and_saveexec_b32 s20, s33
	s_cbranch_execz .LBB59_16
; %bb.15:                               ;   in Loop: Header=BB59_5 Depth=1
	v_add_nc_u64_e32 v[36:37], v[98:99], v[40:41]
	v_add_nc_u64_e32 v[110:111], v[100:101], v[40:41]
	global_load_b32 v6, v[36:37], off
	global_load_b32 v22, v[110:111], off
.LBB59_16:                              ;   in Loop: Header=BB59_5 Depth=1
	s_wait_xcnt 0x0
	;; [unrolled: 14-line block ×15, first 2 shown]
	s_or_b32 exec_lo, exec_lo, s20
	s_wait_loadcnt 0x1
	ds_bpermute_b32 v36, v2, v108
	s_wait_loadcnt 0x0
	ds_bpermute_b32 v3, v2, v109
	s_mov_b32 s20, 0
	v_dual_mov_b32 v37, v5 :: v_dual_mov_b32 v111, v7
	s_wait_dscnt 0x1
	v_dual_mov_b32 v113, v9 :: v_dual_sub_f32 v20, v20, v36
	ds_bpermute_b32 v36, v2, v108 offset:4
	s_wait_dscnt 0x0
	v_sub_f32_e32 v21, v21, v36
	s_delay_alu instid0(VALU_DEP_1) | instskip(NEXT) | instid1(VALU_DEP_1)
	v_dual_mul_f32 v20, v4, v20 :: v_dual_mul_f32 v21, v5, v21
	v_mul_f32_e32 v20, v20, v3
	ds_bpermute_b32 v3, v2, v109 offset:4
	s_wait_dscnt 0x0
	v_mul_f32_e32 v36, v21, v3
	ds_bpermute_b32 v21, v2, v108 offset:8
	ds_bpermute_b32 v3, v2, v109 offset:8
	s_wait_dscnt 0x1
	v_sub_f32_e32 v21, v22, v21
	s_delay_alu instid0(VALU_DEP_1) | instskip(SKIP_1) | instid1(VALU_DEP_1)
	v_mul_f32_e32 v21, v6, v21
	s_wait_dscnt 0x0
	v_mul_f32_e32 v22, v21, v3
	ds_bpermute_b32 v21, v2, v108 offset:12
	ds_bpermute_b32 v3, v2, v109 offset:12
	s_wait_dscnt 0x1
	v_dual_sub_f32 v21, v23, v21 :: v_dual_mov_b32 v23, v6
	ds_bpermute_b32 v6, v2, v108 offset:24
	v_mul_f32_e32 v21, v7, v21
	ds_bpermute_b32 v7, v2, v108 offset:28
	s_wait_dscnt 0x2
	v_mul_f32_e32 v110, v21, v3
	ds_bpermute_b32 v21, v2, v108 offset:16
	ds_bpermute_b32 v3, v2, v109 offset:16
	s_wait_dscnt 0x2
	v_dual_sub_f32 v6, v26, v6 :: v_dual_sub_f32 v7, v27, v7
	s_delay_alu instid0(VALU_DEP_1) | instskip(SKIP_2) | instid1(VALU_DEP_1)
	v_dual_mul_f32 v6, v10, v6 :: v_dual_mov_b32 v27, v15
	s_wait_dscnt 0x1
	v_sub_f32_e32 v21, v24, v21
	v_mul_f32_e32 v21, v8, v21
	s_wait_dscnt 0x0
	s_delay_alu instid0(VALU_DEP_1) | instskip(SKIP_4) | instid1(VALU_DEP_1)
	v_mul_f32_e32 v24, v21, v3
	ds_bpermute_b32 v21, v2, v108 offset:20
	ds_bpermute_b32 v3, v2, v109 offset:20
	s_wait_dscnt 0x1
	v_dual_sub_f32 v21, v25, v21 :: v_dual_mov_b32 v25, v8
	v_dual_mul_f32 v21, v9, v21 :: v_dual_mov_b32 v9, v11
	s_wait_dscnt 0x0
	s_delay_alu instid0(VALU_DEP_1) | instskip(SKIP_2) | instid1(VALU_DEP_1)
	v_mul_f32_e32 v112, v21, v3
	ds_bpermute_b32 v3, v2, v109 offset:24
	v_mov_b32_e32 v21, v4
	v_pk_add_f32 v[20:21], v[116:117], v[20:21]
	s_delay_alu instid0(VALU_DEP_1) | instskip(SKIP_1) | instid1(VALU_DEP_2)
	v_pk_add_f32 v[4:5], v[36:37], v[20:21]
	v_dual_mov_b32 v21, v12 :: v_dual_mul_f32 v7, v11, v7
	v_pk_add_f32 v[4:5], v[22:23], v[4:5]
	s_wait_dscnt 0x0
	v_dual_mov_b32 v23, v13 :: v_dual_mul_f32 v6, v6, v3
	ds_bpermute_b32 v3, v2, v109 offset:28
	v_pk_add_f32 v[4:5], v[110:111], v[4:5]
	s_delay_alu instid0(VALU_DEP_1) | instskip(SKIP_1) | instid1(VALU_DEP_2)
	v_pk_add_f32 v[4:5], v[24:25], v[4:5]
	v_mov_b32_e32 v25, v14
	v_pk_add_f32 v[4:5], v[112:113], v[4:5]
	s_wait_dscnt 0x0
	v_mul_f32_e32 v8, v7, v3
	ds_bpermute_b32 v7, v2, v108 offset:32
	ds_bpermute_b32 v3, v2, v109 offset:32
	s_wait_dscnt 0x1
	v_sub_f32_e32 v7, v28, v7
	s_delay_alu instid0(VALU_DEP_1) | instskip(SKIP_1) | instid1(VALU_DEP_1)
	v_mul_f32_e32 v7, v12, v7
	s_wait_dscnt 0x0
	v_mul_f32_e32 v20, v7, v3
	ds_bpermute_b32 v7, v2, v108 offset:36
	ds_bpermute_b32 v3, v2, v109 offset:36
	s_wait_dscnt 0x1
	v_dual_sub_f32 v7, v29, v7 :: v_dual_mov_b32 v29, v16
	s_delay_alu instid0(VALU_DEP_1) | instskip(SKIP_1) | instid1(VALU_DEP_1)
	v_mul_f32_e32 v7, v13, v7
	s_wait_dscnt 0x0
	v_mul_f32_e32 v22, v7, v3
	ds_bpermute_b32 v7, v2, v108 offset:40
	ds_bpermute_b32 v3, v2, v109 offset:40
	s_wait_dscnt 0x1
	v_sub_f32_e32 v7, v30, v7
	s_delay_alu instid0(VALU_DEP_1) | instskip(SKIP_1) | instid1(VALU_DEP_1)
	v_mul_f32_e32 v7, v14, v7
	s_wait_dscnt 0x0
	v_mul_f32_e32 v24, v7, v3
	ds_bpermute_b32 v7, v2, v108 offset:44
	ds_bpermute_b32 v3, v2, v109 offset:44
	s_wait_dscnt 0x1
	v_dual_sub_f32 v7, v31, v7 :: v_dual_mov_b32 v31, v17
	s_delay_alu instid0(VALU_DEP_1) | instskip(SKIP_1) | instid1(VALU_DEP_1)
	v_mul_f32_e32 v7, v15, v7
	s_wait_dscnt 0x0
	v_mul_f32_e32 v26, v7, v3
	ds_bpermute_b32 v7, v2, v108 offset:48
	ds_bpermute_b32 v3, v2, v109 offset:48
	s_wait_dscnt 0x1
	v_sub_f32_e32 v7, v32, v7
	s_delay_alu instid0(VALU_DEP_1) | instskip(SKIP_1) | instid1(VALU_DEP_1)
	v_mul_f32_e32 v7, v16, v7
	s_wait_dscnt 0x0
	v_mul_f32_e32 v28, v7, v3
	ds_bpermute_b32 v7, v2, v108 offset:52
	ds_bpermute_b32 v3, v2, v109 offset:52
	s_wait_dscnt 0x1
	v_sub_f32_e32 v7, v33, v7
	s_delay_alu instid0(VALU_DEP_1) | instskip(SKIP_1) | instid1(VALU_DEP_1)
	v_mul_f32_e32 v7, v17, v7
	s_wait_dscnt 0x0
	v_dual_mul_f32 v30, v7, v3 :: v_dual_mov_b32 v7, v10
	ds_bpermute_b32 v3, v2, v109 offset:56
	v_pk_add_f32 v[4:5], v[6:7], v[4:5]
	ds_bpermute_b32 v6, v2, v108 offset:56
	v_mov_b32_e32 v7, v18
	v_pk_add_f32 v[4:5], v[8:9], v[4:5]
	s_delay_alu instid0(VALU_DEP_1) | instskip(NEXT) | instid1(VALU_DEP_1)
	v_pk_add_f32 v[4:5], v[20:21], v[4:5]
	v_pk_add_f32 v[4:5], v[22:23], v[4:5]
	s_delay_alu instid0(VALU_DEP_1) | instskip(SKIP_2) | instid1(VALU_DEP_2)
	v_pk_add_f32 v[4:5], v[24:25], v[4:5]
	s_wait_dscnt 0x0
	v_sub_f32_e32 v6, v34, v6
	v_pk_add_f32 v[4:5], v[26:27], v[4:5]
	s_delay_alu instid0(VALU_DEP_2) | instskip(NEXT) | instid1(VALU_DEP_2)
	v_mul_f32_e32 v6, v18, v6
	v_pk_add_f32 v[4:5], v[28:29], v[4:5]
	s_delay_alu instid0(VALU_DEP_2) | instskip(SKIP_2) | instid1(VALU_DEP_1)
	v_mul_f32_e32 v6, v6, v3
	ds_bpermute_b32 v3, v2, v109 offset:60
	v_pk_add_f32 v[4:5], v[30:31], v[4:5]
	v_pk_add_f32 v[36:37], v[6:7], v[4:5]
	ds_bpermute_b32 v4, v2, v108 offset:60
.LBB59_43:                              ;   in Loop: Header=BB59_5 Depth=1
	s_and_b32 vcc_lo, exec_lo, s20
	s_cbranch_vccz .LBB59_4
; %bb.44:                               ;   in Loop: Header=BB59_5 Depth=1
	s_load_b32 s20, s[22:23], 0x0
	v_dual_mov_b32 v108, 0 :: v_dual_mov_b32 v109, 0
	s_wait_kmcnt 0x0
	s_cmp_lt_u32 s16, s20
	s_cselect_b32 s20, 12, 18
	s_delay_alu instid0(SALU_CYCLE_1)
	s_add_nc_u64 s[66:67], s[22:23], s[20:21]
	s_load_u16 s20, s[66:67], 0x0
	s_wait_dscnt 0x1
	s_wait_kmcnt 0x0
	v_mad_u32_u24 v3, v106, s20, v107
	s_mov_b32 s20, exec_lo
	s_wait_dscnt 0x0
	s_delay_alu instid0(VALU_DEP_1) | instskip(NEXT) | instid1(VALU_DEP_1)
	v_and_b32_e32 v4, 31, v3
	v_cmpx_gt_u32_e32 16, v4
	s_cbranch_execz .LBB59_48
; %bb.45:                               ;   in Loop: Header=BB59_5 Depth=1
	v_dual_mov_b32 v5, v2 :: v_dual_mov_b32 v108, 0
	v_mov_b32_e32 v109, 0
	s_mov_b32 s33, exec_lo
	s_delay_alu instid0(VALU_DEP_2) | instskip(NEXT) | instid1(VALU_DEP_1)
	v_add_nc_u64_e32 v[0:1], v[0:1], v[4:5]
	v_add_nc_u64_e32 v[0:1], s[26:27], v[0:1]
	s_delay_alu instid0(VALU_DEP_1)
	v_cmpx_gt_i64_e64 s[4:5], v[0:1]
	s_cbranch_execz .LBB59_47
; %bb.46:                               ;   in Loop: Header=BB59_5 Depth=1
	v_lshlrev_b64_e32 v[0:1], 2, v[0:1]
	s_delay_alu instid0(VALU_DEP_1)
	v_add_nc_u64_e32 v[4:5], s[12:13], v[0:1]
	v_add_nc_u64_e32 v[0:1], s[14:15], v[0:1]
	global_load_b32 v108, v[4:5], off
	global_load_b32 v109, v[0:1], off
.LBB59_47:                              ;   in Loop: Header=BB59_5 Depth=1
	s_wait_xcnt 0x0
	s_or_b32 exec_lo, exec_lo, s33
.LBB59_48:                              ;   in Loop: Header=BB59_5 Depth=1
	s_delay_alu instid0(SALU_CYCLE_1)
	s_or_b32 exec_lo, exec_lo, s20
	v_dual_mov_b32 v15, v2 :: v_dual_mov_b32 v16, v2
	v_dual_mov_b32 v17, v2 :: v_dual_mov_b32 v3, v2
	;; [unrolled: 1-line block ×7, first 2 shown]
	v_mov_b32_e32 v14, v2
	v_mov_b64_e32 v[34:35], v[16:17]
	s_delay_alu instid0(VALU_DEP_4)
	v_mov_b64_e32 v[28:29], v[10:11]
	v_mov_b64_e32 v[26:27], v[8:9]
	;; [unrolled: 1-line block ×15, first 2 shown]
	s_and_saveexec_b32 s20, s2
	s_cbranch_execnz .LBB59_64
; %bb.49:                               ;   in Loop: Header=BB59_5 Depth=1
	s_or_b32 exec_lo, exec_lo, s20
	s_and_saveexec_b32 s20, s2
	s_cbranch_execnz .LBB59_65
.LBB59_50:                              ;   in Loop: Header=BB59_5 Depth=1
	s_or_b32 exec_lo, exec_lo, s20
	s_and_saveexec_b32 s20, s2
	s_cbranch_execnz .LBB59_66
.LBB59_51:                              ;   in Loop: Header=BB59_5 Depth=1
	s_or_b32 exec_lo, exec_lo, s20
	s_and_saveexec_b32 s20, s2
	s_cbranch_execnz .LBB59_67
.LBB59_52:                              ;   in Loop: Header=BB59_5 Depth=1
	s_or_b32 exec_lo, exec_lo, s20
	s_and_saveexec_b32 s20, s2
	s_cbranch_execnz .LBB59_68
.LBB59_53:                              ;   in Loop: Header=BB59_5 Depth=1
	s_or_b32 exec_lo, exec_lo, s20
	s_and_saveexec_b32 s20, s2
	s_cbranch_execnz .LBB59_69
.LBB59_54:                              ;   in Loop: Header=BB59_5 Depth=1
	s_or_b32 exec_lo, exec_lo, s20
	s_and_saveexec_b32 s20, s2
	s_cbranch_execnz .LBB59_70
.LBB59_55:                              ;   in Loop: Header=BB59_5 Depth=1
	s_or_b32 exec_lo, exec_lo, s20
	s_and_saveexec_b32 s20, s2
	s_cbranch_execnz .LBB59_71
.LBB59_56:                              ;   in Loop: Header=BB59_5 Depth=1
	s_or_b32 exec_lo, exec_lo, s20
	s_and_saveexec_b32 s20, s2
	s_cbranch_execnz .LBB59_72
.LBB59_57:                              ;   in Loop: Header=BB59_5 Depth=1
	s_or_b32 exec_lo, exec_lo, s20
	s_and_saveexec_b32 s20, s2
	s_cbranch_execnz .LBB59_73
.LBB59_58:                              ;   in Loop: Header=BB59_5 Depth=1
	s_or_b32 exec_lo, exec_lo, s20
	s_and_saveexec_b32 s20, s2
	s_cbranch_execnz .LBB59_74
.LBB59_59:                              ;   in Loop: Header=BB59_5 Depth=1
	s_or_b32 exec_lo, exec_lo, s20
	s_and_saveexec_b32 s20, s2
	s_cbranch_execnz .LBB59_75
.LBB59_60:                              ;   in Loop: Header=BB59_5 Depth=1
	s_or_b32 exec_lo, exec_lo, s20
	s_and_saveexec_b32 s20, s2
	s_cbranch_execnz .LBB59_76
.LBB59_61:                              ;   in Loop: Header=BB59_5 Depth=1
	s_or_b32 exec_lo, exec_lo, s20
	s_and_saveexec_b32 s20, s2
	s_cbranch_execnz .LBB59_77
.LBB59_62:                              ;   in Loop: Header=BB59_5 Depth=1
	s_or_b32 exec_lo, exec_lo, s20
	s_and_saveexec_b32 s20, s2
	s_cbranch_execnz .LBB59_78
.LBB59_63:                              ;   in Loop: Header=BB59_5 Depth=1
	s_or_b32 exec_lo, exec_lo, s20
	s_and_saveexec_b32 s20, s2
	s_cbranch_execz .LBB59_3
	s_branch .LBB59_79
.LBB59_64:                              ;   in Loop: Header=BB59_5 Depth=1
	v_add_nc_u64_e32 v[0:1], v[42:43], v[40:41]
	v_add_nc_u64_e32 v[6:7], v[44:45], v[40:41]
	v_dual_mov_b32 v5, v2 :: v_dual_mov_b32 v9, v2
	v_dual_mov_b32 v10, v2 :: v_dual_mov_b32 v11, v2
	v_mov_b32_e32 v12, v2
	global_load_b32 v4, v[0:1], off
	global_load_b32 v20, v[6:7], off
	s_wait_xcnt 0x0
	v_dual_mov_b32 v6, v2 :: v_dual_mov_b32 v7, v2
	v_dual_mov_b32 v8, v2 :: v_dual_mov_b32 v13, v2
	;; [unrolled: 1-line block ×12, first 2 shown]
	v_mov_b32_e32 v35, v2
	s_or_b32 exec_lo, exec_lo, s20
	s_and_saveexec_b32 s20, s2
	s_cbranch_execz .LBB59_50
.LBB59_65:                              ;   in Loop: Header=BB59_5 Depth=1
	v_add_nc_u64_e32 v[0:1], v[102:103], v[40:41]
	v_add_nc_u64_e32 v[36:37], v[104:105], v[40:41]
	global_load_b32 v5, v[0:1], off
	global_load_b32 v21, v[36:37], off
	s_wait_xcnt 0x0
	s_or_b32 exec_lo, exec_lo, s20
	s_and_saveexec_b32 s20, s2
	s_cbranch_execz .LBB59_51
.LBB59_66:                              ;   in Loop: Header=BB59_5 Depth=1
	v_add_nc_u64_e32 v[0:1], v[98:99], v[40:41]
	v_add_nc_u64_e32 v[36:37], v[100:101], v[40:41]
	global_load_b32 v6, v[0:1], off
	global_load_b32 v22, v[36:37], off
	s_wait_xcnt 0x0
	s_or_b32 exec_lo, exec_lo, s20
	s_and_saveexec_b32 s20, s2
	s_cbranch_execz .LBB59_52
.LBB59_67:                              ;   in Loop: Header=BB59_5 Depth=1
	v_add_nc_u64_e32 v[0:1], v[94:95], v[40:41]
	v_add_nc_u64_e32 v[36:37], v[96:97], v[40:41]
	global_load_b32 v7, v[0:1], off
	global_load_b32 v23, v[36:37], off
	s_wait_xcnt 0x0
	s_or_b32 exec_lo, exec_lo, s20
	s_and_saveexec_b32 s20, s2
	s_cbranch_execz .LBB59_53
.LBB59_68:                              ;   in Loop: Header=BB59_5 Depth=1
	v_add_nc_u64_e32 v[0:1], v[90:91], v[40:41]
	v_add_nc_u64_e32 v[36:37], v[92:93], v[40:41]
	global_load_b32 v8, v[0:1], off
	global_load_b32 v24, v[36:37], off
	s_wait_xcnt 0x0
	s_or_b32 exec_lo, exec_lo, s20
	s_and_saveexec_b32 s20, s2
	s_cbranch_execz .LBB59_54
.LBB59_69:                              ;   in Loop: Header=BB59_5 Depth=1
	v_add_nc_u64_e32 v[0:1], v[86:87], v[40:41]
	v_add_nc_u64_e32 v[36:37], v[88:89], v[40:41]
	global_load_b32 v9, v[0:1], off
	global_load_b32 v25, v[36:37], off
	s_wait_xcnt 0x0
	s_or_b32 exec_lo, exec_lo, s20
	s_and_saveexec_b32 s20, s2
	s_cbranch_execz .LBB59_55
.LBB59_70:                              ;   in Loop: Header=BB59_5 Depth=1
	v_add_nc_u64_e32 v[0:1], v[82:83], v[40:41]
	v_add_nc_u64_e32 v[36:37], v[84:85], v[40:41]
	global_load_b32 v10, v[0:1], off
	global_load_b32 v26, v[36:37], off
	s_wait_xcnt 0x0
	s_or_b32 exec_lo, exec_lo, s20
	s_and_saveexec_b32 s20, s2
	s_cbranch_execz .LBB59_56
.LBB59_71:                              ;   in Loop: Header=BB59_5 Depth=1
	v_add_nc_u64_e32 v[0:1], v[78:79], v[40:41]
	v_add_nc_u64_e32 v[36:37], v[80:81], v[40:41]
	global_load_b32 v11, v[0:1], off
	global_load_b32 v27, v[36:37], off
	s_wait_xcnt 0x0
	s_or_b32 exec_lo, exec_lo, s20
	s_and_saveexec_b32 s20, s2
	s_cbranch_execz .LBB59_57
.LBB59_72:                              ;   in Loop: Header=BB59_5 Depth=1
	v_add_nc_u64_e32 v[0:1], v[74:75], v[40:41]
	v_add_nc_u64_e32 v[36:37], v[76:77], v[40:41]
	global_load_b32 v12, v[0:1], off
	global_load_b32 v28, v[36:37], off
	s_wait_xcnt 0x0
	s_or_b32 exec_lo, exec_lo, s20
	s_and_saveexec_b32 s20, s2
	s_cbranch_execz .LBB59_58
.LBB59_73:                              ;   in Loop: Header=BB59_5 Depth=1
	v_add_nc_u64_e32 v[0:1], v[70:71], v[40:41]
	v_add_nc_u64_e32 v[36:37], v[72:73], v[40:41]
	global_load_b32 v13, v[0:1], off
	global_load_b32 v29, v[36:37], off
	s_wait_xcnt 0x0
	s_or_b32 exec_lo, exec_lo, s20
	s_and_saveexec_b32 s20, s2
	s_cbranch_execz .LBB59_59
.LBB59_74:                              ;   in Loop: Header=BB59_5 Depth=1
	v_add_nc_u64_e32 v[0:1], v[66:67], v[40:41]
	v_add_nc_u64_e32 v[36:37], v[68:69], v[40:41]
	global_load_b32 v14, v[0:1], off
	global_load_b32 v30, v[36:37], off
	s_wait_xcnt 0x0
	s_or_b32 exec_lo, exec_lo, s20
	s_and_saveexec_b32 s20, s2
	s_cbranch_execz .LBB59_60
.LBB59_75:                              ;   in Loop: Header=BB59_5 Depth=1
	v_add_nc_u64_e32 v[0:1], v[62:63], v[40:41]
	v_add_nc_u64_e32 v[36:37], v[64:65], v[40:41]
	global_load_b32 v15, v[0:1], off
	global_load_b32 v31, v[36:37], off
	s_wait_xcnt 0x0
	s_or_b32 exec_lo, exec_lo, s20
	s_and_saveexec_b32 s20, s2
	s_cbranch_execz .LBB59_61
.LBB59_76:                              ;   in Loop: Header=BB59_5 Depth=1
	v_add_nc_u64_e32 v[0:1], v[58:59], v[40:41]
	v_add_nc_u64_e32 v[36:37], v[60:61], v[40:41]
	global_load_b32 v16, v[0:1], off
	global_load_b32 v32, v[36:37], off
	s_wait_xcnt 0x0
	s_or_b32 exec_lo, exec_lo, s20
	s_and_saveexec_b32 s20, s2
	s_cbranch_execz .LBB59_62
.LBB59_77:                              ;   in Loop: Header=BB59_5 Depth=1
	v_add_nc_u64_e32 v[0:1], v[54:55], v[40:41]
	v_add_nc_u64_e32 v[36:37], v[56:57], v[40:41]
	global_load_b32 v17, v[0:1], off
	global_load_b32 v33, v[36:37], off
	s_wait_xcnt 0x0
	s_or_b32 exec_lo, exec_lo, s20
	s_and_saveexec_b32 s20, s2
	s_cbranch_execz .LBB59_63
.LBB59_78:                              ;   in Loop: Header=BB59_5 Depth=1
	v_add_nc_u64_e32 v[0:1], v[50:51], v[40:41]
	v_add_nc_u64_e32 v[36:37], v[52:53], v[40:41]
	global_load_b32 v18, v[0:1], off
	global_load_b32 v34, v[36:37], off
	s_wait_xcnt 0x0
	s_or_b32 exec_lo, exec_lo, s20
	s_and_saveexec_b32 s20, s2
	s_cbranch_execz .LBB59_3
.LBB59_79:                              ;   in Loop: Header=BB59_5 Depth=1
	v_add_nc_u64_e32 v[0:1], v[46:47], v[40:41]
	v_add_nc_u64_e32 v[36:37], v[48:49], v[40:41]
	global_load_b32 v19, v[0:1], off
	global_load_b32 v35, v[36:37], off
	s_branch .LBB59_3
.LBB59_80:
                                        ; implicit-def: $vgpr117
	s_branch .LBB59_82
.LBB59_81:
	s_cbranch_execnz .LBB59_130
.LBB59_82:
	v_mov_b32_e32 v117, 0
	s_and_not1_b32 vcc_lo, exec_lo, s17
	s_delay_alu instid0(VALU_DEP_1)
	v_mov_b32_e32 v116, v117
	s_cbranch_vccnz .LBB59_130
; %bb.83:
	v_bfe_u32 v23, v114, 10, 10
	v_mov_b32_e32 v2, 0
	s_load_b32 s2, s[0:1], 0x44
	s_mov_b64 s[22:23], 0xffffffffffffff03
	s_mov_b64 s[24:25], 0xffffffffffffff04
	s_delay_alu instid0(VALU_DEP_1)
	v_dual_mov_b32 v1, v2 :: v_dual_lshlrev_b32 v0, 6, v23
	s_mov_b64 s[26:27], 0xffffffffffffff05
	s_mov_b64 s[28:29], 0xffffffffffffff06
	s_mov_b64 s[30:31], 0xffffffffffffff07
	s_mov_b64 s[34:35], 0xffffffffffffff08
	v_lshl_add_u64 v[0:1], s[18:19], 2, v[0:1]
	s_mov_b64 s[36:37], 0xffffffffffffff09
	s_mov_b64 s[38:39], 0xffffffffffffff0a
	;; [unrolled: 1-line block ×4, first 2 shown]
	v_add_nc_u64_e32 v[4:5], 4, v[0:1]
	v_add_nc_u64_e32 v[10:11], 8, v[0:1]
	;; [unrolled: 1-line block ×7, first 2 shown]
	v_mad_nc_u64_u32 v[24:25], s6, v4, s[8:9]
	v_mul_lo_u32 v3, s6, v5
	v_mul_lo_u32 v5, s7, v4
	v_mad_nc_u64_u32 v[26:27], s6, v10, s[8:9]
	v_mul_lo_u32 v11, s6, v11
	v_mul_lo_u32 v18, s7, v10
	;; [unrolled: 3-line block ×4, first 2 shown]
	v_mad_nc_u64_u32 v[36:37], s6, v4, s[10:11]
	v_add3_u32 v25, v5, v25, v3
	v_mad_nc_u64_u32 v[32:33], s6, v14, s[8:9]
	v_mul_lo_u32 v15, s6, v15
	v_mul_lo_u32 v21, s7, v14
	v_add3_u32 v27, v18, v27, v11
	scratch_store_b64 off, v[24:25], off    ; 8-byte Folded Spill
	v_add3_u32 v29, v19, v29, v7
	s_wait_xcnt 0x0
	v_mad_nc_u64_u32 v[24:25], s6, v6, s[10:11]
	v_mad_nc_u64_u32 v[34:35], s6, v12, s[8:9]
	v_add3_u32 v31, v20, v31, v9
	v_mul_lo_u32 v13, s6, v13
	v_mul_lo_u32 v22, s7, v12
	v_mad_nc_u64_u32 v[38:39], s6, v10, s[10:11]
	s_clause 0x2
	scratch_store_b64 off, v[26:27], off offset:8
	scratch_store_b64 off, v[28:29], off offset:16
	;; [unrolled: 1-line block ×3, first 2 shown]
	s_wait_xcnt 0x2
	v_mad_nc_u64_u32 v[26:27], s6, v16, s[8:9]
	s_wait_xcnt 0x1
	v_mad_nc_u64_u32 v[28:29], s6, v8, s[10:11]
	v_add3_u32 v37, v5, v37, v3
	s_wait_xcnt 0x0
	v_mad_nc_u64_u32 v[30:31], s6, v14, s[10:11]
	v_mul_lo_u32 v3, s6, v17
	v_mul_lo_u32 v10, s7, v16
	v_add3_u32 v33, v21, v33, v15
	v_add_nc_u64_e32 v[4:5], 32, v[0:1]
	v_add3_u32 v25, v19, v25, v7
	v_add3_u32 v35, v22, v35, v13
	;; [unrolled: 1-line block ×3, first 2 shown]
	s_clause 0x1
	scratch_store_b64 off, v[32:33], off offset:32
	scratch_store_b64 off, v[36:37], off offset:48
	s_wait_xcnt 0x1
	v_mad_nc_u64_u32 v[32:33], s6, v12, s[10:11]
	v_add3_u32 v29, v20, v29, v9
	v_add_nc_u64_e32 v[6:7], 36, v[0:1]
	v_add3_u32 v31, v21, v31, v15
	v_mul_lo_u32 v11, s6, v5
	v_mul_lo_u32 v12, s7, v4
	v_mad_nc_u64_u32 v[20:21], s6, v4, s[10:11]
	v_add3_u32 v27, v10, v27, v3
	s_clause 0x2
	scratch_store_b64 off, v[24:25], off offset:64
	scratch_store_b64 off, v[28:29], off offset:80
	;; [unrolled: 1-line block ×3, first 2 shown]
	s_wait_xcnt 0x2
	v_mad_nc_u64_u32 v[24:25], s6, v4, s[8:9]
	v_add_nc_u64_e32 v[4:5], 40, v[0:1]
	v_mad_nc_u64_u32 v[18:19], s6, v16, s[10:11]
	s_clause 0x2
	scratch_store_b64 off, v[34:35], off offset:40
	scratch_store_b64 off, v[38:39], off offset:56
	;; [unrolled: 1-line block ×3, first 2 shown]
	s_wait_xcnt 0x0
	v_mad_nc_u64_u32 v[26:27], s6, v6, s[8:9]
	v_mul_lo_u32 v7, s6, v7
	v_add_nc_u64_e32 v[8:9], 44, v[0:1]
	v_mul_lo_u32 v14, s7, v6
	v_mad_nc_u64_u32 v[28:29], s6, v6, s[10:11]
	v_mul_lo_u32 v6, s6, v5
	v_mul_lo_u32 v15, s7, v4
	v_mad_nc_u64_u32 v[30:31], s6, v4, s[8:9]
	v_mad_nc_u64_u32 v[34:35], s6, v4, s[10:11]
	v_add3_u32 v33, v22, v33, v13
	v_mul_lo_u32 v9, s6, v9
	v_mul_lo_u32 v16, s7, v8
	v_mad_nc_u64_u32 v[36:37], s6, v8, s[8:9]
	v_add3_u32 v19, v10, v19, v3
	scratch_store_b64 off, v[32:33], off offset:96 ; 8-byte Folded Spill
	s_wait_xcnt 0x0
	v_mad_nc_u64_u32 v[32:33], s6, v8, s[10:11]
	v_add_nc_u64_e32 v[4:5], 48, v[0:1]
	v_add3_u32 v27, v14, v27, v7
	v_add3_u32 v29, v14, v29, v7
	;; [unrolled: 1-line block ×4, first 2 shown]
	v_add_nc_u64_e32 v[6:7], 52, v[0:1]
	v_lshlrev_b32_e32 v14, 4, v23
	v_mul_lo_u32 v3, s6, v5
	v_mul_lo_u32 v8, s7, v4
	v_mad_nc_u64_u32 v[82:83], s6, v4, s[8:9]
	v_mad_nc_u64_u32 v[84:85], s6, v4, s[10:11]
	v_add3_u32 v37, v16, v37, v9
	v_add3_u32 v33, v16, v33, v9
	v_mul_lo_u32 v9, s6, v7
	v_mul_lo_u32 v10, s7, v6
	v_mad_nc_u64_u32 v[86:87], s6, v6, s[8:9]
	v_mad_nc_u64_u32 v[88:89], s6, v6, s[10:11]
	v_add_nc_u64_e32 v[6:7], 60, v[0:1]
	v_and_b32_e32 v17, 0x3ff, v114
	v_mov_b32_e32 v15, v2
	v_add3_u32 v83, v8, v83, v3
	v_add3_u32 v85, v8, v85, v3
	v_add_nc_u64_e32 v[4:5], 56, v[0:1]
	v_add3_u32 v25, v12, v25, v11
	v_mul_lo_u32 v3, s6, v7
	v_mul_lo_u32 v16, s7, v6
	v_mad_nc_u64_u32 v[96:97], s6, v6, s[8:9]
	v_mad_nc_u64_u32 v[98:99], s6, v6, s[10:11]
	v_add3_u32 v21, v12, v21, v11
	v_mul_lo_u32 v12, s6, v5
	v_mul_lo_u32 v13, s7, v4
	v_mad_nc_u64_u32 v[92:93], s6, v4, s[8:9]
	v_mad_nc_u64_u32 v[94:95], s6, v4, s[10:11]
	s_clause 0x3
	scratch_store_b64 off, v[26:27], off offset:128
	scratch_store_b64 off, v[28:29], off offset:136
	scratch_store_b64 off, v[30:31], off offset:144
	scratch_store_b64 off, v[34:35], off offset:152
	v_add3_u32 v97, v16, v97, v3
	v_add3_u32 v99, v16, v99, v3
	v_add_nc_u32_e32 v16, s3, v17
	v_add_nc_u64_e32 v[0:1], s[18:19], v[14:15]
	s_clause 0x2
	scratch_store_b32 off, v23, off offset:184
	scratch_store_b64 off, v[14:15], off offset:188
	scratch_store_b32 off, v114, off offset:200
	v_add3_u32 v87, v10, v87, v9
	v_add3_u32 v89, v10, v89, v9
	s_clause 0x2
	scratch_store_b64 off, v[18:19], off offset:104
	scratch_store_b64 off, v[24:25], off offset:112
	;; [unrolled: 1-line block ×3, first 2 shown]
	v_add_nc_u64_e32 v[4:5], 15, v[0:1]
	s_wait_xcnt 0x4
	v_add_nc_u64_e32 v[14:15], 11, v[0:1]
	v_add_nc_u64_e32 v[22:23], 8, v[0:1]
	;; [unrolled: 1-line block ×3, first 2 shown]
	v_mul_u64_e32 v[8:9], s[6:7], v[0:1]
	v_add_nc_u64_e32 v[6:7], 14, v[0:1]
	v_add_nc_u64_e32 v[10:11], 13, v[0:1]
	v_mul_u64_e32 v[4:5], s[6:7], v[4:5]
	v_mul_u64_e32 v[14:15], s[6:7], v[14:15]
	;; [unrolled: 1-line block ×4, first 2 shown]
	s_wait_xcnt 0x2
	v_add_nc_u64_e32 v[18:19], 10, v[0:1]
	v_mul_u64_e32 v[6:7], s[6:7], v[6:7]
	v_add3_u32 v93, v13, v93, v12
	v_add3_u32 v95, v13, v95, v12
	v_add_nc_u64_e32 v[12:13], 12, v[0:1]
	v_mul_u64_e32 v[10:11], s[6:7], v[10:11]
	s_wait_xcnt 0x0
	v_add_nc_u64_e32 v[20:21], 9, v[0:1]
	v_add_nc_u64_e32 v[24:25], 7, v[0:1]
	v_mul_u64_e32 v[18:19], s[6:7], v[18:19]
	v_add_nc_u64_e32 v[26:27], 6, v[0:1]
	scratch_store_b64 off, v[36:37], off offset:160 ; 8-byte Folded Spill
	v_mul_u64_e32 v[12:13], s[6:7], v[12:13]
	s_mov_b32 s3, 0
	v_mul_u64_e32 v[20:21], s[6:7], v[20:21]
	v_mul_u64_e32 v[24:25], s[6:7], v[24:25]
	s_wait_kmcnt 0x0
	s_lshl_b32 s20, s2, 8
	v_mul_u64_e32 v[26:27], s[6:7], v[26:27]
	s_mov_b32 s21, s3
	s_mov_b64 s[44:45], 0xffffffffffffff0d
	s_mul_u64 s[54:55], s[6:7], s[20:21]
	s_mov_b64 s[46:47], 0xffffffffffffff0e
	s_mov_b64 s[48:49], 0xffffffffffffff0f
	;; [unrolled: 1-line block ×3, first 2 shown]
	s_add_nc_u64 s[52:53], s[0:1], 64
	s_lshl_b64 s[54:55], s[54:55], 2
	v_lshlrev_b64_e32 v[30:31], 2, v[8:9]
	v_add_nc_u64_e32 v[8:9], s[6:7], v[8:9]
	s_add_nc_u64 s[56:57], s[18:19], 0xff
	v_lshlrev_b64_e32 v[4:5], 2, v[4:5]
	s_delay_alu instid0(VALU_DEP_3) | instskip(SKIP_2) | instid1(VALU_DEP_4)
	v_add_nc_u64_e32 v[102:103], s[8:9], v[30:31]
	v_add_nc_u64_e32 v[104:105], s[10:11], v[30:31]
	v_lshlrev_b64_e32 v[6:7], 2, v[6:7]
	v_add_nc_u64_e32 v[106:107], s[8:9], v[4:5]
	v_add_nc_u64_e32 v[108:109], s[10:11], v[4:5]
	v_lshlrev_b64_e32 v[4:5], 2, v[14:15]
	v_lshlrev_b64_e32 v[10:11], 2, v[10:11]
	v_add_nc_u64_e32 v[110:111], s[8:9], v[6:7]
	v_add_nc_u64_e32 v[112:113], s[10:11], v[6:7]
	v_lshlrev_b64_e32 v[6:7], 2, v[18:19]
	v_add_nc_u64_e32 v[122:123], s[8:9], v[4:5]
	v_add_nc_u64_e32 v[124:125], s[10:11], v[4:5]
	;; [unrolled: 3-line block ×6, first 2 shown]
	v_add_nc_u64_e32 v[50:51], s[10:11], v[6:7]
	s_delay_alu instid0(VALU_DEP_4) | instskip(SKIP_2) | instid1(VALU_DEP_1)
	v_add_nc_u64_e32 v[52:53], s[8:9], v[4:5]
	v_add_nc_u64_e32 v[54:55], s[10:11], v[4:5]
	v_lshlrev_b64_e32 v[4:5], 2, v[8:9]
	v_add_nc_u64_e32 v[66:67], s[8:9], v[4:5]
	v_add_nc_u64_e32 v[68:69], s[10:11], v[4:5]
	v_dual_mov_b32 v4, 0 :: v_dual_mov_b32 v5, v2
	s_clause 0x1
	scratch_store_b64 off, v[32:33], off offset:168
	scratch_store_b32 off, v17, off offset:196
	s_wait_xcnt 0x0
	v_mov_b32_e32 v17, v2
	v_add_nc_u64_e32 v[32:33], 3, v[0:1]
	scratch_store_b64 off, v[4:5], off offset:176 ; 8-byte Folded Spill
	v_lshlrev_b64_e32 v[100:101], 2, v[16:17]
	v_add_nc_u64_e32 v[16:17], 4, v[0:1]
	v_add_nc_u64_e32 v[0:1], 2, v[0:1]
	v_mul_u64_e32 v[30:31], s[6:7], v[32:33]
	s_delay_alu instid0(VALU_DEP_3) | instskip(NEXT) | instid1(VALU_DEP_3)
	v_mul_u64_e32 v[16:17], s[6:7], v[16:17]
	v_mul_u64_e32 v[32:33], s[6:7], v[0:1]
	v_lshlrev_b64_e32 v[0:1], 2, v[12:13]
	v_lshlrev_b64_e32 v[12:13], 2, v[24:25]
	s_delay_alu instid0(VALU_DEP_2) | instskip(SKIP_2) | instid1(VALU_DEP_4)
	v_add_nc_u64_e32 v[118:119], s[8:9], v[0:1]
	v_add_nc_u64_e32 v[120:121], s[10:11], v[0:1]
	;; [unrolled: 1-line block ×5, first 2 shown]
	v_lshlrev_b64_e32 v[6:7], 2, v[30:31]
	v_lshlrev_b64_e32 v[10:11], 2, v[16:17]
	;; [unrolled: 1-line block ×3, first 2 shown]
	s_delay_alu instid0(VALU_DEP_3) | instskip(SKIP_1) | instid1(VALU_DEP_4)
	v_add_nc_u64_e32 v[60:61], s[8:9], v[6:7]
	v_add_nc_u64_e32 v[36:37], s[10:11], v[6:7]
	;; [unrolled: 1-line block ×6, first 2 shown]
	s_mov_b64 s[8:9], 0xffffffffffffff01
	s_mov_b64 s[10:11], 0xffffffffffffff02
	s_branch .LBB59_87
.LBB59_84:                              ;   in Loop: Header=BB59_87 Depth=1
	s_wait_xcnt 0x0
	s_or_b32 exec_lo, exec_lo, s17
.LBB59_85:                              ;   in Loop: Header=BB59_87 Depth=1
	s_delay_alu instid0(SALU_CYCLE_1)
	s_or_b32 exec_lo, exec_lo, s2
	v_add_nc_u64_e32 v[4:5], v[104:105], v[100:101]
	s_clause 0x2
	scratch_load_b64 v[6:7], off, off offset:48
	scratch_load_b64 v[10:11], off, off offset:56
	;; [unrolled: 1-line block ×3, first 2 shown]
	v_add_nc_u64_e32 v[8:9], v[102:103], v[100:101]
	s_wait_loadcnt 0x4
	ds_bpermute_b32 v27, v2, v26 offset:4
	ds_bpermute_b32 v23, v2, v26
	global_load_b32 v16, v[4:5], off
	scratch_load_b64 v[4:5], off, off       ; 8-byte Folded Reload
	ds_bpermute_b32 v30, v2, v26 offset:8
	s_wait_loadcnt 0x5
	ds_bpermute_b32 v31, v2, v3 offset:4
	ds_bpermute_b32 v32, v2, v3 offset:8
	;; [unrolled: 1-line block ×4, first 2 shown]
	s_wait_loadcnt 0x4
	v_add_nc_u64_e32 v[6:7], v[6:7], v[100:101]
	s_wait_loadcnt 0x3
	v_add_nc_u64_e32 v[10:11], v[10:11], v[100:101]
	;; [unrolled: 2-line block ×4, first 2 shown]
	global_load_b32 v18, v[6:7], off
	global_load_b32 v9, v[8:9], off
	;; [unrolled: 1-line block ×5, first 2 shown]
	s_clause 0x1
	scratch_load_b64 v[4:5], off, off offset:8
	scratch_load_b64 v[6:7], off, off offset:16
	s_wait_loadcnt_dscnt 0x606
	v_sub_f32_e32 v18, v18, v27
	s_wait_dscnt 0x5
	v_sub_f32_e32 v16, v16, v23
	s_wait_loadcnt 0x1
	v_add_nc_u64_e32 v[4:5], v[4:5], v[100:101]
	s_wait_loadcnt 0x0
	v_add_nc_u64_e32 v[6:7], v[6:7], v[100:101]
	global_load_b32 v17, v[4:5], off
	global_load_b32 v13, v[6:7], off
	scratch_load_b64 v[4:5], off, off offset:80 ; 8-byte Folded Reload
	s_wait_loadcnt 0x0
	v_add_nc_u64_e32 v[4:5], v[4:5], v[100:101]
	global_load_b32 v4, v[4:5], off
	s_clause 0x2
	scratch_load_b64 v[6:7], off, off offset:88
	scratch_load_b64 v[10:11], off, off offset:24
	;; [unrolled: 1-line block ×3, first 2 shown]
	s_wait_loadcnt 0x2
	v_add_nc_u64_e32 v[6:7], v[6:7], v[100:101]
	s_wait_loadcnt 0x1
	v_add_nc_u64_e32 v[10:11], v[10:11], v[100:101]
	;; [unrolled: 2-line block ×3, first 2 shown]
	global_load_b32 v6, v[6:7], off
	global_load_b32 v7, v[10:11], off
	scratch_load_b64 v[10:11], off, off offset:96 ; 8-byte Folded Reload
	global_load_b32 v5, v[14:15], off
	s_clause 0x3
	scratch_load_b64 v[14:15], off, off offset:104
	scratch_load_b64 v[20:21], off, off offset:120
	;; [unrolled: 1-line block ×4, first 2 shown]
	s_wait_loadcnt 0x5
	v_add_nc_u64_e32 v[10:11], v[10:11], v[100:101]
	s_wait_loadcnt 0x3
	v_add_nc_u64_e32 v[14:15], v[14:15], v[100:101]
	;; [unrolled: 2-line block ×5, first 2 shown]
	global_load_b32 v34, v[10:11], off
	s_wait_xcnt 0x0
	ds_bpermute_b32 v11, v2, v26 offset:12
	global_load_b32 v35, v[14:15], off
	global_load_b32 v22, v[20:21], off
	;; [unrolled: 1-line block ×4, first 2 shown]
	s_clause 0x2
	scratch_load_b64 v[20:21], off, off offset:40
	scratch_load_b64 v[24:25], off, off offset:72
	;; [unrolled: 1-line block ×3, first 2 shown]
	ds_bpermute_b32 v15, v2, v3
	s_wait_dscnt 0x1
	v_dual_sub_f32 v11, v12, v11 :: v_dual_mul_f32 v12, v19, v18
	v_dual_sub_f32 v27, v8, v30 :: v_dual_mul_f32 v16, v9, v16
	s_delay_alu instid0(VALU_DEP_2) | instskip(NEXT) | instid1(VALU_DEP_3)
	v_mul_f32_e32 v11, v13, v11
	v_mul_f32_e32 v18, v12, v31
	scratch_load_b64 v[30:31], off, off offset:112 ; 8-byte Folded Reload
	v_mul_f32_e32 v12, v17, v27
	ds_bpermute_b32 v27, v2, v3 offset:16
	s_wait_loadcnt 0x3
	v_add_nc_u64_e32 v[20:21], v[20:21], v[100:101]
	global_load_b32 v21, v[20:21], off
	s_wait_xcnt 0x0
	ds_bpermute_b32 v20, v2, v3 offset:12
	s_wait_dscnt 0x2
	v_mul_f32_e32 v8, v16, v15
	v_mul_f32_e32 v16, v12, v32
	scratch_load_b64 v[32:33], off, off offset:144 ; 8-byte Folded Reload
	s_wait_loadcnt 0x4
	v_add_nc_u64_e32 v[24:25], v[24:25], v[100:101]
	s_wait_loadcnt 0x3
	v_add_nc_u64_e32 v[28:29], v[28:29], v[100:101]
	global_load_b32 v23, v[24:25], off
	global_load_b32 v24, v[28:29], off
	scratch_load_b64 v[28:29], off, off offset:128 ; 8-byte Folded Reload
	s_wait_loadcnt 0x5
	v_add_nc_u64_e32 v[30:31], v[30:31], v[100:101]
	global_load_b32 v25, v[30:31], off
	scratch_load_b64 v[30:31], off, off offset:176 th:TH_LOAD_LU ; 8-byte Folded Reload
	s_wait_dscnt 0x0
	v_mul_f32_e32 v12, v11, v20
	ds_bpermute_b32 v20, v2, v26 offset:20
	s_wait_dscnt 0x0
	v_sub_f32_e32 v6, v6, v20
	ds_bpermute_b32 v20, v2, v26 offset:24
	s_wait_loadcnt 0x5
	v_add_nc_u64_e32 v[32:33], v[32:33], v[100:101]
	s_wait_loadcnt 0x2
	v_add_nc_u64_e32 v[28:29], v[28:29], v[100:101]
	s_wait_loadcnt 0x0
	v_pk_add_f32 v[30:31], v[30:31], v[8:9]
	scratch_load_b64 v[8:9], off, off offset:160 ; 8-byte Folded Reload
	v_pk_add_f32 v[18:19], v[30:31], v[18:19]
	s_delay_alu instid0(VALU_DEP_1) | instskip(SKIP_1) | instid1(VALU_DEP_2)
	v_pk_add_f32 v[16:17], v[18:19], v[16:17]
	v_add_nc_u64_e32 v[18:19], v[84:85], v[100:101]
	v_pk_add_f32 v[12:13], v[16:17], v[12:13]
	v_add_nc_u64_e32 v[16:17], v[94:95], v[100:101]
	s_wait_loadcnt 0x0
	v_add_nc_u64_e32 v[8:9], v[8:9], v[100:101]
	global_load_b32 v15, v[28:29], off
	global_load_b32 v11, v[32:33], off
	;; [unrolled: 1-line block ×3, first 2 shown]
	s_wait_xcnt 0x0
	ds_bpermute_b32 v8, v2, v26 offset:16
	global_load_b32 v30, v[18:19], off
	s_wait_xcnt 0x0
	ds_bpermute_b32 v18, v2, v26 offset:32
	ds_bpermute_b32 v19, v2, v26 offset:36
	;; [unrolled: 1-line block ×3, first 2 shown]
	global_load_b32 v32, v[16:17], off
	s_wait_dscnt 0x4
	s_wait_xcnt 0x0
	v_dual_mul_f32 v28, v5, v6 :: v_dual_sub_f32 v16, v34, v20
	ds_bpermute_b32 v34, v2, v3 offset:32
	v_mul_f32_e32 v16, v21, v16
	s_wait_dscnt 0x4
	v_sub_f32_e32 v4, v4, v8
	ds_bpermute_b32 v8, v2, v3 offset:20
	s_wait_dscnt 0x3
	v_dual_sub_f32 v14, v14, v19 :: v_dual_mul_f32 v4, v7, v4
	s_delay_alu instid0(VALU_DEP_1)
	v_mul_f32_e32 v6, v4, v27
	ds_bpermute_b32 v27, v2, v26 offset:28
	v_pk_add_f32 v[6:7], v[12:13], v[6:7]
	v_add_nc_u64_e32 v[12:13], v[82:83], v[100:101]
	s_wait_dscnt 0x1
	v_mul_f32_e32 v4, v28, v8
	v_add_nc_u64_e32 v[28:29], v[88:89], v[100:101]
	ds_bpermute_b32 v8, v2, v3 offset:24
	global_load_b32 v31, v[28:29], off
	s_wait_xcnt 0x0
	ds_bpermute_b32 v28, v2, v26 offset:40
	ds_bpermute_b32 v29, v2, v26 offset:44
	s_wait_dscnt 0x3
	v_sub_f32_e32 v27, v35, v27
	ds_bpermute_b32 v35, v2, v3 offset:36
	v_pk_add_f32 v[6:7], v[6:7], v[4:5]
	global_load_b32 v5, v[12:13], off
	s_wait_dscnt 0x3
	v_dual_mul_f32 v20, v16, v8 :: v_dual_sub_f32 v8, v22, v18
	v_mul_f32_e32 v22, v23, v27
	v_add_nc_u64_e32 v[18:19], v[86:87], v[100:101]
	v_add_nc_u64_e32 v[16:17], v[98:99], v[100:101]
	s_wait_xcnt 0x0
	v_pk_add_f32 v[12:13], v[6:7], v[20:21]
	v_mul_f32_e32 v4, v25, v8
	s_wait_dscnt 0x1
	v_dual_sub_f32 v10, v10, v28 :: v_dual_sub_f32 v27, v24, v29
	v_mul_f32_e32 v22, v22, v33
	v_add_nc_u64_e32 v[28:29], v[92:93], v[100:101]
	global_load_b32 v7, v[18:19], off
	v_mul_f32_e32 v24, v4, v34
	v_add_nc_u64_e32 v[20:21], v[96:97], v[100:101]
	s_wait_loadcnt 0x7
	v_mul_f32_e32 v6, v15, v14
	s_wait_xcnt 0x0
	v_pk_add_f32 v[18:19], v[12:13], v[22:23]
	global_load_b32 v13, v[28:29], off
	s_wait_loadcnt 0x6
	v_dual_mul_f32 v4, v11, v10 :: v_dual_mul_f32 v8, v9, v27
	s_wait_dscnt 0x0
	v_mul_f32_e32 v14, v6, v35
	v_pk_add_f32 v[18:19], v[18:19], v[24:25]
	global_load_b32 v12, v[16:17], off
	v_mul_f32_e32 v10, v4, v70
	ds_bpermute_b32 v4, v2, v26 offset:48
	ds_bpermute_b32 v6, v2, v26 offset:52
	v_pk_add_f32 v[14:15], v[18:19], v[14:15]
	global_load_b32 v19, v[20:21], off
	s_wait_xcnt 0x1
	ds_bpermute_b32 v16, v2, v3 offset:52
	ds_bpermute_b32 v17, v2, v26 offset:60
	;; [unrolled: 1-line block ×3, first 2 shown]
	s_wait_loadcnt_dscnt 0x704
	v_dual_mul_f32 v8, v8, v71 :: v_dual_sub_f32 v4, v30, v4
	v_pk_add_f32 v[10:11], v[14:15], v[10:11]
	ds_bpermute_b32 v14, v2, v26 offset:56
	ds_bpermute_b32 v15, v2, v3 offset:48
	;; [unrolled: 1-line block ×3, first 2 shown]
	s_wait_loadcnt_dscnt 0x602
	v_sub_f32_e32 v14, v32, v14
	s_wait_loadcnt 0x5
	v_sub_f32_e32 v6, v31, v6
	v_pk_add_f32 v[8:9], v[10:11], v[8:9]
	s_wait_loadcnt 0x4
	v_mul_f32_e32 v4, v5, v4
	s_wait_dscnt 0x1
	s_delay_alu instid0(VALU_DEP_1) | instskip(NEXT) | instid1(VALU_DEP_1)
	v_mul_f32_e32 v4, v4, v15
	v_pk_add_f32 v[4:5], v[8:9], v[4:5]
	s_wait_loadcnt 0x3
	v_mul_f32_e32 v6, v7, v6
	s_delay_alu instid0(VALU_DEP_1) | instskip(NEXT) | instid1(VALU_DEP_1)
	v_mul_f32_e32 v6, v6, v16
	v_pk_add_f32 v[4:5], v[4:5], v[6:7]
	s_wait_loadcnt 0x1
	v_dual_mul_f32 v10, v13, v14 :: v_dual_sub_f32 v8, v12, v17
	s_wait_loadcnt 0x0
	s_delay_alu instid0(VALU_DEP_1) | instskip(NEXT) | instid1(VALU_DEP_1)
	v_dual_mul_f32 v12, v10, v18 :: v_dual_mul_f32 v6, v19, v8
	v_pk_add_f32 v[4:5], v[4:5], v[12:13]
	s_wait_dscnt 0x0
	s_delay_alu instid0(VALU_DEP_2)
	v_mul_f32_e32 v18, v6, v3
.LBB59_86:                              ;   in Loop: Header=BB59_87 Depth=1
	s_delay_alu instid0(VALU_DEP_1)
	v_pk_add_f32 v[4:5], v[4:5], v[18:19]
	s_add_nc_u64 s[18:19], s[18:19], s[20:21]
	v_add_nc_u64_e32 v[102:103], s[54:55], v[102:103]
	v_cmp_ge_i64_e64 s2, s[18:19], s[4:5]
	v_add_nc_u64_e32 v[104:105], s[54:55], v[104:105]
	s_clause 0x1
	scratch_store_b64 off, v[4:5], off offset:176
	scratch_load_b64 v[4:5], off, off
	v_add_nc_u64_e32 v[82:83], s[54:55], v[82:83]
	v_add_nc_u64_e32 v[86:87], s[54:55], v[86:87]
	;; [unrolled: 1-line block ×38, first 2 shown]
	s_and_b32 vcc_lo, exec_lo, s2
	s_add_nc_u64 s[56:57], s[56:57], s[20:21]
	s_wait_loadcnt 0x0
	v_add_nc_u64_e32 v[4:5], s[54:55], v[4:5]
	s_clause 0x1
	scratch_store_b64 off, v[4:5], off
	scratch_load_b64 v[4:5], off, off offset:8
	s_wait_loadcnt 0x0
	v_add_nc_u64_e32 v[4:5], s[54:55], v[4:5]
	s_clause 0x1
	scratch_store_b64 off, v[4:5], off offset:8
	scratch_load_b64 v[4:5], off, off offset:16
	s_wait_loadcnt 0x0
	v_add_nc_u64_e32 v[4:5], s[54:55], v[4:5]
	s_clause 0x1
	scratch_store_b64 off, v[4:5], off offset:16
	;; [unrolled: 5-line block ×20, first 2 shown]
	scratch_load_b64 v[4:5], off, off offset:168
	s_wait_loadcnt 0x0
	v_add_nc_u64_e32 v[4:5], s[54:55], v[4:5]
	scratch_store_b64 off, v[4:5], off offset:168 ; 8-byte Folded Spill
	s_cbranch_vccnz .LBB59_129
.LBB59_87:                              ; =>This Inner Loop Header: Depth=1
	scratch_load_b64 v[4:5], off, off offset:188 ; 8-byte Folded Reload
	v_cmp_ge_i64_e64 s17, s[56:57], s[4:5]
	s_mov_b32 s2, -1
                                        ; implicit-def: $vgpr18_vgpr19
	s_and_b32 vcc_lo, exec_lo, s17
	s_wait_loadcnt 0x0
	v_add_nc_u64_e32 v[70:71], s[56:57], v[4:5]
                                        ; implicit-def: $vgpr4_vgpr5
	s_cbranch_vccz .LBB59_125
; %bb.88:                               ;   in Loop: Header=BB59_87 Depth=1
	s_load_b32 s2, s[52:53], 0xc
	s_clause 0x1
	scratch_load_b32 v3, off, off offset:184
	scratch_load_b32 v4, off, off offset:196
	v_dual_mov_b32 v72, 0 :: v_dual_mov_b32 v73, 0
	s_wait_kmcnt 0x0
	s_and_b32 s2, s2, 0xffff
	s_wait_loadcnt 0x0
	v_mad_u32_u24 v3, v3, s2, v4
	s_mov_b32 s2, exec_lo
	s_delay_alu instid0(VALU_DEP_1) | instskip(SKIP_1) | instid1(VALU_DEP_1)
	v_and_b32_e32 v4, 31, v3
	s_wait_xcnt 0x0
	v_cmpx_gt_u32_e32 16, v4
	s_cbranch_execz .LBB59_92
; %bb.89:                               ;   in Loop: Header=BB59_87 Depth=1
	v_dual_mov_b32 v5, v2 :: v_dual_mov_b32 v72, 0
	v_mov_b32_e32 v73, 0
	s_mov_b32 s17, exec_lo
	s_delay_alu instid0(VALU_DEP_2) | instskip(NEXT) | instid1(VALU_DEP_1)
	v_add_nc_u64_e32 v[4:5], v[70:71], v[4:5]
	v_add_nc_u64_e32 v[4:5], s[8:9], v[4:5]
	s_delay_alu instid0(VALU_DEP_1)
	v_cmpx_gt_i64_e64 s[4:5], v[4:5]
	s_cbranch_execz .LBB59_91
; %bb.90:                               ;   in Loop: Header=BB59_87 Depth=1
	v_lshlrev_b64_e32 v[4:5], 2, v[4:5]
	s_delay_alu instid0(VALU_DEP_1)
	v_add_nc_u64_e32 v[6:7], s[12:13], v[4:5]
	v_add_nc_u64_e32 v[4:5], s[14:15], v[4:5]
	global_load_b32 v72, v[6:7], off
	global_load_b32 v73, v[4:5], off
.LBB59_91:                              ;   in Loop: Header=BB59_87 Depth=1
	s_wait_xcnt 0x0
	s_or_b32 exec_lo, exec_lo, s17
.LBB59_92:                              ;   in Loop: Header=BB59_87 Depth=1
	s_delay_alu instid0(SALU_CYCLE_1)
	s_or_b32 exec_lo, exec_lo, s2
	v_add_nc_u64_e32 v[18:19], s[8:9], v[70:71]
	v_dual_mov_b32 v15, v2 :: v_dual_mov_b32 v16, v2
	v_dual_mov_b32 v17, v2 :: v_dual_mov_b32 v3, v2
	;; [unrolled: 1-line block ×7, first 2 shown]
	v_mov_b32_e32 v14, v2
	v_mov_b64_e32 v[34:35], v[16:17]
	v_cmp_gt_i64_e32 vcc_lo, s[4:5], v[18:19]
	v_mov_b64_e32 v[28:29], v[10:11]
	v_mov_b64_e32 v[30:31], v[12:13]
	;; [unrolled: 1-line block ×15, first 2 shown]
	s_and_saveexec_b32 s2, vcc_lo
	s_cbranch_execz .LBB59_94
; %bb.93:                               ;   in Loop: Header=BB59_87 Depth=1
	v_add_nc_u64_e32 v[4:5], v[102:103], v[100:101]
	v_add_nc_u64_e32 v[6:7], v[104:105], v[100:101]
	v_dual_mov_b32 v9, v2 :: v_dual_mov_b32 v10, v2
	v_dual_mov_b32 v11, v2 :: v_dual_mov_b32 v12, v2
	;; [unrolled: 1-line block ×3, first 2 shown]
	global_load_b32 v4, v[4:5], off
	global_load_b32 v20, v[6:7], off
	s_wait_xcnt 0x0
	v_dual_mov_b32 v5, v2 :: v_dual_mov_b32 v6, v2
	v_dual_mov_b32 v7, v2 :: v_dual_mov_b32 v8, v2
	;; [unrolled: 1-line block ×12, first 2 shown]
.LBB59_94:                              ;   in Loop: Header=BB59_87 Depth=1
	s_or_b32 exec_lo, exec_lo, s2
	v_add_nc_u64_e32 v[74:75], s[10:11], v[70:71]
	s_mov_b32 s2, exec_lo
	s_delay_alu instid0(VALU_DEP_1)
	v_cmpx_gt_i64_e64 s[4:5], v[74:75]
	s_cbranch_execz .LBB59_96
; %bb.95:                               ;   in Loop: Header=BB59_87 Depth=1
	v_add_nc_u64_e32 v[74:75], v[66:67], v[100:101]
	global_load_b32 v5, v[74:75], off
	s_wait_xcnt 0x0
	v_add_nc_u64_e32 v[74:75], v[68:69], v[100:101]
	global_load_b32 v21, v[74:75], off
.LBB59_96:                              ;   in Loop: Header=BB59_87 Depth=1
	s_wait_xcnt 0x0
	s_or_b32 exec_lo, exec_lo, s2
	v_add_nc_u64_e32 v[74:75], s[22:23], v[70:71]
	s_mov_b32 s2, exec_lo
	s_delay_alu instid0(VALU_DEP_1)
	v_cmpx_gt_i64_e64 s[4:5], v[74:75]
	s_cbranch_execz .LBB59_98
; %bb.97:                               ;   in Loop: Header=BB59_87 Depth=1
	v_add_nc_u64_e32 v[74:75], v[62:63], v[100:101]
	global_load_b32 v6, v[74:75], off
	s_wait_xcnt 0x0
	v_add_nc_u64_e32 v[74:75], v[64:65], v[100:101]
	global_load_b32 v22, v[74:75], off
.LBB59_98:                              ;   in Loop: Header=BB59_87 Depth=1
	s_wait_xcnt 0x0
	s_or_b32 exec_lo, exec_lo, s2
	v_add_nc_u64_e32 v[74:75], s[24:25], v[70:71]
	s_mov_b32 s2, exec_lo
	s_delay_alu instid0(VALU_DEP_1)
	v_cmpx_gt_i64_e64 s[4:5], v[74:75]
	s_cbranch_execz .LBB59_100
; %bb.99:                               ;   in Loop: Header=BB59_87 Depth=1
	v_add_nc_u64_e32 v[74:75], v[60:61], v[100:101]
	global_load_b32 v7, v[74:75], off
	s_wait_xcnt 0x0
	v_add_nc_u64_e32 v[74:75], v[36:37], v[100:101]
	global_load_b32 v23, v[74:75], off
.LBB59_100:                             ;   in Loop: Header=BB59_87 Depth=1
	s_wait_xcnt 0x0
	s_or_b32 exec_lo, exec_lo, s2
	v_add_nc_u64_e32 v[74:75], s[26:27], v[70:71]
	s_mov_b32 s2, exec_lo
	s_delay_alu instid0(VALU_DEP_1)
	v_cmpx_gt_i64_e64 s[4:5], v[74:75]
	s_cbranch_execz .LBB59_102
; %bb.101:                              ;   in Loop: Header=BB59_87 Depth=1
	v_add_nc_u64_e32 v[74:75], v[56:57], v[100:101]
	global_load_b32 v8, v[74:75], off
	s_wait_xcnt 0x0
	v_add_nc_u64_e32 v[74:75], v[58:59], v[100:101]
	global_load_b32 v24, v[74:75], off
.LBB59_102:                             ;   in Loop: Header=BB59_87 Depth=1
	s_wait_xcnt 0x0
	s_or_b32 exec_lo, exec_lo, s2
	v_add_nc_u64_e32 v[74:75], s[28:29], v[70:71]
	s_mov_b32 s2, exec_lo
	s_delay_alu instid0(VALU_DEP_1)
	v_cmpx_gt_i64_e64 s[4:5], v[74:75]
	s_cbranch_execz .LBB59_104
; %bb.103:                              ;   in Loop: Header=BB59_87 Depth=1
	v_add_nc_u64_e32 v[74:75], v[52:53], v[100:101]
	global_load_b32 v9, v[74:75], off
	s_wait_xcnt 0x0
	v_add_nc_u64_e32 v[74:75], v[54:55], v[100:101]
	global_load_b32 v25, v[74:75], off
.LBB59_104:                             ;   in Loop: Header=BB59_87 Depth=1
	;; [unrolled: 14-line block ×12, first 2 shown]
	s_wait_xcnt 0x0
	s_or_b32 exec_lo, exec_lo, s2
	scratch_load_b64 v[80:81], off, off offset:176 ; 8-byte Folded Reload
	s_wait_loadcnt 0x2
	ds_bpermute_b32 v74, v2, v72
	s_wait_loadcnt 0x1
	ds_bpermute_b32 v3, v2, v73
	s_mov_b32 s2, 0
	v_dual_mov_b32 v75, v5 :: v_dual_mov_b32 v77, v7
	s_wait_dscnt 0x1
	v_dual_mov_b32 v79, v9 :: v_dual_sub_f32 v20, v20, v74
	ds_bpermute_b32 v74, v2, v72 offset:4
	s_wait_dscnt 0x0
	v_dual_sub_f32 v21, v21, v74 :: v_dual_mul_f32 v20, v4, v20
	s_delay_alu instid0(VALU_DEP_1)
	v_dual_mul_f32 v21, v5, v21 :: v_dual_mul_f32 v20, v20, v3
	ds_bpermute_b32 v3, v2, v73 offset:4
	s_wait_dscnt 0x0
	v_mul_f32_e32 v74, v21, v3
	ds_bpermute_b32 v21, v2, v72 offset:8
	ds_bpermute_b32 v3, v2, v73 offset:8
	s_wait_dscnt 0x1
	v_sub_f32_e32 v21, v22, v21
	s_delay_alu instid0(VALU_DEP_1) | instskip(SKIP_1) | instid1(VALU_DEP_1)
	v_mul_f32_e32 v21, v6, v21
	s_wait_dscnt 0x0
	v_mul_f32_e32 v22, v21, v3
	ds_bpermute_b32 v21, v2, v72 offset:12
	ds_bpermute_b32 v3, v2, v73 offset:12
	s_wait_dscnt 0x1
	v_dual_sub_f32 v21, v23, v21 :: v_dual_mov_b32 v23, v6
	ds_bpermute_b32 v6, v2, v72 offset:24
	v_mul_f32_e32 v21, v7, v21
	ds_bpermute_b32 v7, v2, v72 offset:28
	s_wait_dscnt 0x2
	v_mul_f32_e32 v76, v21, v3
	ds_bpermute_b32 v21, v2, v72 offset:16
	ds_bpermute_b32 v3, v2, v73 offset:16
	s_wait_dscnt 0x2
	v_dual_sub_f32 v6, v26, v6 :: v_dual_sub_f32 v7, v27, v7
	s_delay_alu instid0(VALU_DEP_1) | instskip(SKIP_2) | instid1(VALU_DEP_1)
	v_dual_mul_f32 v6, v10, v6 :: v_dual_mov_b32 v27, v15
	s_wait_dscnt 0x1
	v_sub_f32_e32 v21, v24, v21
	v_mul_f32_e32 v21, v8, v21
	s_wait_dscnt 0x0
	s_delay_alu instid0(VALU_DEP_1) | instskip(SKIP_4) | instid1(VALU_DEP_1)
	v_mul_f32_e32 v24, v21, v3
	ds_bpermute_b32 v21, v2, v72 offset:20
	ds_bpermute_b32 v3, v2, v73 offset:20
	s_wait_dscnt 0x1
	v_dual_sub_f32 v21, v25, v21 :: v_dual_mov_b32 v25, v8
	v_dual_mul_f32 v21, v9, v21 :: v_dual_mov_b32 v9, v11
	s_wait_dscnt 0x0
	s_delay_alu instid0(VALU_DEP_1) | instskip(SKIP_3) | instid1(VALU_DEP_1)
	v_mul_f32_e32 v78, v21, v3
	ds_bpermute_b32 v3, v2, v73 offset:24
	v_mov_b32_e32 v21, v4
	s_wait_loadcnt 0x0
	v_pk_add_f32 v[20:21], v[80:81], v[20:21]
	s_delay_alu instid0(VALU_DEP_1)
	v_pk_add_f32 v[4:5], v[74:75], v[20:21]
	v_dual_mov_b32 v21, v12 :: v_dual_mul_f32 v7, v11, v7
	s_wait_dscnt 0x0
	v_mul_f32_e32 v6, v6, v3
	ds_bpermute_b32 v3, v2, v73 offset:28
	v_pk_add_f32 v[4:5], v[22:23], v[4:5]
	v_mov_b32_e32 v23, v13
	s_delay_alu instid0(VALU_DEP_2) | instskip(NEXT) | instid1(VALU_DEP_1)
	v_pk_add_f32 v[4:5], v[76:77], v[4:5]
	v_pk_add_f32 v[4:5], v[24:25], v[4:5]
	v_mov_b32_e32 v25, v14
	s_delay_alu instid0(VALU_DEP_2)
	v_pk_add_f32 v[4:5], v[78:79], v[4:5]
	s_wait_dscnt 0x0
	v_mul_f32_e32 v8, v7, v3
	ds_bpermute_b32 v7, v2, v72 offset:32
	ds_bpermute_b32 v3, v2, v73 offset:32
	s_wait_dscnt 0x1
	v_sub_f32_e32 v7, v28, v7
	s_delay_alu instid0(VALU_DEP_1) | instskip(SKIP_1) | instid1(VALU_DEP_1)
	v_mul_f32_e32 v7, v12, v7
	s_wait_dscnt 0x0
	v_mul_f32_e32 v20, v7, v3
	ds_bpermute_b32 v7, v2, v72 offset:36
	ds_bpermute_b32 v3, v2, v73 offset:36
	s_wait_dscnt 0x1
	v_dual_sub_f32 v7, v29, v7 :: v_dual_mov_b32 v29, v16
	s_delay_alu instid0(VALU_DEP_1) | instskip(SKIP_1) | instid1(VALU_DEP_1)
	v_mul_f32_e32 v7, v13, v7
	s_wait_dscnt 0x0
	v_mul_f32_e32 v22, v7, v3
	ds_bpermute_b32 v7, v2, v72 offset:40
	ds_bpermute_b32 v3, v2, v73 offset:40
	s_wait_dscnt 0x1
	v_sub_f32_e32 v7, v30, v7
	s_delay_alu instid0(VALU_DEP_1) | instskip(SKIP_1) | instid1(VALU_DEP_1)
	v_mul_f32_e32 v7, v14, v7
	s_wait_dscnt 0x0
	v_mul_f32_e32 v24, v7, v3
	ds_bpermute_b32 v7, v2, v72 offset:44
	ds_bpermute_b32 v3, v2, v73 offset:44
	s_wait_dscnt 0x1
	v_dual_sub_f32 v7, v31, v7 :: v_dual_mov_b32 v31, v17
	s_delay_alu instid0(VALU_DEP_1) | instskip(SKIP_1) | instid1(VALU_DEP_1)
	v_mul_f32_e32 v7, v15, v7
	s_wait_dscnt 0x0
	v_mul_f32_e32 v26, v7, v3
	ds_bpermute_b32 v7, v2, v72 offset:48
	ds_bpermute_b32 v3, v2, v73 offset:48
	s_wait_dscnt 0x1
	v_sub_f32_e32 v7, v32, v7
	s_delay_alu instid0(VALU_DEP_1) | instskip(SKIP_1) | instid1(VALU_DEP_1)
	v_mul_f32_e32 v7, v16, v7
	s_wait_dscnt 0x0
	v_mul_f32_e32 v28, v7, v3
	ds_bpermute_b32 v7, v2, v72 offset:52
	ds_bpermute_b32 v3, v2, v73 offset:52
	s_wait_dscnt 0x1
	v_sub_f32_e32 v7, v33, v7
	s_delay_alu instid0(VALU_DEP_1) | instskip(SKIP_1) | instid1(VALU_DEP_1)
	v_mul_f32_e32 v7, v17, v7
	s_wait_dscnt 0x0
	v_dual_mul_f32 v30, v7, v3 :: v_dual_mov_b32 v7, v10
	ds_bpermute_b32 v3, v2, v73 offset:56
	v_pk_add_f32 v[4:5], v[6:7], v[4:5]
	ds_bpermute_b32 v6, v2, v72 offset:56
	v_mov_b32_e32 v7, v18
	v_pk_add_f32 v[4:5], v[8:9], v[4:5]
	s_delay_alu instid0(VALU_DEP_1) | instskip(NEXT) | instid1(VALU_DEP_1)
	v_pk_add_f32 v[4:5], v[20:21], v[4:5]
	v_pk_add_f32 v[4:5], v[22:23], v[4:5]
	s_delay_alu instid0(VALU_DEP_1) | instskip(SKIP_2) | instid1(VALU_DEP_2)
	v_pk_add_f32 v[4:5], v[24:25], v[4:5]
	s_wait_dscnt 0x0
	v_sub_f32_e32 v6, v34, v6
	v_pk_add_f32 v[4:5], v[26:27], v[4:5]
	s_delay_alu instid0(VALU_DEP_2) | instskip(NEXT) | instid1(VALU_DEP_2)
	v_mul_f32_e32 v6, v18, v6
	v_pk_add_f32 v[4:5], v[28:29], v[4:5]
	s_delay_alu instid0(VALU_DEP_2) | instskip(SKIP_2) | instid1(VALU_DEP_1)
	v_mul_f32_e32 v6, v6, v3
	ds_bpermute_b32 v3, v2, v73 offset:60
	v_pk_add_f32 v[4:5], v[30:31], v[4:5]
	v_pk_add_f32 v[4:5], v[6:7], v[4:5]
	ds_bpermute_b32 v6, v2, v72 offset:60
	s_wait_dscnt 0x0
	v_sub_f32_e32 v6, v35, v6
	s_delay_alu instid0(VALU_DEP_1) | instskip(NEXT) | instid1(VALU_DEP_1)
	v_mul_f32_e32 v6, v19, v6
	v_mul_f32_e32 v18, v6, v3
.LBB59_125:                             ;   in Loop: Header=BB59_87 Depth=1
	s_and_b32 vcc_lo, exec_lo, s2
	s_cbranch_vccz .LBB59_86
; %bb.126:                              ;   in Loop: Header=BB59_87 Depth=1
	s_load_b32 s2, s[52:53], 0x0
	v_mov_b32_e32 v26, 0
	s_wait_kmcnt 0x0
	s_cmp_lt_u32 s16, s2
	s_cselect_b32 s2, 12, 18
	s_delay_alu instid0(SALU_CYCLE_1)
	s_add_nc_u64 s[58:59], s[52:53], s[2:3]
	s_load_u16 s2, s[58:59], 0x0
	s_clause 0x1
	scratch_load_b32 v3, off, off offset:184
	scratch_load_b32 v4, off, off offset:196
	s_wait_loadcnt 0x0
	s_wait_kmcnt 0x0
	v_mad_u32_u24 v3, v3, s2, v4
	s_mov_b32 s2, exec_lo
	s_delay_alu instid0(VALU_DEP_1) | instskip(SKIP_1) | instid1(VALU_DEP_1)
	v_dual_mov_b32 v3, 0 :: v_dual_bitop2_b32 v4, 31, v3 bitop3:0x40
	s_wait_xcnt 0x0
	v_cmpx_gt_u32_e32 16, v4
	s_cbranch_execz .LBB59_85
; %bb.127:                              ;   in Loop: Header=BB59_87 Depth=1
	v_dual_mov_b32 v5, v2 :: v_dual_mov_b32 v26, 0
	v_mov_b32_e32 v3, 0
	s_mov_b32 s17, exec_lo
	s_delay_alu instid0(VALU_DEP_2) | instskip(NEXT) | instid1(VALU_DEP_1)
	v_add_nc_u64_e32 v[4:5], v[70:71], v[4:5]
	v_add_nc_u64_e32 v[4:5], s[8:9], v[4:5]
	s_delay_alu instid0(VALU_DEP_1)
	v_cmpx_gt_i64_e64 s[4:5], v[4:5]
	s_cbranch_execz .LBB59_84
; %bb.128:                              ;   in Loop: Header=BB59_87 Depth=1
	v_lshlrev_b64_e32 v[4:5], 2, v[4:5]
	s_delay_alu instid0(VALU_DEP_1)
	v_add_nc_u64_e32 v[6:7], s[12:13], v[4:5]
	v_add_nc_u64_e32 v[4:5], s[14:15], v[4:5]
	global_load_b32 v26, v[6:7], off
	global_load_b32 v3, v[4:5], off
	s_branch .LBB59_84
.LBB59_129:
	s_clause 0x1
	scratch_load_b32 v114, off, off offset:200
	scratch_load_b64 v[116:117], off, off offset:176
.LBB59_130:
	s_wait_loadcnt 0x1
	v_and_b32_e32 v1, 0x3ff, v114
	v_bfe_u32 v0, v114, 10, 10
	s_mov_b32 s2, exec_lo
	s_delay_alu instid0(VALU_DEP_1) | instskip(NEXT) | instid1(VALU_DEP_1)
	v_mad_u32_u24 v2, 0x41, v0, v1
	v_lshl_add_u32 v3, v2, 2, 0
	v_sub_nc_u32_e32 v6, v2, v0
	s_wait_loadcnt 0x0
	ds_store_b32 v3, v116
	ds_store_b32 v3, v117 offset:4160
	s_wait_storecnt_dscnt 0x0
	s_barrier_signal -1
	s_barrier_wait -1
	s_wait_xcnt 0x0
	v_cmpx_gt_u32_e32 0x800, v6
	s_cbranch_execz .LBB59_146
; %bb.131:
	s_load_b128 s[8:11], s[0:1], 0x30
	v_dual_lshrrev_b32 v0, 5, v6 :: v_dual_bitop2_b32 v2, 31, v1 bitop3:0x40
	s_wait_xcnt 0x0
	s_delay_alu instid0(VALU_DEP_1)
	v_cmp_gt_u32_e64 s0, 16, v2
	v_mul_u32_u24_e32 v7, 0x41, v2
                                        ; implicit-def: $vgpr2
	s_and_saveexec_b32 s1, s0
	s_cbranch_execz .LBB59_133
; %bb.132:
	s_delay_alu instid0(VALU_DEP_1) | instskip(NEXT) | instid1(VALU_DEP_1)
	v_add_nc_u32_e32 v2, v0, v7
	v_lshl_add_u32 v2, v2, 2, 0
	ds_load_b32 v3, v2
	ds_load_b32 v2, v2 offset:4160
.LBB59_133:
	s_or_b32 exec_lo, exec_lo, s1
	v_mbcnt_lo_u32_b32 v11, -1, 0
	s_mov_b32 s17, 0
	v_cmp_eq_u32_e64 s1, 0, v1
	s_lshl_b64 s[2:3], s[16:17], 6
	s_wait_kmcnt 0x0
	s_cmp_lg_u64 s[8:9], 0
	v_xor_b32_e32 v9, 4, v11
	v_dual_mov_b32 v1, 0 :: v_dual_bitop2_b32 v4, 8, v11 bitop3:0x14
	s_cselect_b32 s5, -1, 0
	s_cmp_lg_u64 s[10:11], 0
	v_xor_b32_e32 v10, 2, v11
	s_delay_alu instid0(VALU_DEP_2)
	v_cmp_gt_i32_e32 vcc_lo, 32, v4
	s_cselect_b32 s4, -1, 0
	v_dual_cndmask_b32 v4, v11, v4, vcc_lo :: v_dual_bitop2_b32 v12, 1, v11 bitop3:0x14
	v_cmp_gt_i32_e32 vcc_lo, 32, v9
	v_cndmask_b32_e32 v9, v11, v9, vcc_lo
	v_cmp_gt_i32_e32 vcc_lo, 32, v10
	s_delay_alu instid0(VALU_DEP_2)
	v_dual_lshlrev_b32 v9, 2, v9 :: v_dual_lshlrev_b32 v8, 2, v4
	v_cndmask_b32_e32 v10, v11, v10, vcc_lo
	v_cmp_gt_i32_e32 vcc_lo, 32, v12
	s_wait_dscnt 0x1
	ds_bpermute_b32 v5, v8, v3
	s_wait_dscnt 0x1
	ds_bpermute_b32 v4, v8, v2
	v_dual_cndmask_b32 v11, v11, v12 :: v_dual_lshlrev_b32 v10, 2, v10
	s_wait_dscnt 0x0
	v_pk_add_f32 v[2:3], v[2:3], v[4:5]
	ds_bpermute_b32 v5, v9, v3
	ds_bpermute_b32 v4, v9, v2
	s_wait_dscnt 0x0
	v_pk_add_f32 v[2:3], v[2:3], v[4:5]
	ds_bpermute_b32 v5, v10, v3
	ds_bpermute_b32 v4, v10, v2
	s_wait_dscnt 0x0
	v_pk_add_f32 v[2:3], v[2:3], v[4:5]
	v_dual_mov_b32 v5, s3 :: v_dual_lshlrev_b32 v11, 2, v11
	v_or_b32_e32 v4, s2, v0
	ds_bpermute_b32 v13, v11, v3
	ds_bpermute_b32 v12, v11, v2
	v_cmp_gt_i64_e32 vcc_lo, s[6:7], v[4:5]
	s_and_b32 s13, s1, vcc_lo
	s_wait_dscnt 0x0
	v_pk_add_f32 v[2:3], v[2:3], v[12:13]
	s_and_saveexec_b32 s12, s13
	s_cbranch_execz .LBB59_138
; %bb.134:
	s_and_not1_b32 vcc_lo, exec_lo, s5
	s_cbranch_vccnz .LBB59_136
; %bb.135:
	v_lshl_add_u64 v[12:13], v[4:5], 2, s[8:9]
	global_store_b32 v[12:13], v3, off
.LBB59_136:
	s_and_not1_b32 vcc_lo, exec_lo, s4
	s_cbranch_vccnz .LBB59_138
; %bb.137:
	v_lshl_add_u64 v[4:5], v[4:5], 2, s[10:11]
	global_store_b32 v[4:5], v2, off
.LBB59_138:
	s_wait_xcnt 0x0
	s_or_b32 exec_lo, exec_lo, s12
	v_cmp_gt_u32_e32 vcc_lo, 0x400, v6
	s_and_b32 exec_lo, exec_lo, vcc_lo
	s_cbranch_execz .LBB59_146
; %bb.139:
	s_and_saveexec_b32 s12, s0
	s_cbranch_execz .LBB59_141
; %bb.140:
	v_add_nc_u32_e32 v2, v0, v7
	s_delay_alu instid0(VALU_DEP_1)
	v_lshl_add_u32 v2, v2, 2, 0
	ds_load_b32 v3, v2 offset:128
	ds_load_b32 v2, v2 offset:4288
.LBB59_141:
	s_or_b32 exec_lo, exec_lo, s12
	s_wait_dscnt 0x1
	ds_bpermute_b32 v4, v8, v3
	s_wait_dscnt 0x1
	ds_bpermute_b32 v5, v8, v2
	v_dual_mov_b32 v7, s3 :: v_dual_add_nc_u32 v6, 32, v0
	s_delay_alu instid0(VALU_DEP_1) | instskip(NEXT) | instid1(VALU_DEP_1)
	v_or_b32_e32 v6, s2, v6
	v_cmp_gt_i64_e32 vcc_lo, s[6:7], v[6:7]
	s_and_b32 s0, s1, vcc_lo
	s_wait_dscnt 0x0
	v_dual_add_f32 v3, v3, v4 :: v_dual_add_f32 v2, v2, v5
	ds_bpermute_b32 v4, v9, v3
	ds_bpermute_b32 v5, v9, v2
	s_wait_dscnt 0x0
	v_dual_add_f32 v3, v3, v4 :: v_dual_add_f32 v2, v2, v5
	ds_bpermute_b32 v4, v10, v3
	ds_bpermute_b32 v5, v10, v2
	;; [unrolled: 4-line block ×3, first 2 shown]
	s_and_b32 exec_lo, exec_lo, s0
	s_cbranch_execz .LBB59_146
; %bb.142:
	v_add_nc_u64_e32 v[0:1], s[2:3], v[0:1]
	s_and_not1_b32 vcc_lo, exec_lo, s5
	s_cbranch_vccnz .LBB59_144
; %bb.143:
	s_wait_dscnt 0x1
	v_add_f32_e32 v6, v4, v5
	s_delay_alu instid0(VALU_DEP_2)
	v_lshl_add_u64 v[4:5], v[0:1], 2, s[8:9]
	global_store_b32 v[4:5], v6, off offset:128
.LBB59_144:
	s_and_not1_b32 vcc_lo, exec_lo, s4
	s_cbranch_vccnz .LBB59_146
; %bb.145:
	s_wait_dscnt 0x0
	v_add_f32_e32 v2, v2, v3
	v_lshl_add_u64 v[0:1], v[0:1], 2, s[10:11]
	global_store_b32 v[0:1], v2, off offset:128
.LBB59_146:
	s_sendmsg sendmsg(MSG_DEALLOC_VGPRS)
	s_endpgm
	.section	.rodata,"a",@progbits
	.p2align	6, 0x0
	.amdhsa_kernel _ZN2at6native12_GLOBAL__N_135GammaBetaBackwardCUDAKernelTemplateIffLj64ELj16ELj256ELb0ELb0ELb0EEEvllPKT_S5_PKT0_S8_PS3_S9_
		.amdhsa_group_segment_fixed_size 0
		.amdhsa_private_segment_fixed_size 208
		.amdhsa_kernarg_size 320
		.amdhsa_user_sgpr_count 2
		.amdhsa_user_sgpr_dispatch_ptr 0
		.amdhsa_user_sgpr_queue_ptr 0
		.amdhsa_user_sgpr_kernarg_segment_ptr 1
		.amdhsa_user_sgpr_dispatch_id 0
		.amdhsa_user_sgpr_kernarg_preload_length 0
		.amdhsa_user_sgpr_kernarg_preload_offset 0
		.amdhsa_user_sgpr_private_segment_size 0
		.amdhsa_wavefront_size32 1
		.amdhsa_uses_dynamic_stack 0
		.amdhsa_enable_private_segment 1
		.amdhsa_system_sgpr_workgroup_id_x 1
		.amdhsa_system_sgpr_workgroup_id_y 1
		.amdhsa_system_sgpr_workgroup_id_z 0
		.amdhsa_system_sgpr_workgroup_info 0
		.amdhsa_system_vgpr_workitem_id 1
		.amdhsa_next_free_vgpr 128
		.amdhsa_next_free_sgpr 68
		.amdhsa_named_barrier_count 0
		.amdhsa_reserve_vcc 1
		.amdhsa_float_round_mode_32 0
		.amdhsa_float_round_mode_16_64 0
		.amdhsa_float_denorm_mode_32 3
		.amdhsa_float_denorm_mode_16_64 3
		.amdhsa_fp16_overflow 0
		.amdhsa_memory_ordered 1
		.amdhsa_forward_progress 1
		.amdhsa_inst_pref_size 105
		.amdhsa_round_robin_scheduling 0
		.amdhsa_exception_fp_ieee_invalid_op 0
		.amdhsa_exception_fp_denorm_src 0
		.amdhsa_exception_fp_ieee_div_zero 0
		.amdhsa_exception_fp_ieee_overflow 0
		.amdhsa_exception_fp_ieee_underflow 0
		.amdhsa_exception_fp_ieee_inexact 0
		.amdhsa_exception_int_div_zero 0
	.end_amdhsa_kernel
	.section	.text._ZN2at6native12_GLOBAL__N_135GammaBetaBackwardCUDAKernelTemplateIffLj64ELj16ELj256ELb0ELb0ELb0EEEvllPKT_S5_PKT0_S8_PS3_S9_,"axG",@progbits,_ZN2at6native12_GLOBAL__N_135GammaBetaBackwardCUDAKernelTemplateIffLj64ELj16ELj256ELb0ELb0ELb0EEEvllPKT_S5_PKT0_S8_PS3_S9_,comdat
.Lfunc_end59:
	.size	_ZN2at6native12_GLOBAL__N_135GammaBetaBackwardCUDAKernelTemplateIffLj64ELj16ELj256ELb0ELb0ELb0EEEvllPKT_S5_PKT0_S8_PS3_S9_, .Lfunc_end59-_ZN2at6native12_GLOBAL__N_135GammaBetaBackwardCUDAKernelTemplateIffLj64ELj16ELj256ELb0ELb0ELb0EEEvllPKT_S5_PKT0_S8_PS3_S9_
                                        ; -- End function
	.set _ZN2at6native12_GLOBAL__N_135GammaBetaBackwardCUDAKernelTemplateIffLj64ELj16ELj256ELb0ELb0ELb0EEEvllPKT_S5_PKT0_S8_PS3_S9_.num_vgpr, 128
	.set _ZN2at6native12_GLOBAL__N_135GammaBetaBackwardCUDAKernelTemplateIffLj64ELj16ELj256ELb0ELb0ELb0EEEvllPKT_S5_PKT0_S8_PS3_S9_.num_agpr, 0
	.set _ZN2at6native12_GLOBAL__N_135GammaBetaBackwardCUDAKernelTemplateIffLj64ELj16ELj256ELb0ELb0ELb0EEEvllPKT_S5_PKT0_S8_PS3_S9_.numbered_sgpr, 68
	.set _ZN2at6native12_GLOBAL__N_135GammaBetaBackwardCUDAKernelTemplateIffLj64ELj16ELj256ELb0ELb0ELb0EEEvllPKT_S5_PKT0_S8_PS3_S9_.num_named_barrier, 0
	.set _ZN2at6native12_GLOBAL__N_135GammaBetaBackwardCUDAKernelTemplateIffLj64ELj16ELj256ELb0ELb0ELb0EEEvllPKT_S5_PKT0_S8_PS3_S9_.private_seg_size, 208
	.set _ZN2at6native12_GLOBAL__N_135GammaBetaBackwardCUDAKernelTemplateIffLj64ELj16ELj256ELb0ELb0ELb0EEEvllPKT_S5_PKT0_S8_PS3_S9_.uses_vcc, 1
	.set _ZN2at6native12_GLOBAL__N_135GammaBetaBackwardCUDAKernelTemplateIffLj64ELj16ELj256ELb0ELb0ELb0EEEvllPKT_S5_PKT0_S8_PS3_S9_.uses_flat_scratch, 1
	.set _ZN2at6native12_GLOBAL__N_135GammaBetaBackwardCUDAKernelTemplateIffLj64ELj16ELj256ELb0ELb0ELb0EEEvllPKT_S5_PKT0_S8_PS3_S9_.has_dyn_sized_stack, 0
	.set _ZN2at6native12_GLOBAL__N_135GammaBetaBackwardCUDAKernelTemplateIffLj64ELj16ELj256ELb0ELb0ELb0EEEvllPKT_S5_PKT0_S8_PS3_S9_.has_recursion, 0
	.set _ZN2at6native12_GLOBAL__N_135GammaBetaBackwardCUDAKernelTemplateIffLj64ELj16ELj256ELb0ELb0ELb0EEEvllPKT_S5_PKT0_S8_PS3_S9_.has_indirect_call, 0
	.section	.AMDGPU.csdata,"",@progbits
; Kernel info:
; codeLenInByte = 13420
; TotalNumSgprs: 70
; NumVgprs: 128
; ScratchSize: 208
; MemoryBound: 0
; FloatMode: 240
; IeeeMode: 1
; LDSByteSize: 0 bytes/workgroup (compile time only)
; SGPRBlocks: 0
; VGPRBlocks: 7
; NumSGPRsForWavesPerEU: 70
; NumVGPRsForWavesPerEU: 128
; NamedBarCnt: 0
; Occupancy: 8
; WaveLimiterHint : 0
; COMPUTE_PGM_RSRC2:SCRATCH_EN: 1
; COMPUTE_PGM_RSRC2:USER_SGPR: 2
; COMPUTE_PGM_RSRC2:TRAP_HANDLER: 0
; COMPUTE_PGM_RSRC2:TGID_X_EN: 1
; COMPUTE_PGM_RSRC2:TGID_Y_EN: 1
; COMPUTE_PGM_RSRC2:TGID_Z_EN: 0
; COMPUTE_PGM_RSRC2:TIDIG_COMP_CNT: 1
	.section	.text._ZN2at6native12_GLOBAL__N_135GammaBetaBackwardCUDAKernelTemplateIffLj32ELj1ELj32ELb1ELb1ELb0EEEvllPKT_S5_PKT0_S8_PS3_S9_,"axG",@progbits,_ZN2at6native12_GLOBAL__N_135GammaBetaBackwardCUDAKernelTemplateIffLj32ELj1ELj32ELb1ELb1ELb0EEEvllPKT_S5_PKT0_S8_PS3_S9_,comdat
	.globl	_ZN2at6native12_GLOBAL__N_135GammaBetaBackwardCUDAKernelTemplateIffLj32ELj1ELj32ELb1ELb1ELb0EEEvllPKT_S5_PKT0_S8_PS3_S9_ ; -- Begin function _ZN2at6native12_GLOBAL__N_135GammaBetaBackwardCUDAKernelTemplateIffLj32ELj1ELj32ELb1ELb1ELb0EEEvllPKT_S5_PKT0_S8_PS3_S9_
	.p2align	8
	.type	_ZN2at6native12_GLOBAL__N_135GammaBetaBackwardCUDAKernelTemplateIffLj32ELj1ELj32ELb1ELb1ELb0EEEvllPKT_S5_PKT0_S8_PS3_S9_,@function
_ZN2at6native12_GLOBAL__N_135GammaBetaBackwardCUDAKernelTemplateIffLj32ELj1ELj32ELb1ELb1ELb0EEEvllPKT_S5_PKT0_S8_PS3_S9_: ; @_ZN2at6native12_GLOBAL__N_135GammaBetaBackwardCUDAKernelTemplateIffLj32ELj1ELj32ELb1ELb1ELb0EEEvllPKT_S5_PKT0_S8_PS3_S9_
; %bb.0:
	s_load_b128 s[12:15], s[0:1], 0x0
	s_bfe_u32 s3, ttmp6, 0x4000c
	s_bfe_u32 s4, ttmp6, 0x40010
	s_add_co_i32 s3, s3, 1
	s_add_co_i32 s4, s4, 1
	s_and_b32 s2, ttmp6, 15
	s_bfe_u32 s5, ttmp6, 0x40004
	s_mul_i32 s3, ttmp9, s3
	s_mul_i32 s4, ttmp7, s4
	s_getreg_b32 s6, hwreg(HW_REG_IB_STS2, 6, 4)
	s_add_co_i32 s2, s2, s3
	s_add_co_i32 s5, s5, s4
	s_cmp_eq_u32 s6, 0
	s_mov_b32 s3, 0
	s_cselect_b32 s17, ttmp7, s5
	s_cselect_b32 s16, ttmp9, s2
	s_lshl_b32 s2, s17, 5
	v_bfe_u32 v1, v0, 10, 10
	s_add_nc_u64 s[18:19], s[0:1], 64
	s_wait_kmcnt 0x0
	v_cmp_gt_i64_e64 s4, s[12:13], s[2:3]
	s_and_b32 vcc_lo, exec_lo, s4
	s_cbranch_vccnz .LBB60_2
; %bb.1:
	v_bfe_u32 v2, v0, 10, 10
	s_add_nc_u64 s[4:5], s[0:1], 64
	s_mov_b32 s6, s3
	s_branch .LBB60_3
.LBB60_2:
	s_mov_b32 s6, -1
                                        ; implicit-def: $sgpr4_sgpr5
                                        ; implicit-def: $vgpr2
.LBB60_3:
	v_mov_b32_e32 v11, 0
	v_and_b32_e32 v0, 0x3ff, v0
	s_and_not1_b32 vcc_lo, exec_lo, s6
	s_delay_alu instid0(VALU_DEP_2)
	v_mov_b32_e32 v10, v11
	s_cbranch_vccnz .LBB60_9
; %bb.4:
	v_dual_mov_b32 v3, 0 :: v_dual_lshlrev_b32 v2, 5, v1
	s_clause 0x2
	s_load_b32 s20, s[0:1], 0x4c
	s_load_b32 s22, s[0:1], 0x44
	s_load_b256 s[4:11], s[0:1], 0x10
	v_lshl_add_u32 v4, s16, 5, v0
	s_mov_b32 s21, 0
	v_dual_mov_b32 v12, 4 :: v_dual_mov_b32 v13, 8
	v_add_nc_u64_e32 v[6:7], s[2:3], v[2:3]
	v_dual_mov_b32 v11, v3 :: v_dual_mov_b32 v5, v3
	v_dual_mov_b32 v2, 12 :: v_dual_mov_b32 v14, 16
	;; [unrolled: 1-line block ×3, first 2 shown]
	s_delay_alu instid0(VALU_DEP_4) | instskip(NEXT) | instid1(VALU_DEP_4)
	v_mul_u64_e32 v[8:9], s[14:15], v[6:7]
	v_lshlrev_b64_e32 v[42:43], 2, v[4:5]
	v_dual_mov_b32 v17, 28 :: v_dual_mov_b32 v18, 32
	v_dual_mov_b32 v19, 36 :: v_dual_mov_b32 v20, 40
	s_wait_kmcnt 0x0
	s_and_b32 s20, s20, 0xffff
	v_dual_mov_b32 v21, 44 :: v_dual_mov_b32 v22, 48
	v_mad_u32_u24 v10, v1, s20, v0
	s_lshl_b32 s20, s22, 5
	v_dual_mov_b32 v25, 60 :: v_dual_mov_b32 v23, 52
	s_delay_alu instid0(VALU_DEP_2) | instskip(SKIP_3) | instid1(VALU_DEP_4)
	v_dual_mov_b32 v24, 56 :: v_dual_bitop2_b32 v10, 31, v10 bitop3:0x40
	v_dual_mov_b32 v26, 64 :: v_dual_mov_b32 v27, 0x44
	v_mov_b32_e32 v28, 0x48
	v_mov_b32_e32 v29, 0x4c
	v_add_nc_u64_e32 v[4:5], v[6:7], v[10:11]
	v_mov_b32_e32 v30, 0x50
	v_mov_b32_e32 v31, 0x54
	;; [unrolled: 1-line block ×12, first 2 shown]
	v_lshl_add_u64 v[6:7], v[8:9], 2, v[42:43]
	v_lshlrev_b64_e32 v[8:9], 2, v[4:5]
	v_mov_b32_e32 v10, 0
	s_mul_u64 s[22:23], s[14:15], s[20:21]
	s_lshl_b64 s[24:25], s[20:21], 2
	s_lshl_b64 s[22:23], s[22:23], 2
	s_lshl_b64 s[26:27], s[14:15], 2
	s_branch .LBB60_6
.LBB60_5:                               ;   in Loop: Header=BB60_6 Depth=1
	s_wait_xcnt 0x0
	s_or_b32 exec_lo, exec_lo, s28
	v_add_nc_u64_e32 v[44:45], s[6:7], v[6:7]
	v_add_nc_u64_e32 v[46:47], s[4:5], v[6:7]
	s_wait_loadcnt 0x1
	ds_bpermute_b32 v56, v3, v43
	ds_bpermute_b32 v57, v12, v43
	s_add_nc_u64 s[2:3], s[2:3], s[20:21]
	v_add_nc_u64_e32 v[6:7], s[22:23], v[6:7]
	v_cmp_lt_i64_e64 s28, s[2:3], s[12:13]
	global_load_b32 v49, v[44:45], off
	global_load_b32 v48, v[46:47], off
	s_wait_xcnt 0x1
	v_add_nc_u64_e32 v[44:45], s[26:27], v[44:45]
	s_wait_xcnt 0x0
	v_add_nc_u64_e32 v[46:47], s[26:27], v[46:47]
	v_add_nc_u64_e32 v[8:9], s[24:25], v[8:9]
	;; [unrolled: 1-line block ×3, first 2 shown]
	s_and_b32 vcc_lo, exec_lo, s28
	global_load_b32 v51, v[44:45], off
	global_load_b32 v50, v[46:47], off
	s_wait_xcnt 0x1
	v_add_nc_u64_e32 v[44:45], s[26:27], v[44:45]
	s_wait_xcnt 0x0
	v_add_nc_u64_e32 v[46:47], s[26:27], v[46:47]
	global_load_b32 v53, v[44:45], off
	global_load_b32 v52, v[46:47], off
	s_wait_xcnt 0x1
	v_add_nc_u64_e32 v[44:45], s[26:27], v[44:45]
	s_wait_xcnt 0x0
	v_add_nc_u64_e32 v[46:47], s[26:27], v[46:47]
	;; [unrolled: 6-line block ×3, first 2 shown]
	s_wait_loadcnt_dscnt 0x701
	v_sub_f32_e32 v49, v49, v56
	ds_bpermute_b32 v56, v3, v42
	s_wait_loadcnt 0x6
	v_mul_f32_e32 v49, v48, v49
	s_wait_dscnt 0x0
	s_delay_alu instid0(VALU_DEP_1)
	v_mul_f32_e32 v49, v49, v56
	global_load_b32 v56, v[44:45], off
	s_wait_xcnt 0x0
	v_add_nc_u64_e32 v[44:45], s[26:27], v[44:45]
	v_pk_add_f32 v[10:11], v[10:11], v[48:49]
	s_wait_loadcnt 0x6
	v_sub_f32_e32 v49, v51, v57
	ds_bpermute_b32 v51, v12, v42
	global_load_b32 v48, v[46:47], off
	global_load_b32 v57, v[44:45], off
	s_wait_xcnt 0x1
	v_add_nc_u64_e32 v[46:47], s[26:27], v[46:47]
	s_wait_loadcnt 0x7
	v_mul_f32_e32 v49, v50, v49
	s_wait_xcnt 0x0
	v_add_nc_u64_e32 v[44:45], s[26:27], v[44:45]
	global_load_b32 v58, v[44:45], off
	s_wait_xcnt 0x0
	v_add_nc_u64_e32 v[44:45], s[26:27], v[44:45]
	global_load_b32 v59, v[44:45], off
	s_wait_dscnt 0x0
	v_mul_f32_e32 v51, v49, v51
	ds_bpermute_b32 v49, v13, v43
	s_wait_xcnt 0x0
	v_add_nc_u64_e32 v[44:45], s[26:27], v[44:45]
	s_wait_loadcnt_dscnt 0x800
	v_sub_f32_e32 v49, v53, v49
	s_wait_loadcnt 0x7
	s_delay_alu instid0(VALU_DEP_1)
	v_mul_f32_e32 v49, v52, v49
	v_pk_add_f32 v[10:11], v[10:11], v[50:51]
	global_load_b32 v50, v[46:47], off
	ds_bpermute_b32 v51, v13, v42
	s_wait_xcnt 0x0
	v_add_nc_u64_e32 v[46:47], s[26:27], v[46:47]
	s_wait_dscnt 0x0
	v_mul_f32_e32 v53, v49, v51
	ds_bpermute_b32 v49, v2, v43
	ds_bpermute_b32 v51, v2, v42
	s_wait_loadcnt_dscnt 0x701
	v_sub_f32_e32 v49, v55, v49
	v_pk_add_f32 v[10:11], v[10:11], v[52:53]
	global_load_b32 v52, v[46:47], off
	s_wait_xcnt 0x0
	v_add_nc_u64_e32 v[46:47], s[26:27], v[46:47]
	s_wait_loadcnt 0x7
	v_mul_f32_e32 v49, v54, v49
	s_wait_dscnt 0x0
	s_delay_alu instid0(VALU_DEP_1)
	v_mul_f32_e32 v55, v49, v51
	ds_bpermute_b32 v49, v14, v43
	ds_bpermute_b32 v51, v14, v42
	s_wait_loadcnt_dscnt 0x601
	v_sub_f32_e32 v49, v56, v49
	v_pk_add_f32 v[10:11], v[10:11], v[54:55]
	global_load_b32 v54, v[46:47], off
	s_wait_xcnt 0x0
	v_add_nc_u64_e32 v[46:47], s[26:27], v[46:47]
	global_load_b32 v56, v[44:45], off
	s_wait_xcnt 0x0
	v_add_nc_u64_e32 v[44:45], s[26:27], v[44:45]
	s_wait_loadcnt 0x7
	v_mul_f32_e32 v49, v48, v49
	s_wait_dscnt 0x0
	s_delay_alu instid0(VALU_DEP_1)
	v_mul_f32_e32 v49, v49, v51
	ds_bpermute_b32 v51, v15, v43
	v_pk_add_f32 v[10:11], v[10:11], v[48:49]
	global_load_b32 v48, v[46:47], off
	s_wait_xcnt 0x0
	v_add_nc_u64_e32 v[46:47], s[26:27], v[46:47]
	s_wait_loadcnt_dscnt 0x700
	v_sub_f32_e32 v49, v57, v51
	ds_bpermute_b32 v51, v15, v42
	global_load_b32 v57, v[44:45], off
	s_wait_xcnt 0x0
	v_add_nc_u64_e32 v[44:45], s[26:27], v[44:45]
	s_wait_loadcnt 0x5
	v_mul_f32_e32 v49, v50, v49
	s_wait_dscnt 0x0
	s_delay_alu instid0(VALU_DEP_1)
	v_mul_f32_e32 v51, v49, v51
	ds_bpermute_b32 v49, v16, v43
	s_wait_dscnt 0x0
	v_sub_f32_e32 v49, v58, v49
	v_pk_add_f32 v[10:11], v[10:11], v[50:51]
	global_load_b32 v50, v[46:47], off
	ds_bpermute_b32 v51, v16, v42
	global_load_b32 v58, v[44:45], off
	s_wait_xcnt 0x1
	v_add_nc_u64_e32 v[46:47], s[26:27], v[46:47]
	s_wait_xcnt 0x0
	v_add_nc_u64_e32 v[44:45], s[26:27], v[44:45]
	s_wait_loadcnt 0x6
	v_mul_f32_e32 v49, v52, v49
	s_wait_dscnt 0x0
	s_delay_alu instid0(VALU_DEP_1)
	v_mul_f32_e32 v53, v49, v51
	ds_bpermute_b32 v49, v17, v43
	ds_bpermute_b32 v51, v17, v42
	s_wait_dscnt 0x1
	v_sub_f32_e32 v49, v59, v49
	v_pk_add_f32 v[10:11], v[10:11], v[52:53]
	global_load_b32 v52, v[46:47], off
	global_load_b32 v59, v[44:45], off
	s_wait_xcnt 0x1
	v_add_nc_u64_e32 v[46:47], s[26:27], v[46:47]
	s_wait_xcnt 0x0
	v_add_nc_u64_e32 v[44:45], s[26:27], v[44:45]
	s_wait_loadcnt 0x7
	v_mul_f32_e32 v49, v54, v49
	s_wait_dscnt 0x0
	s_delay_alu instid0(VALU_DEP_1)
	v_mul_f32_e32 v55, v49, v51
	ds_bpermute_b32 v49, v18, v43
	ds_bpermute_b32 v51, v18, v42
	s_wait_loadcnt_dscnt 0x601
	v_sub_f32_e32 v49, v56, v49
	v_pk_add_f32 v[10:11], v[10:11], v[54:55]
	global_load_b32 v54, v[46:47], off
	s_wait_xcnt 0x0
	v_add_nc_u64_e32 v[46:47], s[26:27], v[46:47]
	global_load_b32 v56, v[44:45], off
	s_wait_loadcnt 0x7
	v_mul_f32_e32 v49, v48, v49
	s_wait_xcnt 0x0
	v_add_nc_u64_e32 v[44:45], s[26:27], v[44:45]
	s_wait_dscnt 0x0
	s_delay_alu instid0(VALU_DEP_2)
	v_mul_f32_e32 v49, v49, v51
	ds_bpermute_b32 v51, v19, v43
	v_pk_add_f32 v[10:11], v[10:11], v[48:49]
	global_load_b32 v48, v[46:47], off
	s_wait_xcnt 0x0
	v_add_nc_u64_e32 v[46:47], s[26:27], v[46:47]
	s_wait_loadcnt_dscnt 0x700
	v_sub_f32_e32 v49, v57, v51
	ds_bpermute_b32 v51, v19, v42
	global_load_b32 v57, v[44:45], off
	s_wait_xcnt 0x0
	v_add_nc_u64_e32 v[44:45], s[26:27], v[44:45]
	s_wait_loadcnt 0x7
	v_mul_f32_e32 v49, v50, v49
	s_wait_dscnt 0x0
	s_delay_alu instid0(VALU_DEP_1)
	v_mul_f32_e32 v51, v49, v51
	ds_bpermute_b32 v49, v20, v43
	s_wait_loadcnt_dscnt 0x600
	v_sub_f32_e32 v49, v58, v49
	v_pk_add_f32 v[10:11], v[10:11], v[50:51]
	global_load_b32 v50, v[46:47], off
	ds_bpermute_b32 v51, v20, v42
	global_load_b32 v58, v[44:45], off
	s_wait_xcnt 0x1
	v_add_nc_u64_e32 v[46:47], s[26:27], v[46:47]
	s_wait_xcnt 0x0
	v_add_nc_u64_e32 v[44:45], s[26:27], v[44:45]
	s_wait_loadcnt 0x7
	v_mul_f32_e32 v49, v52, v49
	s_wait_dscnt 0x0
	s_delay_alu instid0(VALU_DEP_1)
	v_mul_f32_e32 v53, v49, v51
	ds_bpermute_b32 v49, v21, v43
	ds_bpermute_b32 v51, v21, v42
	s_wait_loadcnt_dscnt 0x601
	v_sub_f32_e32 v49, v59, v49
	v_pk_add_f32 v[10:11], v[10:11], v[52:53]
	global_load_b32 v52, v[46:47], off
	global_load_b32 v59, v[44:45], off
	s_wait_xcnt 0x1
	v_add_nc_u64_e32 v[46:47], s[26:27], v[46:47]
	s_wait_xcnt 0x0
	v_add_nc_u64_e32 v[44:45], s[26:27], v[44:45]
	s_wait_loadcnt 0x7
	v_mul_f32_e32 v49, v54, v49
	s_wait_dscnt 0x0
	s_delay_alu instid0(VALU_DEP_1)
	v_mul_f32_e32 v55, v49, v51
	ds_bpermute_b32 v49, v22, v43
	ds_bpermute_b32 v51, v22, v42
	s_wait_loadcnt_dscnt 0x601
	v_sub_f32_e32 v49, v56, v49
	v_pk_add_f32 v[10:11], v[10:11], v[54:55]
	global_load_b32 v54, v[46:47], off
	s_wait_xcnt 0x0
	v_add_nc_u64_e32 v[46:47], s[26:27], v[46:47]
	global_load_b32 v56, v[44:45], off
	s_wait_loadcnt 0x7
	v_mul_f32_e32 v49, v48, v49
	s_wait_xcnt 0x0
	v_add_nc_u64_e32 v[44:45], s[26:27], v[44:45]
	s_wait_dscnt 0x0
	s_delay_alu instid0(VALU_DEP_2)
	v_mul_f32_e32 v49, v49, v51
	ds_bpermute_b32 v51, v23, v43
	v_pk_add_f32 v[10:11], v[10:11], v[48:49]
	global_load_b32 v48, v[46:47], off
	s_wait_xcnt 0x0
	v_add_nc_u64_e32 v[46:47], s[26:27], v[46:47]
	s_wait_loadcnt_dscnt 0x700
	v_sub_f32_e32 v49, v57, v51
	ds_bpermute_b32 v51, v23, v42
	global_load_b32 v57, v[44:45], off
	s_wait_xcnt 0x0
	v_add_nc_u64_e32 v[44:45], s[26:27], v[44:45]
	s_wait_loadcnt 0x7
	v_mul_f32_e32 v49, v50, v49
	s_wait_dscnt 0x0
	s_delay_alu instid0(VALU_DEP_1)
	v_mul_f32_e32 v51, v49, v51
	ds_bpermute_b32 v49, v24, v43
	s_wait_loadcnt_dscnt 0x600
	v_sub_f32_e32 v49, v58, v49
	v_pk_add_f32 v[10:11], v[10:11], v[50:51]
	global_load_b32 v50, v[46:47], off
	ds_bpermute_b32 v51, v24, v42
	global_load_b32 v58, v[44:45], off
	s_wait_xcnt 0x1
	v_add_nc_u64_e32 v[46:47], s[26:27], v[46:47]
	s_wait_xcnt 0x0
	v_add_nc_u64_e32 v[44:45], s[26:27], v[44:45]
	s_wait_loadcnt 0x7
	v_mul_f32_e32 v49, v52, v49
	s_wait_dscnt 0x0
	s_delay_alu instid0(VALU_DEP_1)
	v_mul_f32_e32 v53, v49, v51
	ds_bpermute_b32 v49, v25, v43
	ds_bpermute_b32 v51, v25, v42
	s_wait_loadcnt_dscnt 0x601
	v_sub_f32_e32 v49, v59, v49
	v_pk_add_f32 v[10:11], v[10:11], v[52:53]
	global_load_b32 v52, v[46:47], off
	global_load_b32 v59, v[44:45], off
	s_wait_xcnt 0x1
	v_add_nc_u64_e32 v[46:47], s[26:27], v[46:47]
	s_wait_xcnt 0x0
	v_add_nc_u64_e32 v[44:45], s[26:27], v[44:45]
	s_wait_loadcnt 0x7
	v_mul_f32_e32 v49, v54, v49
	s_wait_dscnt 0x0
	s_delay_alu instid0(VALU_DEP_1)
	v_mul_f32_e32 v55, v49, v51
	ds_bpermute_b32 v49, v26, v43
	ds_bpermute_b32 v51, v26, v42
	s_wait_loadcnt_dscnt 0x601
	v_sub_f32_e32 v49, v56, v49
	v_pk_add_f32 v[10:11], v[10:11], v[54:55]
	global_load_b32 v54, v[46:47], off
	s_wait_xcnt 0x0
	v_add_nc_u64_e32 v[46:47], s[26:27], v[46:47]
	global_load_b32 v56, v[44:45], off
	s_wait_loadcnt 0x7
	v_mul_f32_e32 v49, v48, v49
	s_wait_xcnt 0x0
	v_add_nc_u64_e32 v[44:45], s[26:27], v[44:45]
	s_wait_dscnt 0x0
	s_delay_alu instid0(VALU_DEP_2)
	v_mul_f32_e32 v49, v49, v51
	ds_bpermute_b32 v51, v27, v43
	v_pk_add_f32 v[10:11], v[10:11], v[48:49]
	global_load_b32 v48, v[46:47], off
	s_wait_xcnt 0x0
	v_add_nc_u64_e32 v[46:47], s[26:27], v[46:47]
	s_wait_loadcnt_dscnt 0x700
	v_sub_f32_e32 v49, v57, v51
	ds_bpermute_b32 v51, v27, v42
	global_load_b32 v57, v[44:45], off
	s_wait_xcnt 0x0
	v_add_nc_u64_e32 v[44:45], s[26:27], v[44:45]
	s_wait_loadcnt 0x7
	v_mul_f32_e32 v49, v50, v49
	s_wait_dscnt 0x0
	s_delay_alu instid0(VALU_DEP_1)
	v_mul_f32_e32 v51, v49, v51
	ds_bpermute_b32 v49, v28, v43
	s_wait_loadcnt_dscnt 0x600
	v_sub_f32_e32 v49, v58, v49
	v_pk_add_f32 v[10:11], v[10:11], v[50:51]
	ds_bpermute_b32 v51, v28, v42
	global_load_b32 v50, v[46:47], off
	s_wait_xcnt 0x0
	v_add_nc_u64_e32 v[46:47], s[26:27], v[46:47]
	global_load_b32 v58, v[44:45], off
	s_wait_xcnt 0x0
	v_add_nc_u64_e32 v[44:45], s[26:27], v[44:45]
	s_wait_loadcnt 0x7
	v_mul_f32_e32 v49, v52, v49
	s_wait_dscnt 0x0
	s_delay_alu instid0(VALU_DEP_1)
	v_mul_f32_e32 v53, v49, v51
	ds_bpermute_b32 v49, v29, v43
	ds_bpermute_b32 v51, v29, v42
	s_wait_loadcnt_dscnt 0x601
	v_sub_f32_e32 v49, v59, v49
	v_pk_add_f32 v[10:11], v[10:11], v[52:53]
	global_load_b32 v52, v[46:47], off
	s_wait_xcnt 0x0
	v_add_nc_u64_e32 v[46:47], s[26:27], v[46:47]
	ds_bpermute_b32 v53, v31, v42
	s_wait_loadcnt 0x6
	v_mul_f32_e32 v49, v54, v49
	s_wait_dscnt 0x1
	s_delay_alu instid0(VALU_DEP_1)
	v_mul_f32_e32 v55, v49, v51
	ds_bpermute_b32 v49, v30, v43
	ds_bpermute_b32 v51, v30, v42
	s_wait_loadcnt_dscnt 0x501
	v_sub_f32_e32 v49, v56, v49
	global_load_b32 v56, v[44:45], off
	v_pk_add_f32 v[10:11], v[10:11], v[54:55]
	global_load_b32 v54, v[46:47], off
	s_wait_xcnt 0x1
	v_add_nc_u64_e32 v[44:45], s[26:27], v[44:45]
	s_wait_loadcnt 0x6
	v_mul_f32_e32 v49, v48, v49
	s_wait_xcnt 0x0
	v_add_nc_u64_e32 v[46:47], s[26:27], v[46:47]
	s_wait_dscnt 0x0
	s_delay_alu instid0(VALU_DEP_2)
	v_mul_f32_e32 v49, v49, v51
	ds_bpermute_b32 v51, v31, v43
	v_pk_add_f32 v[10:11], v[10:11], v[48:49]
	global_load_b32 v48, v[46:47], off
	s_wait_xcnt 0x0
	v_add_nc_u64_e32 v[46:47], s[26:27], v[46:47]
	s_wait_loadcnt_dscnt 0x600
	v_sub_f32_e32 v51, v57, v51
	global_load_b32 v57, v[44:45], off
	s_wait_xcnt 0x0
	v_add_nc_u64_e32 v[44:45], s[26:27], v[44:45]
	s_wait_loadcnt 0x6
	v_mul_f32_e32 v49, v50, v51
	s_delay_alu instid0(VALU_DEP_1)
	v_mul_f32_e32 v51, v49, v53
	ds_bpermute_b32 v49, v32, v43
	ds_bpermute_b32 v53, v32, v42
	s_wait_loadcnt_dscnt 0x501
	v_sub_f32_e32 v49, v58, v49
	global_load_b32 v58, v[44:45], off
	s_wait_xcnt 0x0
	v_add_nc_u64_e32 v[44:45], s[26:27], v[44:45]
	s_wait_loadcnt 0x5
	v_mul_f32_e32 v49, v52, v49
	s_wait_dscnt 0x0
	s_delay_alu instid0(VALU_DEP_1)
	v_mul_f32_e32 v53, v49, v53
	v_pk_add_f32 v[10:11], v[10:11], v[50:51]
	global_load_b32 v50, v[46:47], off
	global_load_b32 v51, v[44:45], off
	ds_bpermute_b32 v49, v33, v43
	s_wait_xcnt 0x0
	v_add_nc_u64_e32 v[44:45], s[26:27], v[44:45]
	v_pk_add_f32 v[10:11], v[10:11], v[52:53]
	ds_bpermute_b32 v53, v33, v42
	v_add_nc_u64_e32 v[46:47], s[26:27], v[46:47]
	global_load_b32 v59, v[44:45], off
	s_wait_xcnt 0x0
	v_add_nc_u64_e32 v[44:45], s[26:27], v[44:45]
	global_load_b32 v52, v[46:47], off
	s_wait_xcnt 0x0
	v_add_nc_u64_e32 v[46:47], s[26:27], v[46:47]
	global_load_b32 v60, v[44:45], off
	s_wait_loadcnt_dscnt 0x901
	v_sub_f32_e32 v49, v56, v49
	s_wait_loadcnt 0x8
	s_delay_alu instid0(VALU_DEP_1) | instskip(SKIP_1) | instid1(VALU_DEP_1)
	v_mul_f32_e32 v49, v54, v49
	s_wait_dscnt 0x0
	v_mul_f32_e32 v55, v49, v53
	ds_bpermute_b32 v49, v34, v43
	ds_bpermute_b32 v53, v34, v42
	s_wait_loadcnt_dscnt 0x601
	v_sub_f32_e32 v49, v57, v49
	s_delay_alu instid0(VALU_DEP_1) | instskip(SKIP_1) | instid1(VALU_DEP_1)
	v_mul_f32_e32 v49, v48, v49
	s_wait_dscnt 0x0
	v_mul_f32_e32 v49, v49, v53
	v_pk_add_f32 v[10:11], v[10:11], v[54:55]
	v_add_nc_u64_e32 v[54:55], s[26:27], v[44:45]
	ds_bpermute_b32 v53, v35, v43
	v_pk_add_f32 v[10:11], v[10:11], v[48:49]
	ds_bpermute_b32 v49, v35, v42
	v_add_nc_u64_e32 v[56:57], s[26:27], v[54:55]
	global_load_b32 v61, v[54:55], off
	global_load_b32 v62, v[56:57], off
	s_wait_xcnt 0x2
	v_add_nc_u64_e32 v[44:45], s[26:27], v[56:57]
	global_load_b32 v57, v[44:45], off
	s_wait_xcnt 0x0
	ds_bpermute_b32 v45, v36, v43
	global_load_b32 v44, v[46:47], off
	s_wait_xcnt 0x0
	v_add_nc_u64_e32 v[46:47], s[26:27], v[46:47]
	s_wait_loadcnt_dscnt 0x902
	v_sub_f32_e32 v48, v58, v53
	ds_bpermute_b32 v53, v36, v42
	s_wait_loadcnt_dscnt 0x701
	v_dual_mul_f32 v48, v50, v48 :: v_dual_sub_f32 v45, v51, v45
	s_delay_alu instid0(VALU_DEP_1)
	v_mul_f32_e32 v51, v48, v49
	v_add_nc_u64_e32 v[48:49], s[26:27], v[46:47]
	global_load_b32 v46, v[46:47], off
	s_wait_xcnt 0x0
	ds_bpermute_b32 v47, v37, v42
	v_pk_add_f32 v[10:11], v[10:11], v[50:51]
	v_add_nc_u64_e32 v[50:51], s[26:27], v[48:49]
	global_load_b32 v48, v[48:49], off
	s_wait_loadcnt 0x7
	v_mul_f32_e32 v45, v52, v45
	s_wait_xcnt 0x0
	ds_bpermute_b32 v49, v38, v43
	v_add_nc_u64_e32 v[54:55], s[26:27], v[50:51]
	global_load_b32 v56, v[50:51], off
	global_load_b32 v58, v[54:55], off
	s_wait_dscnt 0x2
	v_mul_f32_e32 v53, v45, v53
	ds_bpermute_b32 v45, v37, v43
	s_wait_xcnt 0x1
	ds_bpermute_b32 v50, v38, v42
	ds_bpermute_b32 v51, v40, v42
	v_pk_add_f32 v[10:11], v[10:11], v[52:53]
	s_wait_loadcnt_dscnt 0x803
	v_sub_f32_e32 v49, v60, v49
	s_wait_dscnt 0x2
	v_sub_f32_e32 v45, v59, v45
	s_wait_loadcnt 0x4
	s_delay_alu instid0(VALU_DEP_1) | instskip(NEXT) | instid1(VALU_DEP_1)
	v_mul_f32_e32 v45, v44, v45
	v_mul_f32_e32 v45, v45, v47
	ds_bpermute_b32 v47, v39, v43
	v_pk_add_f32 v[10:11], v[10:11], v[44:45]
	ds_bpermute_b32 v44, v40, v43
	ds_bpermute_b32 v45, v39, v42
	ds_bpermute_b32 v43, v41, v43
	ds_bpermute_b32 v42, v41, v42
	s_wait_dscnt 0x3
	v_dual_sub_f32 v52, v61, v47 :: v_dual_sub_f32 v44, v62, v44
	s_wait_loadcnt_dscnt 0x301
	v_dual_sub_f32 v43, v57, v43 :: v_dual_mul_f32 v49, v46, v49
	s_wait_loadcnt 0x2
	s_delay_alu instid0(VALU_DEP_1) | instskip(NEXT) | instid1(VALU_DEP_1)
	v_dual_mul_f32 v47, v49, v50 :: v_dual_mul_f32 v49, v48, v52
	v_pk_add_f32 v[10:11], v[10:11], v[46:47]
	s_delay_alu instid0(VALU_DEP_2) | instskip(NEXT) | instid1(VALU_DEP_1)
	v_mul_f32_e32 v49, v49, v45
	v_pk_add_f32 v[10:11], v[10:11], v[48:49]
	s_wait_loadcnt 0x0
	v_dual_mul_f32 v44, v56, v44 :: v_dual_mul_f32 v43, v58, v43
	s_wait_dscnt 0x0
	s_delay_alu instid0(VALU_DEP_1) | instskip(NEXT) | instid1(VALU_DEP_1)
	v_dual_mul_f32 v57, v44, v51 :: v_dual_mul_f32 v59, v43, v42
	v_pk_add_f32 v[10:11], v[10:11], v[56:57]
	s_delay_alu instid0(VALU_DEP_1)
	v_pk_add_f32 v[10:11], v[10:11], v[58:59]
	s_cbranch_vccz .LBB60_8
.LBB60_6:                               ; =>This Inner Loop Header: Depth=1
	v_dual_mov_b32 v42, 0 :: v_dual_mov_b32 v43, 0
	s_mov_b32 s28, exec_lo
	v_cmpx_gt_i64_e64 s[12:13], v[4:5]
	s_cbranch_execz .LBB60_5
; %bb.7:                                ;   in Loop: Header=BB60_6 Depth=1
	v_add_nc_u64_e32 v[44:45], s[8:9], v[8:9]
	v_add_nc_u64_e32 v[46:47], s[10:11], v[8:9]
	global_load_b32 v43, v[44:45], off
	global_load_b32 v42, v[46:47], off
	s_branch .LBB60_5
.LBB60_8:
	v_mov_b32_e32 v2, v1
	s_mov_b64 s[4:5], s[18:19]
.LBB60_9:
	s_load_b128 s[0:3], s[0:1], 0x30
	s_nop 0
	s_load_u16 s4, s[4:5], 0xe
	v_mov_b32_e32 v1, 0
	s_delay_alu instid0(VALU_DEP_1) | instskip(SKIP_1) | instid1(VALU_DEP_1)
	v_mov_b32_e32 v3, v1
	s_wait_kmcnt 0x0
	v_mad_nc_u64_u32 v[2:3], s4, s17, v[2:3]
	s_mov_b32 s17, 0
	s_delay_alu instid0(SALU_CYCLE_1) | instskip(SKIP_2) | instid1(VALU_DEP_2)
	s_lshl_b64 s[4:5], s[16:17], 5
	s_cmp_eq_u64 s[0:1], 0
	v_add_nc_u64_e32 v[0:1], s[4:5], v[0:1]
	v_mul_u64_e32 v[2:3], s[14:15], v[2:3]
	s_cbranch_scc1 .LBB60_11
; %bb.10:
	s_delay_alu instid0(VALU_DEP_1) | instskip(NEXT) | instid1(VALU_DEP_1)
	v_lshl_add_u64 v[4:5], v[2:3], 2, s[0:1]
	v_lshl_add_u64 v[4:5], v[0:1], 2, v[4:5]
	global_store_b32 v[4:5], v11, off
.LBB60_11:
	s_cmp_eq_u64 s[2:3], 0
	s_cbranch_scc1 .LBB60_13
; %bb.12:
	s_delay_alu instid0(VALU_DEP_1) | instskip(NEXT) | instid1(VALU_DEP_1)
	v_lshl_add_u64 v[2:3], v[2:3], 2, s[2:3]
	v_lshl_add_u64 v[0:1], v[0:1], 2, v[2:3]
	global_store_b32 v[0:1], v10, off
.LBB60_13:
	s_endpgm
	.section	.rodata,"a",@progbits
	.p2align	6, 0x0
	.amdhsa_kernel _ZN2at6native12_GLOBAL__N_135GammaBetaBackwardCUDAKernelTemplateIffLj32ELj1ELj32ELb1ELb1ELb0EEEvllPKT_S5_PKT0_S8_PS3_S9_
		.amdhsa_group_segment_fixed_size 0
		.amdhsa_private_segment_fixed_size 0
		.amdhsa_kernarg_size 320
		.amdhsa_user_sgpr_count 2
		.amdhsa_user_sgpr_dispatch_ptr 0
		.amdhsa_user_sgpr_queue_ptr 0
		.amdhsa_user_sgpr_kernarg_segment_ptr 1
		.amdhsa_user_sgpr_dispatch_id 0
		.amdhsa_user_sgpr_kernarg_preload_length 0
		.amdhsa_user_sgpr_kernarg_preload_offset 0
		.amdhsa_user_sgpr_private_segment_size 0
		.amdhsa_wavefront_size32 1
		.amdhsa_uses_dynamic_stack 0
		.amdhsa_enable_private_segment 0
		.amdhsa_system_sgpr_workgroup_id_x 1
		.amdhsa_system_sgpr_workgroup_id_y 1
		.amdhsa_system_sgpr_workgroup_id_z 0
		.amdhsa_system_sgpr_workgroup_info 0
		.amdhsa_system_vgpr_workitem_id 1
		.amdhsa_next_free_vgpr 63
		.amdhsa_next_free_sgpr 29
		.amdhsa_named_barrier_count 0
		.amdhsa_reserve_vcc 1
		.amdhsa_float_round_mode_32 0
		.amdhsa_float_round_mode_16_64 0
		.amdhsa_float_denorm_mode_32 3
		.amdhsa_float_denorm_mode_16_64 3
		.amdhsa_fp16_overflow 0
		.amdhsa_memory_ordered 1
		.amdhsa_forward_progress 1
		.amdhsa_inst_pref_size 29
		.amdhsa_round_robin_scheduling 0
		.amdhsa_exception_fp_ieee_invalid_op 0
		.amdhsa_exception_fp_denorm_src 0
		.amdhsa_exception_fp_ieee_div_zero 0
		.amdhsa_exception_fp_ieee_overflow 0
		.amdhsa_exception_fp_ieee_underflow 0
		.amdhsa_exception_fp_ieee_inexact 0
		.amdhsa_exception_int_div_zero 0
	.end_amdhsa_kernel
	.section	.text._ZN2at6native12_GLOBAL__N_135GammaBetaBackwardCUDAKernelTemplateIffLj32ELj1ELj32ELb1ELb1ELb0EEEvllPKT_S5_PKT0_S8_PS3_S9_,"axG",@progbits,_ZN2at6native12_GLOBAL__N_135GammaBetaBackwardCUDAKernelTemplateIffLj32ELj1ELj32ELb1ELb1ELb0EEEvllPKT_S5_PKT0_S8_PS3_S9_,comdat
.Lfunc_end60:
	.size	_ZN2at6native12_GLOBAL__N_135GammaBetaBackwardCUDAKernelTemplateIffLj32ELj1ELj32ELb1ELb1ELb0EEEvllPKT_S5_PKT0_S8_PS3_S9_, .Lfunc_end60-_ZN2at6native12_GLOBAL__N_135GammaBetaBackwardCUDAKernelTemplateIffLj32ELj1ELj32ELb1ELb1ELb0EEEvllPKT_S5_PKT0_S8_PS3_S9_
                                        ; -- End function
	.set _ZN2at6native12_GLOBAL__N_135GammaBetaBackwardCUDAKernelTemplateIffLj32ELj1ELj32ELb1ELb1ELb0EEEvllPKT_S5_PKT0_S8_PS3_S9_.num_vgpr, 63
	.set _ZN2at6native12_GLOBAL__N_135GammaBetaBackwardCUDAKernelTemplateIffLj32ELj1ELj32ELb1ELb1ELb0EEEvllPKT_S5_PKT0_S8_PS3_S9_.num_agpr, 0
	.set _ZN2at6native12_GLOBAL__N_135GammaBetaBackwardCUDAKernelTemplateIffLj32ELj1ELj32ELb1ELb1ELb0EEEvllPKT_S5_PKT0_S8_PS3_S9_.numbered_sgpr, 29
	.set _ZN2at6native12_GLOBAL__N_135GammaBetaBackwardCUDAKernelTemplateIffLj32ELj1ELj32ELb1ELb1ELb0EEEvllPKT_S5_PKT0_S8_PS3_S9_.num_named_barrier, 0
	.set _ZN2at6native12_GLOBAL__N_135GammaBetaBackwardCUDAKernelTemplateIffLj32ELj1ELj32ELb1ELb1ELb0EEEvllPKT_S5_PKT0_S8_PS3_S9_.private_seg_size, 0
	.set _ZN2at6native12_GLOBAL__N_135GammaBetaBackwardCUDAKernelTemplateIffLj32ELj1ELj32ELb1ELb1ELb0EEEvllPKT_S5_PKT0_S8_PS3_S9_.uses_vcc, 1
	.set _ZN2at6native12_GLOBAL__N_135GammaBetaBackwardCUDAKernelTemplateIffLj32ELj1ELj32ELb1ELb1ELb0EEEvllPKT_S5_PKT0_S8_PS3_S9_.uses_flat_scratch, 0
	.set _ZN2at6native12_GLOBAL__N_135GammaBetaBackwardCUDAKernelTemplateIffLj32ELj1ELj32ELb1ELb1ELb0EEEvllPKT_S5_PKT0_S8_PS3_S9_.has_dyn_sized_stack, 0
	.set _ZN2at6native12_GLOBAL__N_135GammaBetaBackwardCUDAKernelTemplateIffLj32ELj1ELj32ELb1ELb1ELb0EEEvllPKT_S5_PKT0_S8_PS3_S9_.has_recursion, 0
	.set _ZN2at6native12_GLOBAL__N_135GammaBetaBackwardCUDAKernelTemplateIffLj32ELj1ELj32ELb1ELb1ELb0EEEvllPKT_S5_PKT0_S8_PS3_S9_.has_indirect_call, 0
	.section	.AMDGPU.csdata,"",@progbits
; Kernel info:
; codeLenInByte = 3664
; TotalNumSgprs: 31
; NumVgprs: 63
; ScratchSize: 0
; MemoryBound: 0
; FloatMode: 240
; IeeeMode: 1
; LDSByteSize: 0 bytes/workgroup (compile time only)
; SGPRBlocks: 0
; VGPRBlocks: 3
; NumSGPRsForWavesPerEU: 31
; NumVGPRsForWavesPerEU: 63
; NamedBarCnt: 0
; Occupancy: 16
; WaveLimiterHint : 0
; COMPUTE_PGM_RSRC2:SCRATCH_EN: 0
; COMPUTE_PGM_RSRC2:USER_SGPR: 2
; COMPUTE_PGM_RSRC2:TRAP_HANDLER: 0
; COMPUTE_PGM_RSRC2:TGID_X_EN: 1
; COMPUTE_PGM_RSRC2:TGID_Y_EN: 1
; COMPUTE_PGM_RSRC2:TGID_Z_EN: 0
; COMPUTE_PGM_RSRC2:TIDIG_COMP_CNT: 1
	.section	.text._ZN2at6native12_GLOBAL__N_135GammaBetaBackwardCUDAKernelTemplateIffLj32ELj1ELj32ELb1ELb0ELb0EEEvllPKT_S5_PKT0_S8_PS3_S9_,"axG",@progbits,_ZN2at6native12_GLOBAL__N_135GammaBetaBackwardCUDAKernelTemplateIffLj32ELj1ELj32ELb1ELb0ELb0EEEvllPKT_S5_PKT0_S8_PS3_S9_,comdat
	.globl	_ZN2at6native12_GLOBAL__N_135GammaBetaBackwardCUDAKernelTemplateIffLj32ELj1ELj32ELb1ELb0ELb0EEEvllPKT_S5_PKT0_S8_PS3_S9_ ; -- Begin function _ZN2at6native12_GLOBAL__N_135GammaBetaBackwardCUDAKernelTemplateIffLj32ELj1ELj32ELb1ELb0ELb0EEEvllPKT_S5_PKT0_S8_PS3_S9_
	.p2align	8
	.type	_ZN2at6native12_GLOBAL__N_135GammaBetaBackwardCUDAKernelTemplateIffLj32ELj1ELj32ELb1ELb0ELb0EEEvllPKT_S5_PKT0_S8_PS3_S9_,@function
_ZN2at6native12_GLOBAL__N_135GammaBetaBackwardCUDAKernelTemplateIffLj32ELj1ELj32ELb1ELb0ELb0EEEvllPKT_S5_PKT0_S8_PS3_S9_: ; @_ZN2at6native12_GLOBAL__N_135GammaBetaBackwardCUDAKernelTemplateIffLj32ELj1ELj32ELb1ELb0ELb0EEEvllPKT_S5_PKT0_S8_PS3_S9_
; %bb.0:
	s_load_b256 s[4:11], s[0:1], 0x0
	s_bfe_u32 s3, ttmp6, 0x4000c
	s_bfe_u32 s12, ttmp6, 0x40010
	s_add_co_i32 s3, s3, 1
	s_add_co_i32 s12, s12, 1
	s_and_b32 s2, ttmp6, 15
	s_bfe_u32 s13, ttmp6, 0x40004
	s_mul_i32 s3, ttmp9, s3
	s_mul_i32 s12, ttmp7, s12
	s_getreg_b32 s14, hwreg(HW_REG_IB_STS2, 6, 4)
	s_add_co_i32 s2, s2, s3
	s_add_co_i32 s3, s13, s12
	s_cmp_eq_u32 s14, 0
	s_mov_b32 s19, 0
	s_cselect_b32 s16, ttmp9, s2
	s_cselect_b32 s33, ttmp7, s3
	s_lshl_b32 s3, s16, 5
	s_load_b128 s[12:15], s[0:1], 0x20
	s_or_b32 s18, s3, 31
	s_wait_kmcnt 0x0
	v_cmp_le_i64_e64 s2, s[6:7], s[18:19]
	s_lshl_b32 s18, s33, 5
	s_delay_alu instid0(SALU_CYCLE_1) | instskip(SKIP_2) | instid1(VALU_DEP_1)
	v_cmp_gt_i64_e64 s17, s[4:5], s[18:19]
	s_and_b32 vcc_lo, exec_lo, s2
	v_cndmask_b32_e64 v1, 0, 1, s17
	v_cmp_ne_u32_e64 s2, 1, v1
	s_cbranch_vccz .LBB61_140
; %bb.1:
	v_mov_b32_e32 v37, 0
	s_and_b32 vcc_lo, exec_lo, s2
	s_delay_alu instid0(VALU_DEP_1)
	v_mov_b32_e32 v36, v37
	s_cbranch_vccnz .LBB61_141
; %bb.2:
	v_bfe_u32 v1, v0, 10, 10
	v_mov_b32_e32 v2, 0
	v_and_b32_e32 v174, 0x3ff, v0
	s_load_b32 s20, s[0:1], 0x44
	s_mov_b32 s21, 0
	s_delay_alu instid0(VALU_DEP_2) | instskip(NEXT) | instid1(VALU_DEP_2)
	v_dual_mov_b32 v39, v2 :: v_dual_lshlrev_b32 v38, 5, v1
	v_dual_mov_b32 v7, v2 :: v_dual_add_nc_u32 v6, s3, v174
	s_mov_b32 s25, s21
	s_add_nc_u64 s[22:23], s[0:1], 64
	s_delay_alu instid0(VALU_DEP_2) | instskip(SKIP_2) | instid1(VALU_DEP_1)
	v_add_nc_u64_e32 v[4:5], s[18:19], v[38:39]
	s_mov_b64 s[28:29], 31
	s_mov_b64 s[30:31], s[18:19]
	v_mul_u64_e32 v[8:9], s[6:7], v[4:5]
	v_add_nc_u64_e32 v[10:11], 31, v[4:5]
	v_add_nc_u64_e32 v[12:13], 30, v[4:5]
	;; [unrolled: 1-line block ×7, first 2 shown]
	v_mul_u64_e32 v[10:11], s[6:7], v[10:11]
	v_mul_u64_e32 v[12:13], s[6:7], v[12:13]
	;; [unrolled: 1-line block ×6, first 2 shown]
	v_add_nc_u64_e32 v[18:19], 27, v[4:5]
	v_add_nc_u64_e32 v[22:23], 25, v[4:5]
	;; [unrolled: 1-line block ×3, first 2 shown]
	v_mul_u64_e32 v[28:29], s[6:7], v[28:29]
	v_add_nc_u64_e32 v[30:31], 20, v[4:5]
	v_add_nc_u64_e32 v[34:35], 18, v[4:5]
	;; [unrolled: 1-line block ×3, first 2 shown]
	v_mul_u64_e32 v[18:19], s[6:7], v[18:19]
	v_mul_u64_e32 v[22:23], s[6:7], v[22:23]
	;; [unrolled: 1-line block ×3, first 2 shown]
	s_wait_kmcnt 0x0
	s_lshl_b32 s24, s20, 5
	v_mul_u64_e32 v[30:31], s[6:7], v[30:31]
	v_mul_u64_e32 v[34:35], s[6:7], v[34:35]
	;; [unrolled: 1-line block ×3, first 2 shown]
	s_mul_u64 s[26:27], s[6:7], s[24:25]
	s_delay_alu instid0(SALU_CYCLE_1) | instskip(SKIP_2) | instid1(VALU_DEP_2)
	s_lshl_b64 s[26:27], s[26:27], 2
	v_lshlrev_b64_e32 v[36:37], 2, v[8:9]
	v_add_nc_u64_e32 v[8:9], s[6:7], v[8:9]
	v_add_nc_u64_e32 v[42:43], s[8:9], v[36:37]
	;; [unrolled: 1-line block ×3, first 2 shown]
	v_mov_b32_e32 v37, v2
	v_cmp_gt_i64_e64 s2, s[6:7], v[6:7]
	v_lshlrev_b64_e32 v[40:41], 2, v[6:7]
	v_add_nc_u64_e32 v[6:7], 24, v[4:5]
	v_lshlrev_b64_e32 v[10:11], 2, v[10:11]
	v_lshlrev_b64_e32 v[12:13], 2, v[12:13]
	;; [unrolled: 1-line block ×5, first 2 shown]
	v_mov_b32_e32 v36, v2
	v_mul_u64_e32 v[6:7], s[6:7], v[6:7]
	v_add_nc_u64_e32 v[46:47], s[8:9], v[10:11]
	v_add_nc_u64_e32 v[48:49], s[10:11], v[10:11]
	;; [unrolled: 1-line block ×9, first 2 shown]
	v_lshlrev_b64_e32 v[12:13], 2, v[24:25]
	v_mul_u64_e32 v[10:11], s[6:7], v[10:11]
	v_add_nc_u64_e32 v[14:15], 16, v[4:5]
	v_lshlrev_b64_e32 v[16:17], 2, v[26:27]
	v_lshlrev_b64_e32 v[18:19], 2, v[18:19]
	;; [unrolled: 1-line block ×3, first 2 shown]
	v_add_nc_u64_e32 v[24:25], 11, v[4:5]
	v_add_nc_u64_e32 v[78:79], s[8:9], v[12:13]
	;; [unrolled: 1-line block ×3, first 2 shown]
	v_mul_u64_e32 v[12:13], s[6:7], v[14:15]
	v_add_nc_u64_e32 v[82:83], s[8:9], v[16:17]
	v_add_nc_u64_e32 v[84:85], s[10:11], v[16:17]
	;; [unrolled: 1-line block ×8, first 2 shown]
	v_lshlrev_b64_e32 v[18:19], 2, v[30:31]
	v_mul_u64_e32 v[16:17], s[6:7], v[16:17]
	v_lshlrev_b64_e32 v[22:23], 2, v[34:35]
	v_add_nc_u64_e32 v[26:27], 9, v[4:5]
	v_lshlrev_b64_e32 v[6:7], 2, v[6:7]
	v_lshlrev_b64_e32 v[20:21], 2, v[20:21]
	v_mul_u64_e32 v[14:15], s[6:7], v[14:15]
	v_add_nc_u64_e32 v[90:91], s[8:9], v[18:19]
	v_add_nc_u64_e32 v[92:93], s[10:11], v[18:19]
	;; [unrolled: 1-line block ×6, first 2 shown]
	v_lshlrev_b64_e32 v[6:7], 2, v[28:29]
	v_mul_u64_e32 v[24:25], s[6:7], v[24:25]
	v_lshlrev_b64_e32 v[10:11], 2, v[10:11]
	v_add_nc_u64_e32 v[28:29], 8, v[4:5]
	v_add_nc_u64_e32 v[100:101], s[10:11], v[22:23]
	v_mul_u64_e32 v[22:23], s[6:7], v[26:27]
	v_add_nc_u64_e32 v[26:27], 6, v[4:5]
	v_add_nc_u64_e32 v[86:87], s[8:9], v[6:7]
	;; [unrolled: 1-line block ×3, first 2 shown]
	v_lshlrev_b64_e32 v[6:7], 2, v[32:33]
	v_add_nc_u64_e32 v[66:67], s[8:9], v[20:21]
	v_add_nc_u64_e32 v[68:69], s[10:11], v[20:21]
	;; [unrolled: 1-line block ×3, first 2 shown]
	v_mul_u64_e32 v[18:19], s[6:7], v[18:19]
	v_add_nc_u64_e32 v[30:31], 7, v[4:5]
	v_lshlrev_b64_e32 v[12:13], 2, v[12:13]
	v_add_nc_u64_e32 v[94:95], s[8:9], v[6:7]
	v_add_nc_u64_e32 v[96:97], s[10:11], v[6:7]
	;; [unrolled: 1-line block ×3, first 2 shown]
	v_mul_u64_e32 v[28:29], s[6:7], v[28:29]
	v_add_nc_u64_e32 v[102:103], s[8:9], v[10:11]
	v_add_nc_u64_e32 v[32:33], 5, v[4:5]
	v_add_nc_u64_e32 v[104:105], s[10:11], v[10:11]
	v_mul_u64_e32 v[10:11], s[6:7], v[26:27]
	v_add_nc_u64_e32 v[26:27], 4, v[4:5]
	v_mul_u64_e32 v[6:7], s[6:7], v[6:7]
	v_add_nc_u64_e32 v[34:35], 3, v[4:5]
	v_add_nc_u64_e32 v[4:5], 2, v[4:5]
	v_mul_u64_e32 v[20:21], s[6:7], v[20:21]
	v_mul_u64_e32 v[30:31], s[6:7], v[30:31]
	v_add_nc_u64_e32 v[106:107], s[8:9], v[12:13]
	v_mul_u64_e32 v[32:33], s[6:7], v[32:33]
	v_add_nc_u64_e32 v[108:109], s[10:11], v[12:13]
	v_lshlrev_b64_e32 v[12:13], 2, v[16:17]
	v_mul_u64_e32 v[16:17], s[6:7], v[26:27]
	v_mul_u64_e32 v[26:27], s[6:7], v[34:35]
	v_mul_u64_e32 v[4:5], s[6:7], v[4:5]
	v_lshlrev_b64_e32 v[14:15], 2, v[14:15]
	v_add_nc_u64_e32 v[166:167], s[8:9], v[8:9]
	v_add_nc_u64_e32 v[168:169], s[10:11], v[8:9]
	;; [unrolled: 1-line block ×4, first 2 shown]
	v_lshlrev_b64_e32 v[12:13], 2, v[24:25]
	v_add_nc_u64_e32 v[110:111], s[8:9], v[14:15]
	v_add_nc_u64_e32 v[112:113], s[10:11], v[14:15]
	v_lshlrev_b64_e32 v[14:15], 2, v[18:19]
	s_delay_alu instid0(VALU_DEP_4) | instskip(SKIP_2) | instid1(VALU_DEP_4)
	v_add_nc_u64_e32 v[126:127], s[8:9], v[12:13]
	v_add_nc_u64_e32 v[128:129], s[10:11], v[12:13]
	v_lshlrev_b64_e32 v[12:13], 2, v[28:29]
	v_add_nc_u64_e32 v[122:123], s[8:9], v[14:15]
	v_add_nc_u64_e32 v[124:125], s[10:11], v[14:15]
	v_lshlrev_b64_e32 v[14:15], 2, v[22:23]
	v_lshlrev_b64_e32 v[6:7], 2, v[6:7]
	v_add_nc_u64_e32 v[138:139], s[8:9], v[12:13]
	v_add_nc_u64_e32 v[140:141], s[10:11], v[12:13]
	v_lshlrev_b64_e32 v[20:21], 2, v[20:21]
	v_lshlrev_b64_e32 v[18:19], 2, v[30:31]
	v_add_nc_u64_e32 v[134:135], s[8:9], v[14:15]
	v_add_nc_u64_e32 v[136:137], s[10:11], v[14:15]
	;; [unrolled: 1-line block ×4, first 2 shown]
	v_lshlrev_b64_e32 v[6:7], 2, v[10:11]
	v_lshlrev_b64_e32 v[10:11], 2, v[32:33]
	;; [unrolled: 1-line block ×4, first 2 shown]
	v_add_nc_u64_e32 v[118:119], s[8:9], v[20:21]
	v_add_nc_u64_e32 v[120:121], s[10:11], v[20:21]
	;; [unrolled: 1-line block ×5, first 2 shown]
	v_lshlrev_b64_e32 v[6:7], 2, v[26:27]
	v_add_nc_u64_e32 v[144:145], s[10:11], v[18:19]
	v_add_nc_u64_e32 v[150:151], s[8:9], v[10:11]
	;; [unrolled: 1-line block ×9, first 2 shown]
	s_branch .LBB61_5
.LBB61_3:                               ;   in Loop: Header=BB61_5 Depth=1
	s_wait_xcnt 0x0
	s_or_b32 exec_lo, exec_lo, s20
	s_wait_loadcnt 0x1
	ds_bpermute_b32 v204, v2, v170
	ds_bpermute_b32 v206, v2, v170 offset:4
	s_wait_loadcnt 0x0
	ds_bpermute_b32 v205, v2, v171
	ds_bpermute_b32 v209, v2, v170 offset:8
	ds_bpermute_b32 v207, v2, v171 offset:4
	;; [unrolled: 1-line block ×17, first 2 shown]
	s_wait_dscnt 0x12
	v_dual_sub_f32 v204, v172, v204 :: v_dual_sub_f32 v175, v175, v206
	s_wait_dscnt 0x10
	v_dual_mov_b32 v172, v4 :: v_dual_sub_f32 v209, v173, v209
	ds_bpermute_b32 v222, v2, v171 offset:36
	v_dual_mul_f32 v206, v4, v204 :: v_dual_mov_b32 v4, v5
	v_dual_mov_b32 v204, v6 :: v_dual_mul_f32 v5, v5, v175
	ds_bpermute_b32 v224, v2, v171 offset:40
	v_dual_mul_f32 v173, v206, v205 :: v_dual_mov_b32 v206, v7
	s_wait_dscnt 0x10
	v_dual_sub_f32 v175, v177, v211 :: v_dual_mul_f32 v177, v6, v209
	v_dual_mul_f32 v5, v5, v207 :: v_dual_mov_b32 v6, v8
	s_delay_alu instid0(VALU_DEP_3) | instskip(SKIP_1) | instid1(VALU_DEP_3)
	v_pk_add_f32 v[36:37], v[36:37], v[172:173]
	s_wait_dscnt 0xe
	v_dual_sub_f32 v172, v176, v213 :: v_dual_mul_f32 v7, v7, v175
	v_mul_f32_e32 v205, v177, v208
	s_delay_alu instid0(VALU_DEP_3) | instskip(NEXT) | instid1(VALU_DEP_3)
	v_pk_add_f32 v[4:5], v[4:5], v[36:37]
	v_dual_mov_b32 v36, v9 :: v_dual_mul_f32 v172, v8, v172
	s_wait_dscnt 0xc
	v_sub_f32_e32 v37, v179, v215
	v_dual_mul_f32 v207, v7, v210 :: v_dual_mov_b32 v8, v10
	v_pk_add_f32 v[4:5], v[204:205], v[4:5]
	s_wait_dscnt 0xa
	v_dual_sub_f32 v173, v178, v217 :: v_dual_mul_f32 v7, v172, v212
	v_mul_f32_e32 v9, v9, v37
	s_wait_dscnt 0x8
	v_sub_f32_e32 v175, v181, v219
	v_pk_add_f32 v[4:5], v[206:207], v[4:5]
	v_mul_f32_e32 v10, v10, v173
	ds_bpermute_b32 v172, v2, v170 offset:44
	v_mul_f32_e32 v173, v11, v175
	v_pk_add_f32 v[4:5], v[6:7], v[4:5]
	s_wait_dscnt 0x8
	v_dual_sub_f32 v7, v183, v223 :: v_dual_mul_f32 v37, v9, v214
	s_wait_dscnt 0x6
	v_dual_sub_f32 v6, v180, v221 :: v_dual_mul_f32 v9, v10, v216
	s_wait_dscnt 0x4
	v_sub_f32_e32 v10, v182, v225
	ds_bpermute_b32 v175, v2, v171 offset:48
	v_pk_add_f32 v[4:5], v[36:37], v[4:5]
	v_dual_mul_f32 v36, v12, v6 :: v_dual_mul_f32 v37, v13, v7
	v_dual_mov_b32 v6, v11 :: v_dual_mul_f32 v7, v173, v218
	s_delay_alu instid0(VALU_DEP_3)
	v_pk_add_f32 v[4:5], v[8:9], v[4:5]
	ds_bpermute_b32 v173, v2, v170 offset:48
	s_wait_dscnt 0x4
	v_dual_mul_f32 v9, v36, v220 :: v_dual_mul_f32 v11, v37, v222
	v_mov_b32_e32 v8, v12
	v_pk_add_f32 v[4:5], v[6:7], v[4:5]
	ds_bpermute_b32 v12, v2, v170 offset:52
	ds_bpermute_b32 v37, v2, v170 offset:56
	v_dual_mul_f32 v36, v14, v10 :: v_dual_mov_b32 v10, v13
	ds_bpermute_b32 v13, v2, v171 offset:44
	v_pk_add_f32 v[4:5], v[8:9], v[4:5]
	ds_bpermute_b32 v8, v2, v170 offset:60
	s_wait_dscnt 0x7
	v_dual_mul_f32 v7, v36, v224 :: v_dual_mov_b32 v6, v14
	ds_bpermute_b32 v14, v2, v171 offset:56
	v_pk_add_f32 v[4:5], v[10:11], v[4:5]
	ds_bpermute_b32 v11, v2, v171 offset:52
	s_wait_dscnt 0x8
	v_sub_f32_e32 v9, v185, v172
	ds_bpermute_b32 v36, v2, v170 offset:64
	s_wait_dscnt 0x7
	v_sub_f32_e32 v10, v184, v173
	v_pk_add_f32 v[4:5], v[6:7], v[4:5]
	v_dual_mul_f32 v9, v15, v9 :: v_dual_mov_b32 v6, v15
	ds_bpermute_b32 v15, v2, v171 offset:64
	v_mul_f32_e32 v10, v16, v10
	s_wait_dscnt 0x6
	v_dual_sub_f32 v12, v188, v12 :: v_dual_sub_f32 v37, v187, v37
	ds_bpermute_b32 v173, v2, v170 offset:72
	s_wait_dscnt 0x6
	v_dual_mul_f32 v7, v9, v13 :: v_dual_mul_f32 v9, v10, v175
	v_dual_mul_f32 v10, v17, v12 :: v_dual_mul_f32 v12, v18, v37
	ds_bpermute_b32 v13, v2, v171 offset:60
	ds_bpermute_b32 v37, v2, v170 offset:68
	s_wait_dscnt 0x7
	v_sub_f32_e32 v172, v189, v8
	v_pk_add_f32 v[4:5], v[6:7], v[4:5]
	s_wait_dscnt 0x5
	v_dual_mov_b32 v8, v16 :: v_dual_mul_f32 v7, v10, v11
	s_delay_alu instid0(VALU_DEP_3)
	v_dual_mul_f32 v11, v12, v14 :: v_dual_mul_f32 v12, v19, v172
	ds_bpermute_b32 v14, v2, v170 offset:76
	s_wait_dscnt 0x5
	v_dual_sub_f32 v10, v186, v36 :: v_dual_mov_b32 v6, v17
	v_pk_add_f32 v[4:5], v[8:9], v[4:5]
	ds_bpermute_b32 v16, v2, v171 offset:68
	ds_bpermute_b32 v17, v2, v171 offset:72
	v_dual_mul_f32 v8, v20, v10 :: v_dual_mov_b32 v10, v18
	v_pk_add_f32 v[4:5], v[6:7], v[4:5]
	ds_bpermute_b32 v18, v2, v170 offset:80
	s_wait_dscnt 0x7
	v_dual_mov_b32 v6, v19 :: v_dual_mul_f32 v9, v8, v15
	s_wait_dscnt 0x5
	v_mul_f32_e32 v7, v12, v13
	s_wait_dscnt 0x4
	v_sub_f32_e32 v8, v191, v37
	v_pk_add_f32 v[4:5], v[10:11], v[4:5]
	v_sub_f32_e32 v10, v190, v173
	ds_bpermute_b32 v11, v2, v171 offset:76
	ds_bpermute_b32 v13, v2, v170 offset:84
	v_mul_f32_e32 v12, v21, v8
	v_pk_add_f32 v[4:5], v[6:7], v[4:5]
	v_dual_mov_b32 v8, v20 :: v_dual_mul_f32 v10, v22, v10
	ds_bpermute_b32 v15, v2, v171 offset:80
	s_wait_dscnt 0x5
	v_dual_sub_f32 v14, v194, v14 :: v_dual_mul_f32 v7, v12, v16
	v_pk_add_f32 v[4:5], v[8:9], v[4:5]
	s_wait_dscnt 0x4
	v_dual_mov_b32 v6, v21 :: v_dual_mul_f32 v9, v10, v17
	s_delay_alu instid0(VALU_DEP_3)
	v_dual_mul_f32 v10, v23, v14 :: v_dual_mov_b32 v8, v22
	ds_bpermute_b32 v14, v2, v171 offset:84
	ds_bpermute_b32 v16, v2, v170 offset:88
	ds_bpermute_b32 v17, v2, v170 offset:92
	s_wait_dscnt 0x6
	v_sub_f32_e32 v12, v192, v18
	v_pk_add_f32 v[4:5], v[6:7], v[4:5]
	ds_bpermute_b32 v18, v2, v171 offset:108
	s_wait_dscnt 0x5
	v_dual_mul_f32 v7, v10, v11 :: v_dual_sub_f32 v11, v195, v13
	v_mul_f32_e32 v10, v24, v12
	v_pk_add_f32 v[4:5], v[8:9], v[4:5]
	v_mov_b32_e32 v6, v23
	ds_bpermute_b32 v12, v2, v170 offset:96
	ds_bpermute_b32 v13, v2, v171 offset:92
	s_wait_dscnt 0x6
	v_mul_f32_e32 v9, v10, v15
	v_dual_mul_f32 v10, v25, v11 :: v_dual_mov_b32 v8, v24
	ds_bpermute_b32 v11, v2, v171 offset:88
	v_pk_add_f32 v[4:5], v[6:7], v[4:5]
	ds_bpermute_b32 v15, v2, v170 offset:100
	s_wait_dscnt 0x7
	v_dual_mov_b32 v6, v25 :: v_dual_mul_f32 v7, v10, v14
	ds_bpermute_b32 v10, v2, v171 offset:96
	v_pk_add_f32 v[4:5], v[8:9], v[4:5]
	s_wait_dscnt 0x6
	v_dual_sub_f32 v8, v193, v16 :: v_dual_sub_f32 v9, v198, v17
	ds_bpermute_b32 v14, v2, v170 offset:104
	ds_bpermute_b32 v16, v2, v171 offset:100
	;; [unrolled: 1-line block ×3, first 2 shown]
	v_dual_mul_f32 v8, v26, v8 :: v_dual_mul_f32 v9, v27, v9
	v_pk_add_f32 v[4:5], v[6:7], v[4:5]
	s_wait_dscnt 0x7
	v_dual_sub_f32 v12, v196, v12 :: v_dual_mov_b32 v6, v26
	ds_bpermute_b32 v19, v2, v170 offset:116
	s_wait_dscnt 0x7
	v_mul_f32_e32 v9, v9, v13
	ds_bpermute_b32 v13, v2, v170 offset:112
	s_wait_dscnt 0x7
	v_mul_f32_e32 v7, v8, v11
	s_wait_dscnt 0x6
	v_dual_mul_f32 v11, v28, v12 :: v_dual_sub_f32 v12, v199, v15
	ds_bpermute_b32 v15, v2, v171 offset:104
	v_mov_b32_e32 v8, v27
	v_pk_add_f32 v[4:5], v[6:7], v[4:5]
	s_wait_dscnt 0x6
	v_dual_mul_f32 v7, v11, v10 :: v_dual_mov_b32 v6, v28
	v_mul_f32_e32 v12, v29, v12
	s_wait_dscnt 0x5
	v_sub_f32_e32 v10, v197, v14
	v_pk_add_f32 v[4:5], v[8:9], v[4:5]
	ds_bpermute_b32 v11, v2, v171 offset:112
	ds_bpermute_b32 v14, v2, v170 offset:120
	s_wait_dscnt 0x5
	v_dual_mul_f32 v9, v12, v16 :: v_dual_sub_f32 v12, v201, v17
	v_mul_f32_e32 v10, v30, v10
	v_pk_add_f32 v[4:5], v[6:7], v[4:5]
	v_mov_b32_e32 v8, v29
	ds_bpermute_b32 v16, v2, v171 offset:116
	s_wait_dscnt 0x4
	v_dual_sub_f32 v13, v200, v13 :: v_dual_mul_f32 v12, v31, v12
	v_mov_b32_e32 v6, v30
	v_pk_add_f32 v[4:5], v[8:9], v[4:5]
	s_wait_dscnt 0x3
	s_delay_alu instid0(VALU_DEP_3)
	v_dual_mul_f32 v7, v10, v15 :: v_dual_mul_f32 v10, v32, v13
	ds_bpermute_b32 v13, v2, v171 offset:120
	v_dual_mul_f32 v9, v12, v18 :: v_dual_sub_f32 v12, v203, v19
	v_pk_add_f32 v[4:5], v[6:7], v[4:5]
	v_dual_mov_b32 v8, v31 :: v_dual_mov_b32 v6, v32
	s_wait_dscnt 0x3
	s_delay_alu instid0(VALU_DEP_3)
	v_dual_mul_f32 v7, v10, v11 :: v_dual_mul_f32 v10, v33, v12
	ds_bpermute_b32 v175, v2, v171 offset:124
	v_pk_add_f32 v[8:9], v[8:9], v[4:5]
	s_wait_dscnt 0x3
	v_sub_f32_e32 v5, v202, v14
	ds_bpermute_b32 v4, v2, v170 offset:124
	s_wait_dscnt 0x3
	v_mul_f32_e32 v11, v10, v16
	v_pk_add_f32 v[6:7], v[6:7], v[8:9]
	v_dual_mov_b32 v10, v33 :: v_dual_mul_f32 v5, v34, v5
	s_wait_dscnt 0x2
	s_delay_alu instid0(VALU_DEP_1) | instskip(NEXT) | instid1(VALU_DEP_2)
	v_dual_mov_b32 v8, v34 :: v_dual_mul_f32 v9, v5, v13
	v_pk_add_f32 v[6:7], v[10:11], v[6:7]
	s_delay_alu instid0(VALU_DEP_1)
	v_pk_add_f32 v[172:173], v[8:9], v[6:7]
.LBB61_4:                               ;   in Loop: Header=BB61_5 Depth=1
	s_wait_dscnt 0x0
	v_sub_f32_e32 v3, v3, v4
	v_mov_b32_e32 v4, v35
	s_add_nc_u64 s[30:31], s[30:31], s[24:25]
	v_add_nc_u64_e32 v[42:43], s[26:27], v[42:43]
	v_cmp_lt_i64_e64 s20, s[30:31], s[4:5]
	v_mul_f32_e32 v3, v35, v3
	v_add_nc_u64_e32 v[44:45], s[26:27], v[44:45]
	v_add_nc_u64_e32 v[46:47], s[26:27], v[46:47]
	;; [unrolled: 1-line block ×4, first 2 shown]
	v_mul_f32_e32 v5, v3, v175
	v_add_nc_u64_e32 v[52:53], s[26:27], v[52:53]
	v_add_nc_u64_e32 v[54:55], s[26:27], v[54:55]
	;; [unrolled: 1-line block ×60, first 2 shown]
	v_pk_add_f32 v[36:37], v[172:173], v[4:5]
	s_and_b32 vcc_lo, exec_lo, s20
	s_add_nc_u64 s[28:29], s[28:29], s[24:25]
	s_cbranch_vccz .LBB61_141
.LBB61_5:                               ; =>This Inner Loop Header: Depth=1
	s_add_nc_u64 s[34:35], s[18:19], s[28:29]
	s_delay_alu instid0(VALU_DEP_2)
	v_add_nc_u64_e32 v[170:171], s[18:19], v[38:39]
	v_cmp_ge_i64_e64 s20, s[34:35], s[4:5]
                                        ; implicit-def: $vgpr4_vgpr5_vgpr6_vgpr7_vgpr8_vgpr9_vgpr10_vgpr11_vgpr12_vgpr13_vgpr14_vgpr15_vgpr16_vgpr17_vgpr18_vgpr19_vgpr20_vgpr21_vgpr22_vgpr23_vgpr24_vgpr25_vgpr26_vgpr27_vgpr28_vgpr29_vgpr30_vgpr31_vgpr32_vgpr33_vgpr34_vgpr35
                                        ; implicit-def: $vgpr172_vgpr173
                                        ; implicit-def: $vgpr175
                                        ; implicit-def: $vgpr3
                                        ; implicit-def: $vgpr4
	s_and_b32 vcc_lo, exec_lo, s20
	s_mov_b32 s20, -1
	s_cbranch_vccz .LBB61_73
; %bb.6:                                ;   in Loop: Header=BB61_5 Depth=1
	s_load_b32 s20, s[22:23], 0xc
	v_dual_mov_b32 v175, 0 :: v_dual_mov_b32 v173, 0
	v_mov_b32_e32 v172, 0
	s_wait_kmcnt 0x0
	s_and_b32 s20, s20, 0xffff
	s_delay_alu instid0(SALU_CYCLE_1) | instskip(SKIP_2) | instid1(VALU_DEP_2)
	v_mad_u32_u24 v3, v1, s20, v174
	v_mov_b32_e32 v5, v2
	s_mov_b32 s20, exec_lo
	v_and_b32_e32 v4, 31, v3
	s_delay_alu instid0(VALU_DEP_1) | instskip(NEXT) | instid1(VALU_DEP_1)
	v_add_nc_u64_e32 v[4:5], v[170:171], v[4:5]
	v_cmpx_gt_i64_e64 s[4:5], v[4:5]
	s_cbranch_execz .LBB61_8
; %bb.7:                                ;   in Loop: Header=BB61_5 Depth=1
	v_lshlrev_b64_e32 v[4:5], 2, v[4:5]
	s_delay_alu instid0(VALU_DEP_1)
	v_add_nc_u64_e32 v[6:7], s[12:13], v[4:5]
	v_add_nc_u64_e32 v[4:5], s[14:15], v[4:5]
	global_load_b32 v172, v[6:7], off
	global_load_b32 v173, v[4:5], off
.LBB61_8:                               ;   in Loop: Header=BB61_5 Depth=1
	s_wait_xcnt 0x0
	s_or_b32 exec_lo, exec_lo, s20
	v_dual_mov_b32 v31, v2 :: v_dual_mov_b32 v32, v2
	v_dual_mov_b32 v33, v2 :: v_dual_mov_b32 v3, v2
	v_dual_mov_b32 v4, v2 :: v_dual_mov_b32 v5, v2
	v_dual_mov_b32 v6, v2 :: v_dual_mov_b32 v7, v2
	v_dual_mov_b32 v8, v2 :: v_dual_mov_b32 v9, v2
	v_dual_mov_b32 v10, v2 :: v_dual_mov_b32 v11, v2
	v_dual_mov_b32 v12, v2 :: v_dual_mov_b32 v13, v2
	v_dual_mov_b32 v14, v2 :: v_dual_mov_b32 v15, v2
	v_dual_mov_b32 v16, v2 :: v_dual_mov_b32 v17, v2
	v_dual_mov_b32 v18, v2 :: v_dual_mov_b32 v19, v2
	v_dual_mov_b32 v20, v2 :: v_dual_mov_b32 v21, v2
	v_dual_mov_b32 v22, v2 :: v_dual_mov_b32 v23, v2
	v_dual_mov_b32 v24, v2 :: v_dual_mov_b32 v25, v2
	v_dual_mov_b32 v26, v2 :: v_dual_mov_b32 v27, v2
	v_dual_mov_b32 v28, v2 :: v_dual_mov_b32 v29, v2
	v_mov_b32_e32 v30, v2
	v_cmp_gt_i64_e32 vcc_lo, s[4:5], v[170:171]
	v_mov_b64_e32 v[34:35], v[32:33]
	s_delay_alu instid0(VALU_DEP_3)
	v_mov_b64_e32 v[32:33], v[30:31]
	v_mov_b64_e32 v[30:31], v[28:29]
	;; [unrolled: 1-line block ×15, first 2 shown]
	s_and_b32 s34, s2, vcc_lo
	s_delay_alu instid0(SALU_CYCLE_1)
	s_and_saveexec_b32 s20, s34
	s_cbranch_execz .LBB61_10
; %bb.9:                                ;   in Loop: Header=BB61_5 Depth=1
	v_add_nc_u64_e32 v[6:7], v[42:43], v[40:41]
	v_add_nc_u64_e32 v[8:9], v[44:45], v[40:41]
	v_dual_mov_b32 v5, v2 :: v_dual_mov_b32 v11, v2
	v_dual_mov_b32 v12, v2 :: v_dual_mov_b32 v13, v2
	v_mov_b32_e32 v14, v2
	global_load_b32 v4, v[6:7], off
	global_load_b32 v175, v[8:9], off
	s_wait_xcnt 0x1
	v_dual_mov_b32 v6, v2 :: v_dual_mov_b32 v7, v2
	s_wait_xcnt 0x0
	v_dual_mov_b32 v8, v2 :: v_dual_mov_b32 v9, v2
	v_dual_mov_b32 v10, v2 :: v_dual_mov_b32 v15, v2
	;; [unrolled: 1-line block ×12, first 2 shown]
.LBB61_10:                              ;   in Loop: Header=BB61_5 Depth=1
	s_or_b32 exec_lo, exec_lo, s20
	v_add_nc_u64_e32 v[176:177], 1, v[170:171]
	s_delay_alu instid0(VALU_DEP_1) | instskip(SKIP_2) | instid1(SALU_CYCLE_1)
	v_cmp_gt_i64_e32 vcc_lo, s[4:5], v[176:177]
	v_dual_mov_b32 v176, 0 :: v_dual_mov_b32 v177, 0
	s_and_b32 s34, s2, vcc_lo
	s_and_saveexec_b32 s20, s34
	s_cbranch_execz .LBB61_12
; %bb.11:                               ;   in Loop: Header=BB61_5 Depth=1
	v_add_nc_u64_e32 v[178:179], v[166:167], v[40:41]
	v_add_nc_u64_e32 v[180:181], v[168:169], v[40:41]
	global_load_b32 v5, v[178:179], off
	global_load_b32 v177, v[180:181], off
.LBB61_12:                              ;   in Loop: Header=BB61_5 Depth=1
	s_wait_xcnt 0x0
	s_or_b32 exec_lo, exec_lo, s20
	v_add_nc_u64_e32 v[178:179], 2, v[170:171]
	s_delay_alu instid0(VALU_DEP_1) | instskip(SKIP_1) | instid1(SALU_CYCLE_1)
	v_cmp_gt_i64_e32 vcc_lo, s[4:5], v[178:179]
	s_and_b32 s34, s2, vcc_lo
	s_and_saveexec_b32 s20, s34
	s_cbranch_execz .LBB61_14
; %bb.13:                               ;   in Loop: Header=BB61_5 Depth=1
	v_add_nc_u64_e32 v[178:179], v[162:163], v[40:41]
	v_add_nc_u64_e32 v[180:181], v[164:165], v[40:41]
	global_load_b32 v6, v[178:179], off
	global_load_b32 v176, v[180:181], off
.LBB61_14:                              ;   in Loop: Header=BB61_5 Depth=1
	s_wait_xcnt 0x0
	s_or_b32 exec_lo, exec_lo, s20
	v_add_nc_u64_e32 v[178:179], 3, v[170:171]
	s_delay_alu instid0(VALU_DEP_1) | instskip(SKIP_2) | instid1(SALU_CYCLE_1)
	v_cmp_gt_i64_e32 vcc_lo, s[4:5], v[178:179]
	v_dual_mov_b32 v178, 0 :: v_dual_mov_b32 v179, 0
	s_and_b32 s34, s2, vcc_lo
	s_and_saveexec_b32 s20, s34
	s_cbranch_execz .LBB61_16
; %bb.15:                               ;   in Loop: Header=BB61_5 Depth=1
	v_add_nc_u64_e32 v[180:181], v[158:159], v[40:41]
	v_add_nc_u64_e32 v[182:183], v[160:161], v[40:41]
	global_load_b32 v7, v[180:181], off
	global_load_b32 v179, v[182:183], off
.LBB61_16:                              ;   in Loop: Header=BB61_5 Depth=1
	s_wait_xcnt 0x0
	s_or_b32 exec_lo, exec_lo, s20
	v_add_nc_u64_e32 v[180:181], 4, v[170:171]
	s_delay_alu instid0(VALU_DEP_1) | instskip(SKIP_1) | instid1(SALU_CYCLE_1)
	v_cmp_gt_i64_e32 vcc_lo, s[4:5], v[180:181]
	s_and_b32 s34, s2, vcc_lo
	s_and_saveexec_b32 s20, s34
	s_cbranch_execz .LBB61_18
; %bb.17:                               ;   in Loop: Header=BB61_5 Depth=1
	v_add_nc_u64_e32 v[180:181], v[154:155], v[40:41]
	v_add_nc_u64_e32 v[182:183], v[156:157], v[40:41]
	global_load_b32 v8, v[180:181], off
	global_load_b32 v178, v[182:183], off
.LBB61_18:                              ;   in Loop: Header=BB61_5 Depth=1
	s_wait_xcnt 0x0
	;; [unrolled: 29-line block ×9, first 2 shown]
	s_or_b32 exec_lo, exec_lo, s20
	v_add_nc_u64_e32 v[194:195], 19, v[170:171]
	v_mov_b32_e32 v196, 0
	s_delay_alu instid0(VALU_DEP_2) | instskip(SKIP_2) | instid1(SALU_CYCLE_1)
	v_cmp_gt_i64_e32 vcc_lo, s[4:5], v[194:195]
	v_mov_b32_e32 v194, 0
	s_and_b32 s34, s2, vcc_lo
	s_and_saveexec_b32 s20, s34
	s_cbranch_execz .LBB61_48
; %bb.47:                               ;   in Loop: Header=BB61_5 Depth=1
	v_add_nc_u64_e32 v[198:199], v[94:95], v[40:41]
	v_add_nc_u64_e32 v[200:201], v[96:97], v[40:41]
	global_load_b32 v23, v[198:199], off
	global_load_b32 v196, v[200:201], off
.LBB61_48:                              ;   in Loop: Header=BB61_5 Depth=1
	s_wait_xcnt 0x0
	s_or_b32 exec_lo, exec_lo, s20
	v_add_nc_u64_e32 v[198:199], 20, v[170:171]
	s_delay_alu instid0(VALU_DEP_1) | instskip(SKIP_1) | instid1(SALU_CYCLE_1)
	v_cmp_gt_i64_e32 vcc_lo, s[4:5], v[198:199]
	s_and_b32 s34, s2, vcc_lo
	s_and_saveexec_b32 s20, s34
	s_cbranch_execz .LBB61_50
; %bb.49:                               ;   in Loop: Header=BB61_5 Depth=1
	v_add_nc_u64_e32 v[198:199], v[90:91], v[40:41]
	v_add_nc_u64_e32 v[200:201], v[92:93], v[40:41]
	global_load_b32 v24, v[198:199], off
	global_load_b32 v194, v[200:201], off
.LBB61_50:                              ;   in Loop: Header=BB61_5 Depth=1
	s_wait_xcnt 0x0
	s_or_b32 exec_lo, exec_lo, s20
	v_add_nc_u64_e32 v[198:199], 21, v[170:171]
	v_dual_mov_b32 v195, 0 :: v_dual_mov_b32 v197, 0
	s_delay_alu instid0(VALU_DEP_2) | instskip(SKIP_1) | instid1(SALU_CYCLE_1)
	v_cmp_gt_i64_e32 vcc_lo, s[4:5], v[198:199]
	s_and_b32 s34, s2, vcc_lo
	s_and_saveexec_b32 s20, s34
	s_cbranch_execz .LBB61_52
; %bb.51:                               ;   in Loop: Header=BB61_5 Depth=1
	v_add_nc_u64_e32 v[198:199], v[86:87], v[40:41]
	v_add_nc_u64_e32 v[200:201], v[88:89], v[40:41]
	global_load_b32 v25, v[198:199], off
	global_load_b32 v197, v[200:201], off
.LBB61_52:                              ;   in Loop: Header=BB61_5 Depth=1
	s_wait_xcnt 0x0
	s_or_b32 exec_lo, exec_lo, s20
	v_add_nc_u64_e32 v[198:199], 22, v[170:171]
	s_delay_alu instid0(VALU_DEP_1) | instskip(SKIP_1) | instid1(SALU_CYCLE_1)
	v_cmp_gt_i64_e32 vcc_lo, s[4:5], v[198:199]
	s_and_b32 s34, s2, vcc_lo
	s_and_saveexec_b32 s20, s34
	s_cbranch_execz .LBB61_54
; %bb.53:                               ;   in Loop: Header=BB61_5 Depth=1
	v_add_nc_u64_e32 v[198:199], v[82:83], v[40:41]
	v_add_nc_u64_e32 v[200:201], v[84:85], v[40:41]
	global_load_b32 v26, v[198:199], off
	global_load_b32 v195, v[200:201], off
.LBB61_54:                              ;   in Loop: Header=BB61_5 Depth=1
	s_wait_xcnt 0x0
	s_or_b32 exec_lo, exec_lo, s20
	v_add_nc_u64_e32 v[198:199], 23, v[170:171]
	s_delay_alu instid0(VALU_DEP_1) | instskip(SKIP_2) | instid1(SALU_CYCLE_1)
	v_cmp_gt_i64_e32 vcc_lo, s[4:5], v[198:199]
	v_dual_mov_b32 v198, 0 :: v_dual_mov_b32 v199, 0
	s_and_b32 s34, s2, vcc_lo
	s_and_saveexec_b32 s20, s34
	s_cbranch_execz .LBB61_56
; %bb.55:                               ;   in Loop: Header=BB61_5 Depth=1
	v_add_nc_u64_e32 v[200:201], v[78:79], v[40:41]
	v_add_nc_u64_e32 v[202:203], v[80:81], v[40:41]
	global_load_b32 v27, v[200:201], off
	global_load_b32 v199, v[202:203], off
.LBB61_56:                              ;   in Loop: Header=BB61_5 Depth=1
	s_wait_xcnt 0x0
	s_or_b32 exec_lo, exec_lo, s20
	v_add_nc_u64_e32 v[200:201], 24, v[170:171]
	s_delay_alu instid0(VALU_DEP_1) | instskip(SKIP_1) | instid1(SALU_CYCLE_1)
	v_cmp_gt_i64_e32 vcc_lo, s[4:5], v[200:201]
	s_and_b32 s34, s2, vcc_lo
	s_and_saveexec_b32 s20, s34
	s_cbranch_execz .LBB61_58
; %bb.57:                               ;   in Loop: Header=BB61_5 Depth=1
	v_add_nc_u64_e32 v[200:201], v[74:75], v[40:41]
	v_add_nc_u64_e32 v[202:203], v[76:77], v[40:41]
	global_load_b32 v28, v[200:201], off
	global_load_b32 v198, v[202:203], off
.LBB61_58:                              ;   in Loop: Header=BB61_5 Depth=1
	s_wait_xcnt 0x0
	s_or_b32 exec_lo, exec_lo, s20
	v_add_nc_u64_e32 v[200:201], 25, v[170:171]
	s_delay_alu instid0(VALU_DEP_1) | instskip(SKIP_2) | instid1(SALU_CYCLE_1)
	v_cmp_gt_i64_e32 vcc_lo, s[4:5], v[200:201]
	v_dual_mov_b32 v200, 0 :: v_dual_mov_b32 v201, 0
	;; [unrolled: 29-line block ×4, first 2 shown]
	s_and_b32 s34, s2, vcc_lo
	s_and_saveexec_b32 s20, s34
	s_cbranch_execz .LBB61_68
; %bb.67:                               ;   in Loop: Header=BB61_5 Depth=1
	v_add_nc_u64_e32 v[206:207], v[54:55], v[40:41]
	v_add_nc_u64_e32 v[208:209], v[56:57], v[40:41]
	global_load_b32 v33, v[206:207], off
	global_load_b32 v205, v[208:209], off
.LBB61_68:                              ;   in Loop: Header=BB61_5 Depth=1
	s_wait_xcnt 0x0
	s_or_b32 exec_lo, exec_lo, s20
	v_add_nc_u64_e32 v[206:207], 30, v[170:171]
	s_delay_alu instid0(VALU_DEP_1) | instskip(SKIP_1) | instid1(SALU_CYCLE_1)
	v_cmp_gt_i64_e32 vcc_lo, s[4:5], v[206:207]
	s_and_b32 s34, s2, vcc_lo
	s_and_saveexec_b32 s20, s34
	s_cbranch_execz .LBB61_70
; %bb.69:                               ;   in Loop: Header=BB61_5 Depth=1
	v_add_nc_u64_e32 v[206:207], v[50:51], v[40:41]
	v_add_nc_u64_e32 v[208:209], v[52:53], v[40:41]
	global_load_b32 v34, v[206:207], off
	global_load_b32 v204, v[208:209], off
.LBB61_70:                              ;   in Loop: Header=BB61_5 Depth=1
	s_wait_xcnt 0x0
	s_or_b32 exec_lo, exec_lo, s20
	v_add_nc_u64_e32 v[206:207], 31, v[170:171]
	v_mov_b32_e32 v3, 0
	s_delay_alu instid0(VALU_DEP_2) | instskip(SKIP_1) | instid1(SALU_CYCLE_1)
	v_cmp_gt_i64_e32 vcc_lo, s[4:5], v[206:207]
	s_and_b32 s34, s2, vcc_lo
	s_and_saveexec_b32 s20, s34
	s_cbranch_execz .LBB61_72
; %bb.71:                               ;   in Loop: Header=BB61_5 Depth=1
	v_add_nc_u64_e32 v[206:207], v[46:47], v[40:41]
	v_add_nc_u64_e32 v[208:209], v[48:49], v[40:41]
	global_load_b32 v35, v[206:207], off
	global_load_b32 v3, v[208:209], off
.LBB61_72:                              ;   in Loop: Header=BB61_5 Depth=1
	s_wait_xcnt 0x0
	s_or_b32 exec_lo, exec_lo, s20
	s_wait_loadcnt 0x1
	ds_bpermute_b32 v206, v2, v172
	ds_bpermute_b32 v208, v2, v172 offset:4
	s_wait_loadcnt 0x0
	ds_bpermute_b32 v207, v2, v173
	ds_bpermute_b32 v211, v2, v172 offset:8
	ds_bpermute_b32 v209, v2, v173 offset:4
	;; [unrolled: 1-line block ×17, first 2 shown]
	s_wait_dscnt 0x13
	v_dual_sub_f32 v175, v175, v206 :: v_dual_mov_b32 v206, v4
	s_wait_dscnt 0x12
	v_sub_f32_e32 v177, v177, v208
	ds_bpermute_b32 v224, v2, v173 offset:36
	ds_bpermute_b32 v226, v2, v173 offset:40
	v_dual_mul_f32 v175, v4, v175 :: v_dual_mov_b32 v4, v5
	s_wait_dscnt 0x12
	v_dual_mov_b32 v208, v6 :: v_dual_sub_f32 v211, v176, v211
	s_delay_alu instid0(VALU_DEP_2) | instskip(SKIP_2) | instid1(VALU_DEP_3)
	v_dual_mul_f32 v5, v5, v177 :: v_dual_mul_f32 v207, v175, v207
	v_mov_b32_e32 v176, v7
	s_wait_dscnt 0x10
	v_dual_sub_f32 v175, v179, v213 :: v_dual_mul_f32 v177, v6, v211
	s_delay_alu instid0(VALU_DEP_3)
	v_mul_f32_e32 v5, v5, v209
	v_pk_add_f32 v[206:207], v[36:37], v[206:207]
	s_wait_dscnt 0xe
	v_dual_mov_b32 v6, v8 :: v_dual_sub_f32 v179, v178, v215
	v_dual_mul_f32 v209, v177, v210 :: v_dual_mul_f32 v7, v7, v175
	v_mov_b32_e32 v178, v9
	v_pk_add_f32 v[4:5], v[4:5], v[206:207]
	s_wait_dscnt 0xc
	v_dual_sub_f32 v175, v181, v217 :: v_dual_mul_f32 v179, v8, v179
	v_dual_mul_f32 v177, v7, v212 :: v_dual_mov_b32 v8, v10
	s_delay_alu instid0(VALU_DEP_3) | instskip(SKIP_1) | instid1(VALU_DEP_3)
	v_pk_add_f32 v[4:5], v[208:209], v[4:5]
	s_wait_dscnt 0xa
	v_dual_sub_f32 v180, v180, v219 :: v_dual_mul_f32 v7, v179, v214
	v_mul_f32_e32 v9, v9, v175
	ds_bpermute_b32 v175, v2, v172 offset:44
	v_pk_add_f32 v[4:5], v[176:177], v[4:5]
	s_wait_dscnt 0x9
	v_dual_sub_f32 v176, v183, v221 :: v_dual_mul_f32 v10, v10, v180
	v_mul_f32_e32 v179, v9, v216
	s_mov_b32 s20, 0
	v_pk_add_f32 v[4:5], v[6:7], v[4:5]
	s_wait_dscnt 0x6
	v_dual_sub_f32 v6, v182, v223 :: v_dual_sub_f32 v7, v185, v225
	v_dual_mul_f32 v176, v11, v176 :: v_dual_mul_f32 v9, v10, v218
	s_delay_alu instid0(VALU_DEP_3)
	v_pk_add_f32 v[4:5], v[178:179], v[4:5]
	s_wait_dscnt 0x4
	v_sub_f32_e32 v10, v184, v227
	v_dual_mul_f32 v177, v12, v6 :: v_dual_mul_f32 v178, v13, v7
	v_mul_f32_e32 v7, v176, v220
	v_pk_add_f32 v[4:5], v[8:9], v[4:5]
	v_mov_b32_e32 v6, v11
	ds_bpermute_b32 v176, v2, v172 offset:48
	s_wait_dscnt 0x3
	v_dual_mul_f32 v9, v177, v222 :: v_dual_mul_f32 v11, v178, v224
	v_mov_b32_e32 v8, v12
	v_pk_add_f32 v[4:5], v[6:7], v[4:5]
	ds_bpermute_b32 v12, v2, v172 offset:52
	ds_bpermute_b32 v178, v2, v172 offset:56
	v_dual_mul_f32 v177, v14, v10 :: v_dual_mov_b32 v10, v13
	ds_bpermute_b32 v13, v2, v173 offset:44
	ds_bpermute_b32 v179, v2, v173 offset:48
	v_pk_add_f32 v[4:5], v[8:9], v[4:5]
	s_wait_dscnt 0x5
	v_dual_mul_f32 v7, v177, v226 :: v_dual_sub_f32 v9, v187, v175
	ds_bpermute_b32 v8, v2, v172 offset:60
	v_mov_b32_e32 v6, v14
	v_pk_add_f32 v[4:5], v[10:11], v[4:5]
	ds_bpermute_b32 v11, v2, v173 offset:52
	ds_bpermute_b32 v14, v2, v173 offset:56
	;; [unrolled: 1-line block ×3, first 2 shown]
	s_wait_dscnt 0x8
	v_dual_sub_f32 v10, v186, v176 :: v_dual_mul_f32 v9, v15, v9
	v_pk_add_f32 v[4:5], v[6:7], v[4:5]
	v_mov_b32_e32 v6, v15
	ds_bpermute_b32 v15, v2, v173 offset:64
	s_wait_dscnt 0x7
	v_dual_sub_f32 v12, v189, v12 :: v_dual_sub_f32 v176, v188, v178
	v_mul_f32_e32 v10, v16, v10
	ds_bpermute_b32 v178, v2, v172 offset:72
	s_wait_dscnt 0x7
	v_mul_f32_e32 v7, v9, v13
	ds_bpermute_b32 v13, v2, v173 offset:60
	s_wait_dscnt 0x7
	v_dual_mul_f32 v9, v10, v179 :: v_dual_mul_f32 v10, v17, v12
	v_mul_f32_e32 v12, v18, v176
	ds_bpermute_b32 v176, v2, v172 offset:68
	s_wait_dscnt 0x7
	v_sub_f32_e32 v177, v191, v8
	v_pk_add_f32 v[4:5], v[6:7], v[4:5]
	s_wait_dscnt 0x6
	v_dual_mov_b32 v8, v16 :: v_dual_mul_f32 v7, v10, v11
	s_wait_dscnt 0x5
	v_dual_mul_f32 v11, v12, v14 :: v_dual_mul_f32 v12, v19, v177
	ds_bpermute_b32 v14, v2, v172 offset:76
	s_wait_dscnt 0x5
	v_dual_sub_f32 v10, v190, v175 :: v_dual_mov_b32 v6, v17
	v_pk_add_f32 v[4:5], v[8:9], v[4:5]
	ds_bpermute_b32 v16, v2, v173 offset:68
	ds_bpermute_b32 v17, v2, v173 offset:72
	v_dual_mul_f32 v8, v20, v10 :: v_dual_mov_b32 v10, v18
	v_pk_add_f32 v[4:5], v[6:7], v[4:5]
	ds_bpermute_b32 v18, v2, v172 offset:80
	s_wait_dscnt 0x5
	v_mul_f32_e32 v7, v12, v13
	v_dual_mul_f32 v9, v8, v15 :: v_dual_mov_b32 v6, v19
	s_wait_dscnt 0x4
	v_sub_f32_e32 v8, v193, v176
	v_pk_add_f32 v[4:5], v[10:11], v[4:5]
	v_sub_f32_e32 v10, v192, v178
	ds_bpermute_b32 v11, v2, v173 offset:76
	ds_bpermute_b32 v13, v2, v172 offset:84
	v_mul_f32_e32 v12, v21, v8
	v_pk_add_f32 v[4:5], v[6:7], v[4:5]
	v_dual_mov_b32 v8, v20 :: v_dual_mul_f32 v10, v22, v10
	ds_bpermute_b32 v15, v2, v173 offset:80
	s_wait_dscnt 0x6
	v_dual_sub_f32 v14, v196, v14 :: v_dual_mov_b32 v6, v21
	s_wait_dscnt 0x5
	v_mul_f32_e32 v7, v12, v16
	v_pk_add_f32 v[4:5], v[8:9], v[4:5]
	s_wait_dscnt 0x4
	v_dual_mul_f32 v9, v10, v17 :: v_dual_mul_f32 v10, v23, v14
	v_mov_b32_e32 v8, v22
	ds_bpermute_b32 v14, v2, v173 offset:84
	ds_bpermute_b32 v16, v2, v172 offset:88
	;; [unrolled: 1-line block ×3, first 2 shown]
	s_wait_dscnt 0x6
	v_sub_f32_e32 v12, v194, v18
	v_pk_add_f32 v[4:5], v[6:7], v[4:5]
	ds_bpermute_b32 v18, v2, v173 offset:108
	s_wait_dscnt 0x5
	v_dual_mul_f32 v7, v10, v11 :: v_dual_sub_f32 v11, v197, v13
	v_mul_f32_e32 v10, v24, v12
	v_pk_add_f32 v[4:5], v[8:9], v[4:5]
	v_mov_b32_e32 v6, v23
	ds_bpermute_b32 v12, v2, v172 offset:96
	ds_bpermute_b32 v13, v2, v173 offset:92
	s_wait_dscnt 0x6
	v_mul_f32_e32 v9, v10, v15
	v_dual_mul_f32 v10, v25, v11 :: v_dual_mov_b32 v8, v24
	ds_bpermute_b32 v11, v2, v173 offset:88
	v_pk_add_f32 v[4:5], v[6:7], v[4:5]
	ds_bpermute_b32 v15, v2, v172 offset:100
	s_wait_dscnt 0x7
	v_dual_mov_b32 v6, v25 :: v_dual_mul_f32 v7, v10, v14
	ds_bpermute_b32 v10, v2, v173 offset:96
	v_pk_add_f32 v[4:5], v[8:9], v[4:5]
	s_wait_dscnt 0x7
	v_sub_f32_e32 v8, v195, v16
	s_wait_dscnt 0x6
	v_sub_f32_e32 v9, v199, v17
	ds_bpermute_b32 v14, v2, v172 offset:104
	ds_bpermute_b32 v16, v2, v173 offset:100
	ds_bpermute_b32 v17, v2, v172 offset:108
	v_dual_mul_f32 v8, v26, v8 :: v_dual_mul_f32 v9, v27, v9
	v_pk_add_f32 v[4:5], v[6:7], v[4:5]
	s_wait_dscnt 0x7
	v_sub_f32_e32 v12, v198, v12
	v_mov_b32_e32 v6, v26
	ds_bpermute_b32 v19, v2, v172 offset:116
	s_wait_dscnt 0x7
	v_mul_f32_e32 v9, v9, v13
	ds_bpermute_b32 v13, v2, v172 offset:112
	s_wait_dscnt 0x7
	v_mul_f32_e32 v7, v8, v11
	s_wait_dscnt 0x6
	v_dual_mul_f32 v11, v28, v12 :: v_dual_sub_f32 v12, v201, v15
	ds_bpermute_b32 v15, v2, v173 offset:104
	v_mov_b32_e32 v8, v27
	v_pk_add_f32 v[4:5], v[6:7], v[4:5]
	s_wait_dscnt 0x6
	v_dual_mul_f32 v7, v11, v10 :: v_dual_mov_b32 v6, v28
	s_wait_dscnt 0x5
	v_dual_mul_f32 v12, v29, v12 :: v_dual_sub_f32 v10, v200, v14
	v_pk_add_f32 v[4:5], v[8:9], v[4:5]
	ds_bpermute_b32 v11, v2, v173 offset:112
	ds_bpermute_b32 v14, v2, v172 offset:120
	s_wait_dscnt 0x5
	v_dual_mul_f32 v9, v12, v16 :: v_dual_sub_f32 v12, v203, v17
	v_mul_f32_e32 v10, v30, v10
	v_pk_add_f32 v[4:5], v[6:7], v[4:5]
	v_mov_b32_e32 v8, v29
	ds_bpermute_b32 v16, v2, v173 offset:116
	s_wait_dscnt 0x4
	v_dual_mul_f32 v12, v31, v12 :: v_dual_sub_f32 v13, v202, v13
	v_mov_b32_e32 v6, v30
	v_pk_add_f32 v[4:5], v[8:9], v[4:5]
	ds_bpermute_b32 v175, v2, v173 offset:124
	s_wait_dscnt 0x4
	v_dual_mul_f32 v9, v12, v18 :: v_dual_mul_f32 v7, v10, v15
	v_mul_f32_e32 v10, v32, v13
	ds_bpermute_b32 v13, v2, v173 offset:120
	v_dual_sub_f32 v12, v205, v19 :: v_dual_mov_b32 v8, v31
	v_pk_add_f32 v[4:5], v[6:7], v[4:5]
	s_wait_dscnt 0x4
	v_dual_mul_f32 v7, v10, v11 :: v_dual_mov_b32 v6, v32
	s_delay_alu instid0(VALU_DEP_3) | instskip(NEXT) | instid1(VALU_DEP_3)
	v_mul_f32_e32 v10, v33, v12
	v_pk_add_f32 v[8:9], v[8:9], v[4:5]
	s_wait_dscnt 0x3
	v_sub_f32_e32 v5, v204, v14
	ds_bpermute_b32 v4, v2, v172 offset:124
	s_wait_dscnt 0x3
	v_dual_mul_f32 v11, v10, v16 :: v_dual_mov_b32 v10, v33
	v_pk_add_f32 v[6:7], v[6:7], v[8:9]
	v_dual_mul_f32 v5, v34, v5 :: v_dual_mov_b32 v8, v34
	s_delay_alu instid0(VALU_DEP_2) | instskip(SKIP_1) | instid1(VALU_DEP_2)
	v_pk_add_f32 v[6:7], v[10:11], v[6:7]
	s_wait_dscnt 0x1
	v_mul_f32_e32 v9, v5, v13
	s_delay_alu instid0(VALU_DEP_1)
	v_pk_add_f32 v[172:173], v[8:9], v[6:7]
.LBB61_73:                              ;   in Loop: Header=BB61_5 Depth=1
	s_and_b32 vcc_lo, exec_lo, s20
	s_cbranch_vccz .LBB61_4
; %bb.74:                               ;   in Loop: Header=BB61_5 Depth=1
	s_load_b32 s20, s[22:23], 0x0
	v_mov_b32_e32 v172, 0
	s_wait_kmcnt 0x0
	s_cmp_lt_u32 s16, s20
	s_cselect_b32 s20, 12, 18
	s_delay_alu instid0(SALU_CYCLE_1)
	s_add_nc_u64 s[34:35], s[22:23], s[20:21]
	s_load_u16 s20, s[34:35], 0x0
	s_wait_kmcnt 0x0
	v_mad_u32_u24 v3, v1, s20, v174
	v_mov_b32_e32 v5, v2
	s_mov_b32 s20, exec_lo
	s_wait_dscnt 0x0
	s_delay_alu instid0(VALU_DEP_2) | instskip(NEXT) | instid1(VALU_DEP_1)
	v_and_b32_e32 v4, 31, v3
	v_add_nc_u64_e32 v[4:5], v[170:171], v[4:5]
	v_dual_mov_b32 v171, 0 :: v_dual_mov_b32 v170, 0
	s_delay_alu instid0(VALU_DEP_2)
	v_cmpx_gt_i64_e64 s[4:5], v[4:5]
	s_cbranch_execz .LBB61_76
; %bb.75:                               ;   in Loop: Header=BB61_5 Depth=1
	v_lshlrev_b64_e32 v[4:5], 2, v[4:5]
	s_delay_alu instid0(VALU_DEP_1)
	v_add_nc_u64_e32 v[6:7], s[12:13], v[4:5]
	v_add_nc_u64_e32 v[4:5], s[14:15], v[4:5]
	global_load_b32 v170, v[6:7], off
	global_load_b32 v171, v[4:5], off
.LBB61_76:                              ;   in Loop: Header=BB61_5 Depth=1
	s_wait_xcnt 0x0
	s_or_b32 exec_lo, exec_lo, s20
	v_dual_mov_b32 v31, v2 :: v_dual_mov_b32 v32, v2
	v_dual_mov_b32 v33, v2 :: v_dual_mov_b32 v3, v2
	v_dual_mov_b32 v4, v2 :: v_dual_mov_b32 v5, v2
	v_dual_mov_b32 v6, v2 :: v_dual_mov_b32 v7, v2
	v_dual_mov_b32 v8, v2 :: v_dual_mov_b32 v9, v2
	v_dual_mov_b32 v10, v2 :: v_dual_mov_b32 v11, v2
	v_dual_mov_b32 v12, v2 :: v_dual_mov_b32 v13, v2
	v_dual_mov_b32 v14, v2 :: v_dual_mov_b32 v15, v2
	v_dual_mov_b32 v16, v2 :: v_dual_mov_b32 v17, v2
	v_dual_mov_b32 v18, v2 :: v_dual_mov_b32 v19, v2
	v_dual_mov_b32 v20, v2 :: v_dual_mov_b32 v21, v2
	v_dual_mov_b32 v22, v2 :: v_dual_mov_b32 v23, v2
	v_dual_mov_b32 v24, v2 :: v_dual_mov_b32 v25, v2
	v_dual_mov_b32 v26, v2 :: v_dual_mov_b32 v27, v2
	v_dual_mov_b32 v28, v2 :: v_dual_mov_b32 v29, v2
	v_mov_b32_e32 v30, v2
	v_mov_b64_e32 v[34:35], v[32:33]
	s_delay_alu instid0(VALU_DEP_2) | instskip(NEXT) | instid1(VALU_DEP_4)
	v_mov_b64_e32 v[32:33], v[30:31]
	v_mov_b64_e32 v[30:31], v[28:29]
	;; [unrolled: 1-line block ×15, first 2 shown]
	s_and_saveexec_b32 s20, s2
	s_cbranch_execz .LBB61_78
; %bb.77:                               ;   in Loop: Header=BB61_5 Depth=1
	v_add_nc_u64_e32 v[6:7], v[42:43], v[40:41]
	v_add_nc_u64_e32 v[8:9], v[44:45], v[40:41]
	v_dual_mov_b32 v5, v2 :: v_dual_mov_b32 v11, v2
	v_dual_mov_b32 v12, v2 :: v_dual_mov_b32 v13, v2
	v_mov_b32_e32 v14, v2
	global_load_b32 v4, v[6:7], off
	global_load_b32 v172, v[8:9], off
	s_wait_xcnt 0x1
	v_dual_mov_b32 v6, v2 :: v_dual_mov_b32 v7, v2
	s_wait_xcnt 0x0
	v_dual_mov_b32 v8, v2 :: v_dual_mov_b32 v9, v2
	v_dual_mov_b32 v10, v2 :: v_dual_mov_b32 v15, v2
	;; [unrolled: 1-line block ×12, first 2 shown]
.LBB61_78:                              ;   in Loop: Header=BB61_5 Depth=1
	s_or_b32 exec_lo, exec_lo, s20
	v_dual_mov_b32 v173, 0 :: v_dual_mov_b32 v175, 0
	s_and_saveexec_b32 s20, s2
	s_cbranch_execz .LBB61_80
; %bb.79:                               ;   in Loop: Header=BB61_5 Depth=1
	v_add_nc_u64_e32 v[176:177], v[166:167], v[40:41]
	v_add_nc_u64_e32 v[178:179], v[168:169], v[40:41]
	global_load_b32 v5, v[176:177], off
	global_load_b32 v175, v[178:179], off
.LBB61_80:                              ;   in Loop: Header=BB61_5 Depth=1
	s_wait_xcnt 0x0
	s_or_b32 exec_lo, exec_lo, s20
	s_and_saveexec_b32 s20, s2
	s_cbranch_execz .LBB61_82
; %bb.81:                               ;   in Loop: Header=BB61_5 Depth=1
	v_add_nc_u64_e32 v[176:177], v[162:163], v[40:41]
	v_add_nc_u64_e32 v[178:179], v[164:165], v[40:41]
	global_load_b32 v6, v[176:177], off
	global_load_b32 v173, v[178:179], off
.LBB61_82:                              ;   in Loop: Header=BB61_5 Depth=1
	s_wait_xcnt 0x0
	s_or_b32 exec_lo, exec_lo, s20
	v_dual_mov_b32 v176, 0 :: v_dual_mov_b32 v177, 0
	s_and_saveexec_b32 s20, s2
	s_cbranch_execz .LBB61_84
; %bb.83:                               ;   in Loop: Header=BB61_5 Depth=1
	v_add_nc_u64_e32 v[178:179], v[158:159], v[40:41]
	v_add_nc_u64_e32 v[180:181], v[160:161], v[40:41]
	global_load_b32 v7, v[178:179], off
	global_load_b32 v177, v[180:181], off
.LBB61_84:                              ;   in Loop: Header=BB61_5 Depth=1
	s_wait_xcnt 0x0
	s_or_b32 exec_lo, exec_lo, s20
	s_and_saveexec_b32 s20, s2
	s_cbranch_execz .LBB61_86
; %bb.85:                               ;   in Loop: Header=BB61_5 Depth=1
	v_add_nc_u64_e32 v[178:179], v[154:155], v[40:41]
	v_add_nc_u64_e32 v[180:181], v[156:157], v[40:41]
	global_load_b32 v8, v[178:179], off
	global_load_b32 v176, v[180:181], off
.LBB61_86:                              ;   in Loop: Header=BB61_5 Depth=1
	s_wait_xcnt 0x0
	;; [unrolled: 21-line block ×5, first 2 shown]
	s_or_b32 exec_lo, exec_lo, s20
	v_dual_mov_b32 v184, 0 :: v_dual_mov_b32 v185, 0
	s_and_saveexec_b32 s20, s2
	s_cbranch_execz .LBB61_100
; %bb.99:                               ;   in Loop: Header=BB61_5 Depth=1
	v_add_nc_u64_e32 v[186:187], v[126:127], v[40:41]
	v_add_nc_u64_e32 v[188:189], v[128:129], v[40:41]
	global_load_b32 v15, v[186:187], off
	global_load_b32 v185, v[188:189], off
.LBB61_100:                             ;   in Loop: Header=BB61_5 Depth=1
	s_wait_xcnt 0x0
	s_or_b32 exec_lo, exec_lo, s20
	s_and_saveexec_b32 s20, s2
	s_cbranch_execz .LBB61_102
; %bb.101:                              ;   in Loop: Header=BB61_5 Depth=1
	v_add_nc_u64_e32 v[186:187], v[122:123], v[40:41]
	v_add_nc_u64_e32 v[188:189], v[124:125], v[40:41]
	global_load_b32 v16, v[186:187], off
	global_load_b32 v184, v[188:189], off
.LBB61_102:                             ;   in Loop: Header=BB61_5 Depth=1
	s_wait_xcnt 0x0
	s_or_b32 exec_lo, exec_lo, s20
	v_dual_mov_b32 v187, 0 :: v_dual_mov_b32 v188, 0
	s_and_saveexec_b32 s20, s2
	s_cbranch_execz .LBB61_104
; %bb.103:                              ;   in Loop: Header=BB61_5 Depth=1
	v_add_nc_u64_e32 v[190:191], v[118:119], v[40:41]
	v_add_nc_u64_e32 v[192:193], v[120:121], v[40:41]
	global_load_b32 v17, v[190:191], off
	global_load_b32 v188, v[192:193], off
.LBB61_104:                             ;   in Loop: Header=BB61_5 Depth=1
	s_wait_xcnt 0x0
	s_or_b32 exec_lo, exec_lo, s20
	s_and_saveexec_b32 s20, s2
	s_cbranch_execz .LBB61_106
; %bb.105:                              ;   in Loop: Header=BB61_5 Depth=1
	v_add_nc_u64_e32 v[190:191], v[114:115], v[40:41]
	v_add_nc_u64_e32 v[192:193], v[116:117], v[40:41]
	global_load_b32 v18, v[190:191], off
	global_load_b32 v187, v[192:193], off
.LBB61_106:                             ;   in Loop: Header=BB61_5 Depth=1
	s_wait_xcnt 0x0
	s_or_b32 exec_lo, exec_lo, s20
	v_dual_mov_b32 v186, 0 :: v_dual_mov_b32 v189, 0
	s_and_saveexec_b32 s20, s2
	s_cbranch_execz .LBB61_108
; %bb.107:                              ;   in Loop: Header=BB61_5 Depth=1
	v_add_nc_u64_e32 v[190:191], v[110:111], v[40:41]
	v_add_nc_u64_e32 v[192:193], v[112:113], v[40:41]
	global_load_b32 v19, v[190:191], off
	global_load_b32 v189, v[192:193], off
.LBB61_108:                             ;   in Loop: Header=BB61_5 Depth=1
	;; [unrolled: 21-line block ×8, first 2 shown]
	s_wait_xcnt 0x0
	s_or_b32 exec_lo, exec_lo, s20
	s_and_saveexec_b32 s20, s2
	s_cbranch_execz .LBB61_134
; %bb.133:                              ;   in Loop: Header=BB61_5 Depth=1
	v_add_nc_u64_e32 v[202:203], v[58:59], v[40:41]
	v_add_nc_u64_e32 v[204:205], v[60:61], v[40:41]
	global_load_b32 v32, v[202:203], off
	global_load_b32 v200, v[204:205], off
.LBB61_134:                             ;   in Loop: Header=BB61_5 Depth=1
	s_wait_xcnt 0x0
	s_or_b32 exec_lo, exec_lo, s20
	v_dual_mov_b32 v202, 0 :: v_dual_mov_b32 v203, 0
	s_and_saveexec_b32 s20, s2
	s_cbranch_execnz .LBB61_137
; %bb.135:                              ;   in Loop: Header=BB61_5 Depth=1
	s_or_b32 exec_lo, exec_lo, s20
	s_and_saveexec_b32 s20, s2
	s_cbranch_execnz .LBB61_138
.LBB61_136:                             ;   in Loop: Header=BB61_5 Depth=1
	s_or_b32 exec_lo, exec_lo, s20
	v_mov_b32_e32 v3, 0
	s_and_saveexec_b32 s20, s2
	s_cbranch_execz .LBB61_3
	s_branch .LBB61_139
.LBB61_137:                             ;   in Loop: Header=BB61_5 Depth=1
	v_add_nc_u64_e32 v[204:205], v[54:55], v[40:41]
	v_add_nc_u64_e32 v[206:207], v[56:57], v[40:41]
	global_load_b32 v33, v[204:205], off
	global_load_b32 v203, v[206:207], off
	s_wait_xcnt 0x0
	s_or_b32 exec_lo, exec_lo, s20
	s_and_saveexec_b32 s20, s2
	s_cbranch_execz .LBB61_136
.LBB61_138:                             ;   in Loop: Header=BB61_5 Depth=1
	v_add_nc_u64_e32 v[204:205], v[50:51], v[40:41]
	v_add_nc_u64_e32 v[206:207], v[52:53], v[40:41]
	global_load_b32 v34, v[204:205], off
	global_load_b32 v202, v[206:207], off
	s_wait_xcnt 0x0
	s_or_b32 exec_lo, exec_lo, s20
	v_mov_b32_e32 v3, 0
	s_and_saveexec_b32 s20, s2
	s_cbranch_execz .LBB61_3
.LBB61_139:                             ;   in Loop: Header=BB61_5 Depth=1
	v_add_nc_u64_e32 v[204:205], v[46:47], v[40:41]
	v_add_nc_u64_e32 v[206:207], v[48:49], v[40:41]
	global_load_b32 v35, v[204:205], off
	global_load_b32 v3, v[206:207], off
	s_branch .LBB61_3
.LBB61_140:
                                        ; implicit-def: $vgpr37
	s_branch .LBB61_142
.LBB61_141:
	s_cbranch_execnz .LBB61_217
.LBB61_142:
	v_mov_b32_e32 v37, 0
	s_and_not1_b32 vcc_lo, exec_lo, s17
	s_delay_alu instid0(VALU_DEP_1)
	v_mov_b32_e32 v36, v37
	s_cbranch_vccnz .LBB61_217
; %bb.143:
	v_bfe_u32 v1, v0, 10, 10
	v_mov_b32_e32 v2, 0
	s_set_vgpr_msb 64                       ;  msbs: dst=1 src0=0 src1=0 src2=0
	v_and_b32_e32 v40 /*v296*/, 0x3ff, v0
	s_load_b32 s2, s[0:1], 0x44
	s_add_nc_u64 s[20:21], s[0:1], 64
	s_set_vgpr_msb 0                        ;  msbs: dst=0 src0=0 src1=0 src2=0
	v_dual_mov_b32 v5, v2 :: v_dual_lshlrev_b32 v4, 7, v1
	v_dual_mov_b32 v147, v2 :: v_dual_lshlrev_b32 v146, 5, v1
	s_delay_alu instid0(VALU_DEP_2) | instskip(NEXT) | instid1(VALU_DEP_1)
	v_lshl_add_u64 v[4:5], s[18:19], 2, v[4:5]
	v_add_nc_u64_e32 v[6:7], 4, v[4:5]
	v_add_nc_u64_e32 v[8:9], 8, v[4:5]
	v_add_nc_u64_e32 v[10:11], 12, v[4:5]
	v_add_nc_u64_e32 v[12:13], 16, v[4:5]
	v_add_nc_u64_e32 v[14:15], 20, v[4:5]
	v_add_nc_u64_e32 v[16:17], 24, v[4:5]
	v_add_nc_u64_e32 v[18:19], 28, v[4:5]
	v_mad_nc_u64_u32 v[38:39], s6, v6, s[8:9]
	v_mul_lo_u32 v3, s6, v7
	v_mul_lo_u32 v7, s7, v6
	v_mad_nc_u64_u32 v[40:41], s6, v6, s[10:11]
	v_mad_nc_u64_u32 v[42:43], s6, v8, s[8:9]
	v_mul_lo_u32 v6, s6, v9
	v_mul_lo_u32 v9, s7, v8
	v_mad_nc_u64_u32 v[46:47], s6, v8, s[10:11]
	;; [unrolled: 4-line block ×4, first 2 shown]
	v_mad_nc_u64_u32 v[54:55], s6, v14, s[8:9]
	v_mul_lo_u32 v12, s6, v15
	v_add3_u32 v39, v7, v39, v3
	v_add3_u32 v41, v7, v41, v3
	v_mul_lo_u32 v3, s7, v14
	v_mad_nc_u64_u32 v[56:57], s6, v14, s[10:11]
	v_add3_u32 v43, v9, v43, v6
	v_add3_u32 v47, v9, v47, v6
	v_add_nc_u64_e32 v[6:7], 32, v[4:5]
	v_mul_lo_u32 v14, s7, v16
	v_mad_nc_u64_u32 v[58:59], s6, v16, s[8:9]
	v_mad_nc_u64_u32 v[60:61], s6, v16, s[10:11]
	v_mul_lo_u32 v15, s6, v19
	v_mul_lo_u32 v16, s7, v18
	v_mad_nc_u64_u32 v[62:63], s6, v18, s[8:9]
	v_mad_nc_u64_u32 v[64:65], s6, v18, s[10:11]
	v_add3_u32 v45, v11, v45, v8
	v_add3_u32 v49, v11, v49, v8
	;; [unrolled: 1-line block ×6, first 2 shown]
	v_mul_lo_u32 v3, s6, v7
	v_mul_lo_u32 v12, s7, v6
	v_mad_nc_u64_u32 v[66:67], s6, v6, s[8:9]
	v_add_nc_u64_e32 v[10:11], 40, v[4:5]
	v_mad_nc_u64_u32 v[68:69], s6, v6, s[10:11]
	v_add_nc_u64_e32 v[6:7], 44, v[4:5]
	v_add3_u32 v63, v16, v63, v15
	v_add3_u32 v65, v16, v65, v15
	v_mul_lo_u32 v9, s6, v17
	s_wait_kmcnt 0x0
	s_lshl_b32 s22, s2, 5
	v_mul_lo_u32 v11, s6, v11
	v_mul_lo_u32 v15, s7, v10
	v_mad_nc_u64_u32 v[74:75], s6, v10, s[8:9]
	v_mad_nc_u64_u32 v[76:77], s6, v10, s[10:11]
	v_mul_lo_u32 v10, s6, v7
	v_mul_lo_u32 v16, s7, v6
	v_mad_nc_u64_u32 v[78:79], s6, v6, s[8:9]
	v_mad_nc_u64_u32 v[80:81], s6, v6, s[10:11]
	v_add_nc_u64_e32 v[6:7], 52, v[4:5]
	v_add3_u32 v67, v12, v67, v3
	v_add3_u32 v69, v12, v69, v3
	;; [unrolled: 1-line block ×6, first 2 shown]
	v_mul_lo_u32 v3, s6, v7
	v_mul_lo_u32 v12, s7, v6
	v_add3_u32 v79, v16, v79, v10
	v_add3_u32 v81, v16, v81, v10
	v_mad_nc_u64_u32 v[86:87], s6, v6, s[8:9]
	v_add_nc_u64_e32 v[10:11], 60, v[4:5]
	v_mad_nc_u64_u32 v[88:89], s6, v6, s[10:11]
	v_add_nc_u64_e32 v[6:7], 64, v[4:5]
	v_add_nc_u64_e32 v[8:9], 36, v[4:5]
	s_delay_alu instid0(VALU_DEP_4)
	v_mul_lo_u32 v11, s6, v11
	v_mul_lo_u32 v15, s7, v10
	v_mad_nc_u64_u32 v[94:95], s6, v10, s[8:9]
	v_mad_nc_u64_u32 v[96:97], s6, v10, s[10:11]
	v_mul_lo_u32 v10, s6, v7
	v_mul_lo_u32 v16, s7, v6
	v_mad_nc_u64_u32 v[98:99], s6, v6, s[8:9]
	v_mad_nc_u64_u32 v[100:101], s6, v6, s[10:11]
	v_add_nc_u64_e32 v[6:7], 0x48, v[4:5]
	v_add3_u32 v87, v12, v87, v3
	v_add3_u32 v89, v12, v89, v3
	v_mul_lo_u32 v13, s6, v9
	v_mul_lo_u32 v14, s7, v8
	v_add3_u32 v95, v15, v95, v11
	v_add3_u32 v97, v15, v97, v11
	v_mul_lo_u32 v3, s6, v7
	v_mul_lo_u32 v12, s7, v6
	v_add3_u32 v99, v16, v99, v10
	v_add3_u32 v101, v16, v101, v10
	v_mad_nc_u64_u32 v[106:107], s6, v6, s[8:9]
	v_add_nc_u64_e32 v[10:11], 0x50, v[4:5]
	v_mad_nc_u64_u32 v[108:109], s6, v6, s[10:11]
	v_add_nc_u64_e32 v[6:7], 0x54, v[4:5]
	v_mad_nc_u64_u32 v[70:71], s6, v8, s[8:9]
	v_mad_nc_u64_u32 v[72:73], s6, v8, s[10:11]
	v_add_nc_u64_e32 v[8:9], 48, v[4:5]
	v_mul_lo_u32 v11, s6, v11
	v_mul_lo_u32 v15, s7, v10
	v_mad_nc_u64_u32 v[114:115], s6, v10, s[8:9]
	v_mad_nc_u64_u32 v[116:117], s6, v10, s[10:11]
	v_mul_lo_u32 v10, s6, v7
	v_mul_lo_u32 v16, s7, v6
	v_mad_nc_u64_u32 v[118:119], s6, v6, s[8:9]
	v_mad_nc_u64_u32 v[120:121], s6, v6, s[10:11]
	v_mul_lo_u32 v17, s6, v9
	v_mul_lo_u32 v18, s7, v8
	v_mad_nc_u64_u32 v[82:83], s6, v8, s[8:9]
	v_mad_nc_u64_u32 v[84:85], s6, v8, s[10:11]
	v_add_nc_u64_e32 v[8:9], 56, v[4:5]
	v_add_nc_u64_e32 v[6:7], 0x5c, v[4:5]
	v_add3_u32 v71, v14, v71, v13
	v_add3_u32 v73, v14, v73, v13
	;; [unrolled: 1-line block ×5, first 2 shown]
	v_mul_lo_u32 v13, s6, v9
	v_mul_lo_u32 v14, s7, v8
	v_mad_nc_u64_u32 v[90:91], s6, v8, s[8:9]
	v_mad_nc_u64_u32 v[92:93], s6, v8, s[10:11]
	v_add_nc_u64_e32 v[8:9], 0x44, v[4:5]
	v_add3_u32 v117, v15, v117, v11
	v_add3_u32 v119, v16, v119, v10
	;; [unrolled: 1-line block ×3, first 2 shown]
	v_mul_lo_u32 v3, s6, v7
	v_mul_lo_u32 v12, s7, v6
	v_mad_nc_u64_u32 v[126:127], s6, v6, s[8:9]
	v_add_nc_u64_e32 v[10:11], 0x64, v[4:5]
	v_mad_nc_u64_u32 v[128:129], s6, v6, s[10:11]
	v_add_nc_u64_e32 v[6:7], 0x68, v[4:5]
	v_add3_u32 v83, v18, v83, v17
	v_add3_u32 v85, v18, v85, v17
	v_mul_lo_u32 v17, s6, v9
	v_mul_lo_u32 v18, s7, v8
	v_mad_nc_u64_u32 v[102:103], s6, v8, s[8:9]
	v_mad_nc_u64_u32 v[104:105], s6, v8, s[10:11]
	v_add_nc_u64_e32 v[8:9], 0x4c, v[4:5]
	v_mul_lo_u32 v15, s7, v10
	v_mad_nc_u64_u32 v[134:135], s6, v10, s[8:9]
	v_mad_nc_u64_u32 v[136:137], s6, v10, s[10:11]
	v_mul_lo_u32 v10, s6, v7
	v_mul_lo_u32 v16, s7, v6
	v_mad_nc_u64_u32 v[138:139], s6, v6, s[8:9]
	v_mad_nc_u64_u32 v[140:141], s6, v6, s[10:11]
	v_add3_u32 v91, v14, v91, v13
	v_add3_u32 v93, v14, v93, v13
	v_mul_lo_u32 v13, s6, v9
	v_mul_lo_u32 v14, s7, v8
	v_mad_nc_u64_u32 v[110:111], s6, v8, s[8:9]
	v_mad_nc_u64_u32 v[112:113], s6, v8, s[10:11]
	v_add_nc_u64_e32 v[8:9], 0x58, v[4:5]
	v_add_nc_u64_e32 v[6:7], 0x70, v[4:5]
	v_add3_u32 v103, v18, v103, v17
	v_add3_u32 v105, v18, v105, v17
	;; [unrolled: 1-line block ×5, first 2 shown]
	v_mul_lo_u32 v17, s6, v9
	v_mul_lo_u32 v18, s7, v8
	v_mad_nc_u64_u32 v[122:123], s6, v8, s[8:9]
	v_mad_nc_u64_u32 v[124:125], s6, v8, s[10:11]
	v_add_nc_u64_e32 v[8:9], 0x60, v[4:5]
	v_add3_u32 v141, v16, v141, v10
	v_mul_lo_u32 v3, s6, v7
	v_mul_lo_u32 v16, s7, v6
	v_mad_nc_u64_u32 v[148:149], s6, v6, s[8:9]
	v_mad_nc_u64_u32 v[150:151], s6, v6, s[10:11]
	v_add3_u32 v111, v14, v111, v13
	v_add3_u32 v113, v14, v113, v13
	v_mul_lo_u32 v13, s6, v9
	v_mul_lo_u32 v14, s7, v8
	v_mad_nc_u64_u32 v[130:131], s6, v8, s[8:9]
	v_mad_nc_u64_u32 v[132:133], s6, v8, s[10:11]
	v_mul_lo_u32 v11, s6, v11
	v_add_nc_u64_e32 v[8:9], 0x6c, v[4:5]
	v_add3_u32 v123, v18, v123, v17
	v_add3_u32 v149, v16, v149, v3
	;; [unrolled: 1-line block ×3, first 2 shown]
	s_set_vgpr_msb 4                        ;  msbs: dst=0 src0=0 src1=1 src2=0
	v_add_nc_u32_e32 v16, s3, v40 /*v296*/
	s_set_vgpr_msb 0                        ;  msbs: dst=0 src0=0 src1=0 src2=0
	v_add_nc_u64_e32 v[6:7], s[18:19], v[146:147]
	v_add3_u32 v125, v18, v125, v17
	v_mul_lo_u32 v17, s6, v9
	v_add3_u32 v131, v14, v131, v13
	v_add3_u32 v133, v14, v133, v13
	v_mul_lo_u32 v18, s7, v8
	v_mad_nc_u64_u32 v[142:143], s6, v8, s[8:9]
	v_add_nc_u64_e32 v[12:13], 30, v[6:7]
	v_mad_nc_u64_u32 v[144:145], s6, v8, s[10:11]
	v_add_nc_u64_e32 v[8:9], 0x74, v[4:5]
	v_add3_u32 v135, v15, v135, v11
	v_add3_u32 v137, v15, v137, v11
	v_mul_u64_e32 v[14:15], s[6:7], v[6:7]
	v_add_nc_u64_e32 v[10:11], 0x78, v[4:5]
	v_mul_u64_e32 v[12:13], s[6:7], v[12:13]
	v_add_nc_u64_e32 v[4:5], 0x7c, v[4:5]
	v_mul_lo_u32 v19, s6, v9
	v_mul_lo_u32 v20, s7, v8
	v_mad_nc_u64_u32 v[152:153], s6, v8, s[8:9]
	v_mad_nc_u64_u32 v[154:155], s6, v8, s[10:11]
	v_add_nc_u64_e32 v[8:9], 31, v[6:7]
	v_mul_lo_u32 v21, s6, v11
	v_mul_lo_u32 v22, s7, v10
	v_mad_nc_u64_u32 v[156:157], s6, v10, s[8:9]
	v_mad_nc_u64_u32 v[158:159], s6, v10, s[10:11]
	v_add_nc_u64_e32 v[10:11], 29, v[6:7]
	v_mul_lo_u32 v23, s6, v5
	v_mul_u64_e32 v[8:9], s[6:7], v[8:9]
	v_mul_lo_u32 v24, s7, v4
	v_mad_nc_u64_u32 v[160:161], s6, v4, s[8:9]
	v_mad_nc_u64_u32 v[162:163], s6, v4, s[10:11]
	v_add_nc_u64_e32 v[36:37], 17, v[6:7]
	v_mul_u64_e32 v[4:5], s[6:7], v[10:11]
	v_add_nc_u64_e32 v[10:11], 28, v[6:7]
	v_add3_u32 v143, v18, v143, v17
	v_add3_u32 v145, v18, v145, v17
	v_mov_b32_e32 v17, v2
	v_add3_u32 v153, v20, v153, v19
	v_add3_u32 v155, v20, v155, v19
	v_add_nc_u64_e32 v[18:19], 27, v[6:7]
	v_mul_u64_e32 v[10:11], s[6:7], v[10:11]
	v_add3_u32 v157, v22, v157, v21
	v_add3_u32 v159, v22, v159, v21
	;; [unrolled: 1-line block ×4, first 2 shown]
	v_add_nc_u64_e32 v[22:23], 24, v[6:7]
	v_lshlrev_b64_e32 v[12:13], 2, v[12:13]
	v_mul_u64_e32 v[18:19], s[6:7], v[18:19]
	v_lshlrev_b64_e32 v[24:25], 2, v[14:15]
	v_add_nc_u64_e32 v[26:27], 23, v[6:7]
	v_add_nc_u64_e32 v[20:21], 25, v[6:7]
	;; [unrolled: 1-line block ×3, first 2 shown]
	v_mul_u64_e32 v[22:23], s[6:7], v[22:23]
	v_add_nc_u64_e32 v[174:175], s[8:9], v[12:13]
	v_add_nc_u64_e32 v[176:177], s[10:11], v[12:13]
	v_mul_u64_e32 v[12:13], s[6:7], v[36:37]
	v_mov_b32_e32 v37, v2
	v_lshlrev_b64_e32 v[164:165], 2, v[16:17]
	v_add_nc_u64_e32 v[16:17], 26, v[6:7]
	v_add_nc_u64_e32 v[166:167], s[8:9], v[24:25]
	;; [unrolled: 1-line block ×3, first 2 shown]
	v_mul_u64_e32 v[24:25], s[6:7], v[26:27]
	v_lshlrev_b64_e32 v[8:9], 2, v[8:9]
	v_mul_u64_e32 v[20:21], s[6:7], v[20:21]
	v_add_nc_u64_e32 v[26:27], 20, v[6:7]
	v_mul_u64_e32 v[16:17], s[6:7], v[16:17]
	v_add_nc_u64_e32 v[32:33], 19, v[6:7]
	v_add_nc_u64_e32 v[30:31], 21, v[6:7]
	v_mul_u64_e32 v[28:29], s[6:7], v[28:29]
	v_add_nc_u64_e32 v[34:35], 18, v[6:7]
	;; [unrolled: 3-line block ×3, first 2 shown]
	v_mul_u64_e32 v[8:9], s[6:7], v[32:33]
	v_lshlrev_b64_e32 v[4:5], 2, v[4:5]
	v_lshlrev_b64_e32 v[10:11], 2, v[10:11]
	v_mul_u64_e32 v[30:31], s[6:7], v[30:31]
	v_mul_u64_e32 v[32:33], s[6:7], v[34:35]
	v_add_nc_u64_e32 v[34:35], 15, v[6:7]
	v_lshlrev_b64_e32 v[18:19], 2, v[18:19]
	s_mov_b32 s3, 0
	v_add_nc_u64_e32 v[178:179], s[8:9], v[4:5]
	v_add_nc_u64_e32 v[180:181], s[10:11], v[4:5]
	;; [unrolled: 1-line block ×7, first 2 shown]
	v_lshlrev_b64_e32 v[18:19], 2, v[22:23]
	v_add_nc_u64_e32 v[22:23], 14, v[6:7]
	v_mul_u64_e32 v[4:5], s[6:7], v[4:5]
	v_lshlrev_b64_e32 v[12:13], 2, v[12:13]
	s_mov_b32 s23, s3
	v_mov_b32_e32 v36, v2
	s_mul_u64 s[24:25], s[6:7], s[22:23]
	v_add_nc_u64_e32 v[198:199], s[8:9], v[18:19]
	v_mul_u64_e32 v[22:23], s[6:7], v[22:23]
	v_lshlrev_b64_e32 v[10:11], 2, v[16:17]
	v_lshlrev_b64_e32 v[16:17], 2, v[20:21]
	v_add_nc_u64_e32 v[200:201], s[10:11], v[18:19]
	v_add_nc_u64_e32 v[226:227], s[8:9], v[12:13]
	;; [unrolled: 1-line block ×4, first 2 shown]
	v_mul_u64_e32 v[20:21], s[6:7], v[34:35]
	v_add_nc_u64_e32 v[190:191], s[8:9], v[10:11]
	v_add_nc_u64_e32 v[192:193], s[10:11], v[10:11]
	v_lshlrev_b64_e32 v[10:11], 2, v[24:25]
	v_add_nc_u64_e32 v[24:25], 13, v[6:7]
	v_add_nc_u64_e32 v[194:195], s[8:9], v[16:17]
	;; [unrolled: 1-line block ×3, first 2 shown]
	v_lshlrev_b64_e32 v[16:17], 2, v[28:29]
	v_lshlrev_b64_e32 v[8:9], 2, v[8:9]
	;; [unrolled: 1-line block ×3, first 2 shown]
	v_add_nc_u64_e32 v[202:203], s[8:9], v[10:11]
	v_mul_u64_e32 v[24:25], s[6:7], v[24:25]
	v_add_nc_u64_e32 v[204:205], s[10:11], v[10:11]
	v_lshlrev_b64_e32 v[10:11], 2, v[26:27]
	v_add_nc_u64_e32 v[26:27], 11, v[6:7]
	v_add_nc_u64_e32 v[206:207], s[8:9], v[16:17]
	;; [unrolled: 1-line block ×3, first 2 shown]
	v_lshlrev_b64_e32 v[16:17], 2, v[32:33]
	v_add_nc_u64_e32 v[218:219], s[8:9], v[8:9]
	v_add_nc_u64_e32 v[28:29], 9, v[6:7]
	;; [unrolled: 1-line block ×5, first 2 shown]
	v_mul_u64_e32 v[26:27], s[6:7], v[26:27]
	v_add_nc_u64_e32 v[30:31], 8, v[6:7]
	v_add_nc_u64_e32 v[220:221], s[10:11], v[8:9]
	v_add_nc_u64_e32 v[8:9], 7, v[6:7]
	v_add_nc_u64_e32 v[222:223], s[8:9], v[16:17]
	v_add_nc_u64_e32 v[224:225], s[10:11], v[16:17]
	v_mul_u64_e32 v[10:11], s[6:7], v[10:11]
	v_mul_u64_e32 v[16:17], s[6:7], v[28:29]
	;; [unrolled: 1-line block ×3, first 2 shown]
	v_add_nc_u64_e32 v[30:31], 6, v[6:7]
	v_mul_u64_e32 v[8:9], s[6:7], v[8:9]
	v_add_nc_u64_e32 v[32:33], 5, v[6:7]
	v_add_nc_u64_e32 v[210:211], s[8:9], v[18:19]
	;; [unrolled: 1-line block ×4, first 2 shown]
	v_lshlrev_b64_e32 v[4:5], 2, v[4:5]
	v_mul_u64_e32 v[30:31], s[6:7], v[30:31]
	v_add_nc_u64_e32 v[34:35], 3, v[6:7]
	v_mul_u64_e32 v[32:33], s[6:7], v[32:33]
	v_add_nc_u64_e32 v[6:7], 2, v[6:7]
	v_mul_u64_e32 v[12:13], s[6:7], v[12:13]
	v_mul_u64_e32 v[18:19], s[6:7], v[18:19]
	v_add_nc_u64_e32 v[230:231], s[8:9], v[4:5]
	v_add_nc_u64_e32 v[232:233], s[10:11], v[4:5]
	v_lshlrev_b64_e32 v[4:5], 2, v[22:23]
	v_lshlrev_b64_e32 v[22:23], 2, v[24:25]
	v_mul_u64_e32 v[24:25], s[6:7], v[34:35]
	v_mul_u64_e32 v[6:7], s[6:7], v[6:7]
	v_lshlrev_b64_e32 v[20:21], 2, v[20:21]
	v_add_nc_u64_e32 v[238:239], s[8:9], v[4:5]
	v_add_nc_u64_e32 v[240:241], s[10:11], v[4:5]
	v_lshlrev_b64_e32 v[4:5], 2, v[26:27]
	v_add_nc_u64_e32 v[242:243], s[8:9], v[22:23]
	v_add_nc_u64_e32 v[234:235], s[8:9], v[20:21]
	;; [unrolled: 1-line block ×4, first 2 shown]
	v_lshlrev_b64_e32 v[10:11], 2, v[10:11]
	v_lshlrev_b64_e32 v[16:17], 2, v[16:17]
	v_add_nc_u64_e32 v[250:251], s[8:9], v[4:5]
	v_add_nc_u64_e32 v[252:253], s[10:11], v[4:5]
	v_lshlrev_b64_e32 v[4:5], 2, v[28:29]
	v_lshlrev_b64_e32 v[8:9], 2, v[8:9]
	v_add_nc_u64_e32 v[254:255], s[8:9], v[10:11]
	s_set_vgpr_msb 64                       ;  msbs: dst=1 src0=0 src1=0 src2=0
	v_add_nc_u64_e32 v[0:1] /*v[256:257]*/, s[10:11], v[10:11]
	v_add_nc_u64_e32 v[2:3] /*v[258:259]*/, s[8:9], v[16:17]
	s_set_vgpr_msb 0                        ;  msbs: dst=0 src0=0 src1=0 src2=0
	v_lshlrev_b64_e32 v[10:11], 2, v[30:31]
	s_set_vgpr_msb 64                       ;  msbs: dst=1 src0=0 src1=0 src2=0
	v_add_nc_u64_e32 v[6:7] /*v[262:263]*/, s[8:9], v[4:5]
	v_add_nc_u64_e32 v[8:9] /*v[264:265]*/, s[10:11], v[4:5]
	;; [unrolled: 1-line block ×4, first 2 shown]
	s_set_vgpr_msb 0                        ;  msbs: dst=0 src0=0 src1=0 src2=0
	v_lshlrev_b64_e32 v[4:5], 2, v[32:33]
	v_lshlrev_b64_e32 v[8:9], 2, v[12:13]
	v_add_nc_u64_e32 v[12:13], s[6:7], v[14:15]
	v_lshlrev_b64_e32 v[18:19], 2, v[18:19]
	s_set_vgpr_msb 64                       ;  msbs: dst=1 src0=0 src1=0 src2=0
	v_add_nc_u64_e32 v[14:15] /*v[270:271]*/, s[8:9], v[10:11]
	v_add_nc_u64_e32 v[16:17] /*v[272:273]*/, s[10:11], v[10:11]
	s_set_vgpr_msb 0                        ;  msbs: dst=0 src0=0 src1=0 src2=0
	v_lshlrev_b64_e32 v[10:11], 2, v[24:25]
	v_lshlrev_b64_e32 v[6:7], 2, v[6:7]
	s_set_vgpr_msb 64                       ;  msbs: dst=1 src0=0 src1=0 src2=0
	v_add_nc_u64_e32 v[18:19] /*v[274:275]*/, s[8:9], v[4:5]
	v_add_nc_u64_e32 v[20:21] /*v[276:277]*/, s[10:11], v[4:5]
	s_set_vgpr_msb 0                        ;  msbs: dst=0 src0=0 src1=0 src2=0
	v_lshlrev_b64_e32 v[4:5], 2, v[12:13]
	v_add_nc_u64_e32 v[246:247], s[8:9], v[18:19]
	v_add_nc_u64_e32 v[248:249], s[10:11], v[18:19]
	s_set_vgpr_msb 64                       ;  msbs: dst=1 src0=0 src1=0 src2=0
	v_add_nc_u64_e32 v[4:5] /*v[260:261]*/, s[10:11], v[16:17]
	v_add_nc_u64_e32 v[22:23] /*v[278:279]*/, s[8:9], v[8:9]
	;; [unrolled: 1-line block ×9, first 2 shown]
	s_lshl_b64 s[8:9], s[24:25], 2
	s_mov_b64 s[10:11], 31
	s_mov_b64 s[24:25], s[18:19]
	s_set_vgpr_msb 0                        ;  msbs: dst=0 src0=0 src1=0 src2=0
	s_branch .LBB61_146
.LBB61_144:                             ;   in Loop: Header=BB61_146 Depth=1
	s_wait_xcnt 0x0
	s_or_b32 exec_lo, exec_lo, s2
	v_add_nc_u64_e32 v[4:5], v[166:167], v[164:165]
	s_wait_loadcnt 0x1
	s_set_vgpr_msb 64                       ;  msbs: dst=1 src0=0 src1=0 src2=0
	ds_bpermute_b32 v43 /*v299*/, v2, v3
	s_wait_loadcnt 0x0
	s_set_vgpr_msb 0                        ;  msbs: dst=0 src0=0 src1=0 src2=0
	ds_bpermute_b32 v11, v2, v8
	s_set_vgpr_msb 64                       ;  msbs: dst=1 src0=0 src1=0 src2=0
	v_add_nc_u64_e32 v[74:75] /*v[330:331]*/, v[162:163], v[164:165]
	s_set_vgpr_msb 0                        ;  msbs: dst=0 src0=0 src1=0 src2=0
	global_load_b32 v6, v[4:5], off
	s_wait_xcnt 0x0
	v_add_nc_u64_e32 v[4:5], v[168:169], v[164:165]
	global_load_b32 v7, v[4:5], off
	s_wait_xcnt 0x0
	v_add_nc_u64_e32 v[4:5], v[38:39], v[164:165]
	;; [unrolled: 3-line block ×28, first 2 shown]
	s_set_vgpr_msb 64                       ;  msbs: dst=1 src0=0 src1=0 src2=0
	global_load_b32 v38 /*v294*/, v[4:5], off
	s_wait_xcnt 0x0
	s_set_vgpr_msb 0                        ;  msbs: dst=0 src0=0 src1=0 src2=0
	v_add_nc_u64_e32 v[4:5], v[92:93], v[164:165]
	s_set_vgpr_msb 64                       ;  msbs: dst=1 src0=0 src1=0 src2=0
	global_load_b32 v39 /*v295*/, v[4:5], off
	s_wait_xcnt 0x0
	s_set_vgpr_msb 0                        ;  msbs: dst=0 src0=0 src1=0 src2=0
	v_add_nc_u64_e32 v[4:5], v[94:95], v[164:165]
	s_set_vgpr_msb 64                       ;  msbs: dst=1 src0=0 src1=0 src2=0
	global_load_b32 v42 /*v298*/, v[4:5], off
	s_wait_xcnt 0x0
	s_set_vgpr_msb 0                        ;  msbs: dst=0 src0=0 src1=0 src2=0
	v_add_nc_u64_e32 v[4:5], v[96:97], v[164:165]
	s_set_vgpr_msb 64                       ;  msbs: dst=1 src0=0 src1=0 src2=0
	global_load_b32 v41 /*v297*/, v[4:5], off
	s_wait_xcnt 0x0
	s_set_vgpr_msb 0                        ;  msbs: dst=0 src0=0 src1=0 src2=0
	v_add_nc_u64_e32 v[4:5], v[98:99], v[164:165]
	s_set_vgpr_msb 64                       ;  msbs: dst=1 src0=0 src1=0 src2=0
	global_load_b32 v44 /*v300*/, v[4:5], off
	s_wait_xcnt 0x0
	s_set_vgpr_msb 0                        ;  msbs: dst=0 src0=0 src1=0 src2=0
	v_add_nc_u64_e32 v[4:5], v[100:101], v[164:165]
	s_set_vgpr_msb 64                       ;  msbs: dst=1 src0=0 src1=0 src2=0
	global_load_b32 v45 /*v301*/, v[4:5], off
	s_wait_xcnt 0x0
	s_set_vgpr_msb 0                        ;  msbs: dst=0 src0=0 src1=0 src2=0
	v_add_nc_u64_e32 v[4:5], v[102:103], v[164:165]
	s_set_vgpr_msb 64                       ;  msbs: dst=1 src0=0 src1=0 src2=0
	global_load_b32 v46 /*v302*/, v[4:5], off
	s_wait_xcnt 0x0
	s_set_vgpr_msb 0                        ;  msbs: dst=0 src0=0 src1=0 src2=0
	v_add_nc_u64_e32 v[4:5], v[104:105], v[164:165]
	s_set_vgpr_msb 64                       ;  msbs: dst=1 src0=0 src1=0 src2=0
	global_load_b32 v47 /*v303*/, v[4:5], off
	s_wait_xcnt 0x0
	s_set_vgpr_msb 0                        ;  msbs: dst=0 src0=0 src1=0 src2=0
	v_add_nc_u64_e32 v[4:5], v[106:107], v[164:165]
	s_set_vgpr_msb 64                       ;  msbs: dst=1 src0=0 src1=0 src2=0
	global_load_b32 v48 /*v304*/, v[4:5], off
	s_wait_xcnt 0x0
	s_set_vgpr_msb 0                        ;  msbs: dst=0 src0=0 src1=0 src2=0
	v_add_nc_u64_e32 v[4:5], v[108:109], v[164:165]
	s_set_vgpr_msb 64                       ;  msbs: dst=1 src0=0 src1=0 src2=0
	global_load_b32 v49 /*v305*/, v[4:5], off
	s_wait_xcnt 0x0
	s_set_vgpr_msb 0                        ;  msbs: dst=0 src0=0 src1=0 src2=0
	v_add_nc_u64_e32 v[4:5], v[110:111], v[164:165]
	s_set_vgpr_msb 64                       ;  msbs: dst=1 src0=0 src1=0 src2=0
	global_load_b32 v50 /*v306*/, v[4:5], off
	s_wait_xcnt 0x0
	s_set_vgpr_msb 0                        ;  msbs: dst=0 src0=0 src1=0 src2=0
	v_add_nc_u64_e32 v[4:5], v[112:113], v[164:165]
	s_set_vgpr_msb 64                       ;  msbs: dst=1 src0=0 src1=0 src2=0
	global_load_b32 v51 /*v307*/, v[4:5], off
	s_wait_xcnt 0x0
	s_set_vgpr_msb 0                        ;  msbs: dst=0 src0=0 src1=0 src2=0
	v_add_nc_u64_e32 v[4:5], v[114:115], v[164:165]
	s_set_vgpr_msb 64                       ;  msbs: dst=1 src0=0 src1=0 src2=0
	global_load_b32 v52 /*v308*/, v[4:5], off
	s_wait_xcnt 0x0
	s_set_vgpr_msb 0                        ;  msbs: dst=0 src0=0 src1=0 src2=0
	v_add_nc_u64_e32 v[4:5], v[116:117], v[164:165]
	s_set_vgpr_msb 64                       ;  msbs: dst=1 src0=0 src1=0 src2=0
	global_load_b32 v53 /*v309*/, v[4:5], off
	s_wait_loadcnt_dscnt 0x2801
	s_set_vgpr_msb 4                        ;  msbs: dst=0 src0=0 src1=1 src2=0
	v_sub_f32_e32 v7, v7, v43 /*v299*/
	s_set_vgpr_msb 64                       ;  msbs: dst=1 src0=0 src1=0 src2=0
	ds_bpermute_b32 v43 /*v299*/, v2, v3 offset:4
	s_wait_xcnt 0x0
	s_set_vgpr_msb 0                        ;  msbs: dst=0 src0=0 src1=0 src2=0
	v_add_nc_u64_e32 v[4:5], v[118:119], v[164:165]
	s_set_vgpr_msb 64                       ;  msbs: dst=1 src0=0 src1=0 src2=0
	global_load_b32 v54 /*v310*/, v[4:5], off
	s_wait_xcnt 0x0
	s_set_vgpr_msb 0                        ;  msbs: dst=0 src0=0 src1=0 src2=0
	v_add_nc_u64_e32 v[4:5], v[120:121], v[164:165]
	s_set_vgpr_msb 64                       ;  msbs: dst=1 src0=0 src1=0 src2=0
	global_load_b32 v55 /*v311*/, v[4:5], off
	s_wait_xcnt 0x0
	s_set_vgpr_msb 0                        ;  msbs: dst=0 src0=0 src1=0 src2=0
	v_add_nc_u64_e32 v[4:5], v[122:123], v[164:165]
	s_wait_loadcnt_dscnt 0x2800
	s_set_vgpr_msb 4                        ;  msbs: dst=0 src0=0 src1=1 src2=0
	v_sub_f32_e32 v9, v9, v43 /*v299*/
	s_set_vgpr_msb 64                       ;  msbs: dst=1 src0=0 src1=0 src2=0
	ds_bpermute_b32 v43 /*v299*/, v2, v3 offset:8
	global_load_b32 v56 /*v312*/, v[4:5], off
	s_wait_xcnt 0x0
	s_set_vgpr_msb 0                        ;  msbs: dst=0 src0=0 src1=0 src2=0
	v_add_nc_u64_e32 v[4:5], v[124:125], v[164:165]
	v_mul_f32_e32 v9, v10, v9
	s_set_vgpr_msb 64                       ;  msbs: dst=1 src0=0 src1=0 src2=0
	global_load_b32 v57 /*v313*/, v[4:5], off
	s_wait_xcnt 0x0
	s_set_vgpr_msb 0                        ;  msbs: dst=0 src0=0 src1=0 src2=0
	v_add_nc_u64_e32 v[4:5], v[126:127], v[164:165]
	s_set_vgpr_msb 64                       ;  msbs: dst=1 src0=0 src1=0 src2=0
	global_load_b32 v58 /*v314*/, v[4:5], off
	s_wait_loadcnt_dscnt 0x2900
	s_set_vgpr_msb 4                        ;  msbs: dst=0 src0=0 src1=1 src2=0
	v_sub_f32_e32 v13, v13, v43 /*v299*/
	s_set_vgpr_msb 64                       ;  msbs: dst=1 src0=0 src1=0 src2=0
	ds_bpermute_b32 v43 /*v299*/, v2, v3 offset:12
	s_wait_xcnt 0x0
	s_set_vgpr_msb 0                        ;  msbs: dst=0 src0=0 src1=0 src2=0
	v_add_nc_u64_e32 v[4:5], v[128:129], v[164:165]
	s_set_vgpr_msb 64                       ;  msbs: dst=1 src0=0 src1=0 src2=0
	global_load_b32 v59 /*v315*/, v[4:5], off
	s_wait_xcnt 0x0
	s_set_vgpr_msb 0                        ;  msbs: dst=0 src0=0 src1=0 src2=0
	v_add_nc_u64_e32 v[4:5], v[130:131], v[164:165]
	s_set_vgpr_msb 64                       ;  msbs: dst=1 src0=0 src1=0 src2=0
	global_load_b32 v60 /*v316*/, v[4:5], off
	s_wait_xcnt 0x0
	s_set_vgpr_msb 0                        ;  msbs: dst=0 src0=0 src1=0 src2=0
	v_add_nc_u64_e32 v[4:5], v[132:133], v[164:165]
	s_wait_loadcnt_dscnt 0x2900
	s_set_vgpr_msb 4                        ;  msbs: dst=0 src0=0 src1=1 src2=0
	v_sub_f32_e32 v15, v15, v43 /*v299*/
	s_set_vgpr_msb 64                       ;  msbs: dst=1 src0=0 src1=0 src2=0
	ds_bpermute_b32 v43 /*v299*/, v2, v3 offset:16
	s_set_vgpr_msb 0                        ;  msbs: dst=0 src0=0 src1=0 src2=0
	v_dual_mul_f32 v7, v6, v7 :: v_dual_mul_f32 v13, v12, v13
	s_set_vgpr_msb 64                       ;  msbs: dst=1 src0=0 src1=0 src2=0
	global_load_b32 v61 /*v317*/, v[4:5], off
	s_wait_xcnt 0x0
	s_set_vgpr_msb 0                        ;  msbs: dst=0 src0=0 src1=0 src2=0
	v_add_nc_u64_e32 v[4:5], v[134:135], v[164:165]
	v_mul_f32_e32 v7, v7, v11
	ds_bpermute_b32 v11, v2, v8 offset:4
	s_set_vgpr_msb 64                       ;  msbs: dst=1 src0=0 src1=0 src2=0
	global_load_b32 v62 /*v318*/, v[4:5], off
	s_wait_xcnt 0x0
	s_set_vgpr_msb 0                        ;  msbs: dst=0 src0=0 src1=0 src2=0
	v_add_nc_u64_e32 v[4:5], v[136:137], v[164:165]
	v_pk_add_f32 v[6:7], v[36:37], v[6:7]
	s_set_vgpr_msb 64                       ;  msbs: dst=1 src0=0 src1=0 src2=0
	global_load_b32 v63 /*v319*/, v[4:5], off
	s_wait_loadcnt_dscnt 0x2a01
	s_set_vgpr_msb 4                        ;  msbs: dst=0 src0=0 src1=1 src2=0
	v_sub_f32_e32 v17, v17, v43 /*v299*/
	s_set_vgpr_msb 64                       ;  msbs: dst=1 src0=0 src1=0 src2=0
	ds_bpermute_b32 v43 /*v299*/, v2, v3 offset:20
	s_wait_xcnt 0x0
	s_set_vgpr_msb 0                        ;  msbs: dst=0 src0=0 src1=0 src2=0
	v_add_nc_u64_e32 v[4:5], v[138:139], v[164:165]
	s_set_vgpr_msb 64                       ;  msbs: dst=1 src0=0 src1=0 src2=0
	global_load_b32 v64 /*v320*/, v[4:5], off
	s_wait_xcnt 0x0
	s_set_vgpr_msb 0                        ;  msbs: dst=0 src0=0 src1=0 src2=0
	v_add_nc_u64_e32 v[4:5], v[140:141], v[164:165]
	s_set_vgpr_msb 64                       ;  msbs: dst=1 src0=0 src1=0 src2=0
	global_load_b32 v65 /*v321*/, v[4:5], off
	s_wait_xcnt 0x0
	s_set_vgpr_msb 0                        ;  msbs: dst=0 src0=0 src1=0 src2=0
	v_add_nc_u64_e32 v[4:5], v[142:143], v[164:165]
	s_wait_loadcnt_dscnt 0x2a00
	s_set_vgpr_msb 4                        ;  msbs: dst=0 src0=0 src1=1 src2=0
	v_sub_f32_e32 v19, v19, v43 /*v299*/
	s_set_vgpr_msb 0                        ;  msbs: dst=0 src0=0 src1=0 src2=0
	v_dual_mul_f32 v15, v14, v15 :: v_dual_mul_f32 v17, v16, v17
	v_mul_f32_e32 v11, v9, v11
	ds_bpermute_b32 v9, v2, v8 offset:8
	s_set_vgpr_msb 64                       ;  msbs: dst=1 src0=0 src1=0 src2=0
	ds_bpermute_b32 v43 /*v299*/, v2, v3 offset:24
	global_load_b32 v66 /*v322*/, v[4:5], off
	s_wait_xcnt 0x0
	s_set_vgpr_msb 0                        ;  msbs: dst=0 src0=0 src1=0 src2=0
	v_add_nc_u64_e32 v[4:5], v[144:145], v[164:165]
	v_mul_f32_e32 v19, v18, v19
	s_set_vgpr_msb 64                       ;  msbs: dst=1 src0=0 src1=0 src2=0
	global_load_b32 v67 /*v323*/, v[4:5], off
	s_wait_xcnt 0x0
	s_set_vgpr_msb 0                        ;  msbs: dst=0 src0=0 src1=0 src2=0
	v_add_nc_u64_e32 v[4:5], v[148:149], v[164:165]
	s_set_vgpr_msb 64                       ;  msbs: dst=1 src0=0 src1=0 src2=0
	global_load_b32 v68 /*v324*/, v[4:5], off
	s_wait_xcnt 0x0
	s_set_vgpr_msb 0                        ;  msbs: dst=0 src0=0 src1=0 src2=0
	v_add_nc_u64_e32 v[4:5], v[150:151], v[164:165]
	s_wait_dscnt 0x1
	v_mul_f32_e32 v13, v13, v9
	ds_bpermute_b32 v9, v2, v8 offset:12
	s_wait_loadcnt_dscnt 0x2b01
	s_set_vgpr_msb 4                        ;  msbs: dst=0 src0=0 src1=1 src2=0
	v_sub_f32_e32 v21, v21, v43 /*v299*/
	s_set_vgpr_msb 64                       ;  msbs: dst=1 src0=0 src1=0 src2=0
	ds_bpermute_b32 v43 /*v299*/, v2, v3 offset:28
	global_load_b32 v69 /*v325*/, v[4:5], off
	s_wait_xcnt 0x0
	s_set_vgpr_msb 0                        ;  msbs: dst=0 src0=0 src1=0 src2=0
	v_add_nc_u64_e32 v[4:5], v[152:153], v[164:165]
	s_set_vgpr_msb 64                       ;  msbs: dst=1 src0=0 src1=0 src2=0
	global_load_b32 v70 /*v326*/, v[4:5], off
	s_wait_xcnt 0x0
	s_set_vgpr_msb 0                        ;  msbs: dst=0 src0=0 src1=0 src2=0
	v_add_nc_u64_e32 v[4:5], v[154:155], v[164:165]
	s_wait_dscnt 0x1
	v_mul_f32_e32 v15, v15, v9
	ds_bpermute_b32 v9, v2, v8 offset:16
	s_wait_loadcnt_dscnt 0x2b01
	s_set_vgpr_msb 4                        ;  msbs: dst=0 src0=0 src1=1 src2=0
	v_sub_f32_e32 v23, v23, v43 /*v299*/
	s_set_vgpr_msb 0                        ;  msbs: dst=0 src0=0 src1=0 src2=0
	v_mul_f32_e32 v21, v20, v21
	s_set_vgpr_msb 64                       ;  msbs: dst=1 src0=0 src1=0 src2=0
	ds_bpermute_b32 v43 /*v299*/, v2, v3 offset:32
	s_set_vgpr_msb 0                        ;  msbs: dst=0 src0=0 src1=0 src2=0
	v_pk_add_f32 v[6:7], v[6:7], v[10:11]
	ds_bpermute_b32 v10, v2, v3 offset:44
	v_mul_f32_e32 v23, v22, v23
	s_set_vgpr_msb 64                       ;  msbs: dst=1 src0=0 src1=0 src2=0
	global_load_b32 v71 /*v327*/, v[4:5], off
	s_wait_xcnt 0x0
	s_set_vgpr_msb 0                        ;  msbs: dst=0 src0=0 src1=0 src2=0
	v_add_nc_u64_e32 v[4:5], v[156:157], v[164:165]
	v_pk_add_f32 v[6:7], v[6:7], v[12:13]
	s_delay_alu instid0(VALU_DEP_1)
	v_pk_add_f32 v[6:7], v[6:7], v[14:15]
	s_set_vgpr_msb 64                       ;  msbs: dst=1 src0=0 src1=0 src2=0
	global_load_b32 v72 /*v328*/, v[4:5], off
	s_wait_xcnt 0x0
	s_set_vgpr_msb 0                        ;  msbs: dst=0 src0=0 src1=0 src2=0
	v_add_nc_u64_e32 v[4:5], v[158:159], v[164:165]
	s_wait_dscnt 0x2
	v_mul_f32_e32 v17, v17, v9
	ds_bpermute_b32 v9, v2, v8 offset:20
	s_wait_loadcnt_dscnt 0x2b02
	s_set_vgpr_msb 4                        ;  msbs: dst=0 src0=0 src1=1 src2=0
	v_sub_f32_e32 v25, v25, v43 /*v299*/
	s_set_vgpr_msb 64                       ;  msbs: dst=1 src0=0 src1=0 src2=0
	ds_bpermute_b32 v43 /*v299*/, v2, v3 offset:36
	global_load_b32 v73 /*v329*/, v[4:5], off
	s_wait_xcnt 0x0
	s_set_vgpr_msb 0                        ;  msbs: dst=0 src0=0 src1=0 src2=0
	v_add_nc_u64_e32 v[4:5], v[160:161], v[164:165]
	s_wait_loadcnt_dscnt 0x2602
	v_sub_f32_e32 v10, v31, v10
	s_delay_alu instid0(VALU_DEP_1)
	v_mul_f32_e32 v10, v30, v10
	global_load_b32 v4, v[4:5], off
	s_set_vgpr_msb 1                        ;  msbs: dst=0 src0=1 src1=0 src2=0
	global_load_b32 v5, v[74:75] /*v[330:331]*/, off
	s_wait_dscnt 0x1
	s_set_vgpr_msb 0                        ;  msbs: dst=0 src0=0 src1=0 src2=0
	v_mul_f32_e32 v19, v19, v9
	ds_bpermute_b32 v9, v2, v8 offset:24
	v_pk_add_f32 v[6:7], v[6:7], v[16:17]
	s_wait_dscnt 0x1
	s_set_vgpr_msb 4                        ;  msbs: dst=0 src0=0 src1=1 src2=0
	v_sub_f32_e32 v27, v27, v43 /*v299*/
	s_set_vgpr_msb 0                        ;  msbs: dst=0 src0=0 src1=0 src2=0
	v_mul_f32_e32 v25, v24, v25
	s_set_vgpr_msb 64                       ;  msbs: dst=1 src0=0 src1=0 src2=0
	ds_bpermute_b32 v43 /*v299*/, v2, v3 offset:40
	s_set_vgpr_msb 0                        ;  msbs: dst=0 src0=0 src1=0 src2=0
	v_pk_add_f32 v[6:7], v[6:7], v[18:19]
	s_wait_dscnt 0x1
	v_dual_mul_f32 v27, v26, v27 :: v_dual_mul_f32 v21, v21, v9
	ds_bpermute_b32 v9, v2, v8 offset:28
	s_wait_dscnt 0x1
	s_set_vgpr_msb 4                        ;  msbs: dst=0 src0=0 src1=1 src2=0
	v_sub_f32_e32 v29, v29, v43 /*v299*/
	s_set_vgpr_msb 0                        ;  msbs: dst=0 src0=0 src1=0 src2=0
	s_delay_alu instid0(VALU_DEP_1) | instskip(SKIP_4) | instid1(VALU_DEP_1)
	v_mul_f32_e32 v29, v28, v29
	s_wait_dscnt 0x0
	v_mul_f32_e32 v23, v23, v9
	ds_bpermute_b32 v9, v2, v8 offset:32
	v_pk_add_f32 v[6:7], v[6:7], v[20:21]
	v_pk_add_f32 v[6:7], v[6:7], v[22:23]
	s_wait_dscnt 0x0
	v_mul_f32_e32 v25, v25, v9
	ds_bpermute_b32 v9, v2, v8 offset:36
	s_wait_dscnt 0x0
	v_mul_f32_e32 v27, v27, v9
	ds_bpermute_b32 v9, v2, v8 offset:40
	v_pk_add_f32 v[6:7], v[6:7], v[24:25]
	s_delay_alu instid0(VALU_DEP_1)
	v_pk_add_f32 v[6:7], v[6:7], v[26:27]
	s_wait_dscnt 0x0
	v_mul_f32_e32 v29, v29, v9
	ds_bpermute_b32 v9, v2, v8 offset:44
	v_pk_add_f32 v[6:7], v[6:7], v[28:29]
	s_wait_dscnt 0x0
	v_mul_f32_e32 v31, v10, v9
	ds_bpermute_b32 v10, v2, v3 offset:48
	ds_bpermute_b32 v9, v2, v8 offset:48
	s_wait_loadcnt_dscnt 0x2601
	v_sub_f32_e32 v10, v33, v10
	v_pk_add_f32 v[6:7], v[6:7], v[30:31]
	s_delay_alu instid0(VALU_DEP_2) | instskip(SKIP_1) | instid1(VALU_DEP_1)
	v_mul_f32_e32 v10, v32, v10
	s_wait_dscnt 0x0
	v_mul_f32_e32 v33, v10, v9
	ds_bpermute_b32 v10, v2, v3 offset:52
	ds_bpermute_b32 v9, v2, v8 offset:52
	s_wait_loadcnt_dscnt 0x2401
	v_sub_f32_e32 v10, v35, v10
	v_pk_add_f32 v[6:7], v[6:7], v[32:33]
	s_delay_alu instid0(VALU_DEP_2) | instskip(SKIP_1) | instid1(VALU_DEP_1)
	v_mul_f32_e32 v10, v34, v10
	s_wait_dscnt 0x0
	v_mul_f32_e32 v35, v10, v9
	ds_bpermute_b32 v10, v2, v3 offset:56
	ds_bpermute_b32 v9, v2, v8 offset:56
	s_wait_loadcnt_dscnt 0x2201
	s_set_vgpr_msb 1                        ;  msbs: dst=0 src0=1 src1=0 src2=0
	v_sub_f32_e32 v10, v39 /*v295*/, v10
	s_delay_alu instid0(VALU_DEP_1) | instskip(SKIP_2) | instid1(VALU_DEP_1)
	v_mul_f32_e32 v10, v38 /*v294*/, v10
	s_wait_dscnt 0x0
	s_set_vgpr_msb 64                       ;  msbs: dst=1 src0=0 src1=0 src2=0
	v_mul_f32_e32 v39 /*v295*/, v10, v9
	s_set_vgpr_msb 0                        ;  msbs: dst=0 src0=0 src1=0 src2=0
	ds_bpermute_b32 v10, v2, v3 offset:60
	ds_bpermute_b32 v9, v2, v8 offset:60
	s_wait_loadcnt_dscnt 0x2001
	s_set_vgpr_msb 1                        ;  msbs: dst=0 src0=1 src1=0 src2=0
	v_sub_f32_e32 v10, v41 /*v297*/, v10
	s_delay_alu instid0(VALU_DEP_1) | instskip(SKIP_2) | instid1(VALU_DEP_1)
	v_mul_f32_e32 v10, v42 /*v298*/, v10
	s_wait_dscnt 0x0
	s_set_vgpr_msb 64                       ;  msbs: dst=1 src0=0 src1=0 src2=0
	v_mul_f32_e32 v43 /*v299*/, v10, v9
	s_set_vgpr_msb 0                        ;  msbs: dst=0 src0=0 src1=0 src2=0
	;; [unrolled: 11-line block ×16, first 2 shown]
	ds_bpermute_b32 v10, v2, v3 offset:120
	ds_bpermute_b32 v3, v2, v3 offset:124
	;; [unrolled: 1-line block ×4, first 2 shown]
	s_wait_loadcnt_dscnt 0x203
	s_set_vgpr_msb 1                        ;  msbs: dst=0 src0=1 src1=0 src2=0
	v_sub_f32_e32 v10, v73 /*v329*/, v10
	s_wait_loadcnt_dscnt 0x2
	s_set_vgpr_msb 0                        ;  msbs: dst=0 src0=0 src1=0 src2=0
	v_sub_f32_e32 v3, v5, v3
	s_set_vgpr_msb 1                        ;  msbs: dst=0 src0=1 src1=0 src2=0
	v_mul_f32_e32 v10, v72 /*v328*/, v10
	s_set_vgpr_msb 0                        ;  msbs: dst=0 src0=0 src1=0 src2=0
	s_delay_alu instid0(VALU_DEP_2)
	v_mul_f32_e32 v3, v4, v3
	s_wait_dscnt 0x1
	s_set_vgpr_msb 64                       ;  msbs: dst=1 src0=0 src1=0 src2=0
	v_mul_f32_e32 v73 /*v329*/, v10, v9
	s_wait_dscnt 0x0
	s_set_vgpr_msb 0                        ;  msbs: dst=0 src0=0 src1=0 src2=0
	v_mul_f32_e32 v5, v3, v8
	v_pk_add_f32 v[6:7], v[6:7], v[34:35]
	s_set_vgpr_msb 4                        ;  msbs: dst=0 src0=0 src1=1 src2=0
	s_delay_alu instid0(VALU_DEP_1) | instskip(NEXT) | instid1(VALU_DEP_1)
	v_pk_add_f32 v[6:7], v[6:7], v[38:39] /*v[294:295]*/
	v_pk_add_f32 v[6:7], v[6:7], v[42:43] /*v[298:299]*/
	s_delay_alu instid0(VALU_DEP_1) | instskip(NEXT) | instid1(VALU_DEP_1)
	v_pk_add_f32 v[6:7], v[6:7], v[44:45] /*v[300:301]*/
	v_pk_add_f32 v[6:7], v[6:7], v[46:47] /*v[302:303]*/
	;; [unrolled: 3-line block ×8, first 2 shown]
	s_delay_alu instid0(VALU_DEP_1)
	v_pk_add_f32 v[6:7], v[6:7], v[72:73] /*v[328:329]*/
.LBB61_145:                             ;   in Loop: Header=BB61_146 Depth=1
	s_add_nc_u64 s[24:25], s[24:25], s[22:23]
	s_set_vgpr_msb 0                        ;  msbs: dst=0 src0=0 src1=0 src2=0
	v_add_nc_u64_e32 v[166:167], s[8:9], v[166:167]
	v_cmp_ge_i64_e64 s2, s[24:25], s[4:5]
	v_add_nc_u64_e32 v[168:169], s[8:9], v[168:169]
	v_add_nc_u64_e32 v[38:39], s[8:9], v[38:39]
	;; [unrolled: 1-line block ×107, first 2 shown]
	s_set_vgpr_msb 0x44                     ;  msbs: dst=1 src0=0 src1=1 src2=0
	v_add_nc_u64_e32 v[0:1] /*v[256:257]*/, s[8:9], v[0:1] /*v[256:257]*/
	v_add_nc_u64_e32 v[2:3] /*v[258:259]*/, s[8:9], v[2:3] /*v[258:259]*/
	;; [unrolled: 1-line block ×19, first 2 shown]
	s_set_vgpr_msb 0                        ;  msbs: dst=0 src0=0 src1=0 src2=0
	v_pk_add_f32 v[36:37], v[6:7], v[4:5]
	s_and_b32 vcc_lo, exec_lo, s2
	s_add_nc_u64 s[10:11], s[10:11], s[22:23]
	s_cbranch_vccnz .LBB61_217
.LBB61_146:                             ; =>This Inner Loop Header: Depth=1
	s_add_nc_u64 s[26:27], s[18:19], s[10:11]
	s_set_vgpr_msb 64                       ;  msbs: dst=1 src0=0 src1=0 src2=0
	v_add_nc_u64_e32 v[38:39] /*v[294:295]*/, s[18:19], v[146:147]
	v_cmp_ge_i64_e64 s2, s[26:27], s[4:5]
                                        ; implicit-def: $vgpr6_vgpr7
                                        ; implicit-def: $vgpr4_vgpr5
	s_and_b32 vcc_lo, exec_lo, s2
	s_mov_b32 s2, -1
	s_set_vgpr_msb 0                        ;  msbs: dst=0 src0=0 src1=0 src2=0
	s_cbranch_vccz .LBB61_214
; %bb.147:                              ;   in Loop: Header=BB61_146 Depth=1
	s_load_b32 s2, s[20:21], 0xc
	s_set_vgpr_msb 64                       ;  msbs: dst=1 src0=0 src1=0 src2=0
	v_dual_mov_b32 v43 /*v299*/, 0 :: v_dual_mov_b32 v42 /*v298*/, 0
	v_mov_b32_e32 v41 /*v297*/, 0
	s_wait_kmcnt 0x0
	s_and_b32 s2, s2, 0xffff
	s_set_vgpr_msb 16                       ;  msbs: dst=0 src0=0 src1=0 src2=1
	v_mad_u32_u24 v3, v1, s2, v40 /*v296*/
	v_mov_b32_e32 v5, v2
	s_mov_b32 s2, exec_lo
	s_delay_alu instid0(VALU_DEP_2) | instskip(SKIP_1) | instid1(VALU_DEP_1)
	v_and_b32_e32 v4, 31, v3
	s_set_vgpr_msb 1                        ;  msbs: dst=0 src0=1 src1=0 src2=0
	v_add_nc_u64_e32 v[4:5], v[38:39] /*v[294:295]*/, v[4:5]
	s_delay_alu instid0(VALU_DEP_1)
	v_cmpx_gt_i64_e64 s[4:5], v[4:5]
	s_set_vgpr_msb 0                        ;  msbs: dst=0 src0=0 src1=0 src2=0
	s_cbranch_execz .LBB61_149
; %bb.148:                              ;   in Loop: Header=BB61_146 Depth=1
	v_lshlrev_b64_e32 v[4:5], 2, v[4:5]
	s_delay_alu instid0(VALU_DEP_1)
	v_add_nc_u64_e32 v[6:7], s[12:13], v[4:5]
	v_add_nc_u64_e32 v[4:5], s[14:15], v[4:5]
	s_set_vgpr_msb 64                       ;  msbs: dst=1 src0=0 src1=0 src2=0
	global_load_b32 v41 /*v297*/, v[6:7], off
	global_load_b32 v42 /*v298*/, v[4:5], off
.LBB61_149:                             ;   in Loop: Header=BB61_146 Depth=1
	s_wait_xcnt 0x0
	s_or_b32 exec_lo, exec_lo, s2
	s_set_vgpr_msb 4                        ;  msbs: dst=0 src0=0 src1=1 src2=0
	v_dual_mov_b32 v31, v2 :: v_dual_mov_b32 v32, v2
	v_dual_mov_b32 v33, v2 :: v_dual_mov_b32 v3, v2
	;; [unrolled: 1-line block ×15, first 2 shown]
	v_mov_b32_e32 v30, v2
	v_mov_b64_e32 v[34:35], v[32:33]
	s_delay_alu instid0(VALU_DEP_2) | instskip(NEXT) | instid1(VALU_DEP_4)
	v_mov_b64_e32 v[32:33], v[30:31]
	v_mov_b64_e32 v[30:31], v[28:29]
	;; [unrolled: 1-line block ×15, first 2 shown]
	s_mov_b32 s2, exec_lo
	v_cmpx_gt_i64_e64 s[4:5], v[38:39] /*v[294:295]*/
	s_set_vgpr_msb 0                        ;  msbs: dst=0 src0=0 src1=0 src2=0
	s_cbranch_execz .LBB61_151
; %bb.150:                              ;   in Loop: Header=BB61_146 Depth=1
	v_add_nc_u64_e32 v[6:7], v[166:167], v[164:165]
	v_add_nc_u64_e32 v[8:9], v[168:169], v[164:165]
	v_dual_mov_b32 v5, v2 :: v_dual_mov_b32 v11, v2
	v_dual_mov_b32 v12, v2 :: v_dual_mov_b32 v13, v2
	v_mov_b32_e32 v14, v2
	global_load_b32 v4, v[6:7], off
	s_set_vgpr_msb 64                       ;  msbs: dst=1 src0=0 src1=0 src2=0
	global_load_b32 v43 /*v299*/, v[8:9], off
	s_wait_xcnt 0x1
	s_set_vgpr_msb 0                        ;  msbs: dst=0 src0=0 src1=0 src2=0
	v_dual_mov_b32 v6, v2 :: v_dual_mov_b32 v7, v2
	s_wait_xcnt 0x0
	v_dual_mov_b32 v8, v2 :: v_dual_mov_b32 v9, v2
	v_dual_mov_b32 v10, v2 :: v_dual_mov_b32 v15, v2
	;; [unrolled: 1-line block ×12, first 2 shown]
.LBB61_151:                             ;   in Loop: Header=BB61_146 Depth=1
	s_or_b32 exec_lo, exec_lo, s2
	s_set_vgpr_msb 0x44                     ;  msbs: dst=1 src0=0 src1=1 src2=0
	v_add_nc_u64_e32 v[44:45] /*v[300:301]*/, 1, v[38:39] /*v[294:295]*/
	s_set_vgpr_msb 4                        ;  msbs: dst=0 src0=0 src1=1 src2=0
	v_mov_b32_e32 v3, 0
	s_delay_alu instid0(VALU_DEP_2)
	v_cmp_gt_i64_e32 vcc_lo, s[4:5], v[44:45] /*v[300:301]*/
	s_set_vgpr_msb 64                       ;  msbs: dst=1 src0=0 src1=0 src2=0
	v_mov_b32_e32 v44 /*v300*/, 0
	s_and_saveexec_b32 s2, vcc_lo
	s_set_vgpr_msb 0                        ;  msbs: dst=0 src0=0 src1=0 src2=0
	s_cbranch_execz .LBB61_153
; %bb.152:                              ;   in Loop: Header=BB61_146 Depth=1
	s_set_vgpr_msb 0x41                     ;  msbs: dst=1 src0=1 src1=0 src2=0
	v_add_nc_u64_e32 v[46:47] /*v[302:303]*/, v[34:35] /*v[290:291]*/, v[164:165]
	v_add_nc_u64_e32 v[48:49] /*v[304:305]*/, v[36:37] /*v[292:293]*/, v[164:165]
	s_set_vgpr_msb 1                        ;  msbs: dst=0 src0=1 src1=0 src2=0
	global_load_b32 v5, v[46:47] /*v[302:303]*/, off
	s_set_vgpr_msb 0x41                     ;  msbs: dst=1 src0=1 src1=0 src2=0
	global_load_b32 v44 /*v300*/, v[48:49] /*v[304:305]*/, off
.LBB61_153:                             ;   in Loop: Header=BB61_146 Depth=1
	s_wait_xcnt 0x0
	s_or_b32 exec_lo, exec_lo, s2
	s_set_vgpr_msb 0x44                     ;  msbs: dst=1 src0=0 src1=1 src2=0
	v_add_nc_u64_e32 v[46:47] /*v[302:303]*/, 2, v[38:39] /*v[294:295]*/
	s_mov_b32 s2, exec_lo
	s_delay_alu instid0(VALU_DEP_1)
	v_cmpx_gt_i64_e64 s[4:5], v[46:47] /*v[302:303]*/
	s_set_vgpr_msb 0                        ;  msbs: dst=0 src0=0 src1=0 src2=0
	s_cbranch_execz .LBB61_155
; %bb.154:                              ;   in Loop: Header=BB61_146 Depth=1
	s_set_vgpr_msb 0x41                     ;  msbs: dst=1 src0=1 src1=0 src2=0
	v_add_nc_u64_e32 v[46:47] /*v[302:303]*/, v[30:31] /*v[286:287]*/, v[164:165]
	v_add_nc_u64_e32 v[48:49] /*v[304:305]*/, v[32:33] /*v[288:289]*/, v[164:165]
	s_set_vgpr_msb 1                        ;  msbs: dst=0 src0=1 src1=0 src2=0
	global_load_b32 v6, v[46:47] /*v[302:303]*/, off
	global_load_b32 v3, v[48:49] /*v[304:305]*/, off
.LBB61_155:                             ;   in Loop: Header=BB61_146 Depth=1
	s_wait_xcnt 0x0
	s_or_b32 exec_lo, exec_lo, s2
	s_set_vgpr_msb 0x44                     ;  msbs: dst=1 src0=0 src1=1 src2=0
	v_add_nc_u64_e32 v[46:47] /*v[302:303]*/, 3, v[38:39] /*v[294:295]*/
	v_mov_b32_e32 v45 /*v301*/, 0
	s_delay_alu instid0(VALU_DEP_2)
	v_cmp_gt_i64_e32 vcc_lo, s[4:5], v[46:47] /*v[302:303]*/
	v_mov_b32_e32 v46 /*v302*/, 0
	s_and_saveexec_b32 s2, vcc_lo
	s_set_vgpr_msb 0                        ;  msbs: dst=0 src0=0 src1=0 src2=0
	s_cbranch_execz .LBB61_157
; %bb.156:                              ;   in Loop: Header=BB61_146 Depth=1
	s_set_vgpr_msb 0x41                     ;  msbs: dst=1 src0=1 src1=0 src2=0
	v_add_nc_u64_e32 v[48:49] /*v[304:305]*/, v[26:27] /*v[282:283]*/, v[164:165]
	v_add_nc_u64_e32 v[50:51] /*v[306:307]*/, v[28:29] /*v[284:285]*/, v[164:165]
	s_set_vgpr_msb 1                        ;  msbs: dst=0 src0=1 src1=0 src2=0
	global_load_b32 v7, v[48:49] /*v[304:305]*/, off
	s_set_vgpr_msb 0x41                     ;  msbs: dst=1 src0=1 src1=0 src2=0
	global_load_b32 v46 /*v302*/, v[50:51] /*v[306:307]*/, off
.LBB61_157:                             ;   in Loop: Header=BB61_146 Depth=1
	s_wait_xcnt 0x0
	s_or_b32 exec_lo, exec_lo, s2
	s_set_vgpr_msb 0x44                     ;  msbs: dst=1 src0=0 src1=1 src2=0
	v_add_nc_u64_e32 v[48:49] /*v[304:305]*/, 4, v[38:39] /*v[294:295]*/
	s_mov_b32 s2, exec_lo
	s_delay_alu instid0(VALU_DEP_1)
	v_cmpx_gt_i64_e64 s[4:5], v[48:49] /*v[304:305]*/
	s_set_vgpr_msb 0                        ;  msbs: dst=0 src0=0 src1=0 src2=0
	s_cbranch_execz .LBB61_159
; %bb.158:                              ;   in Loop: Header=BB61_146 Depth=1
	s_set_vgpr_msb 0x41                     ;  msbs: dst=1 src0=1 src1=0 src2=0
	v_add_nc_u64_e32 v[48:49] /*v[304:305]*/, v[22:23] /*v[278:279]*/, v[164:165]
	v_add_nc_u64_e32 v[50:51] /*v[306:307]*/, v[24:25] /*v[280:281]*/, v[164:165]
	s_set_vgpr_msb 1                        ;  msbs: dst=0 src0=1 src1=0 src2=0
	global_load_b32 v8, v[48:49] /*v[304:305]*/, off
	s_set_vgpr_msb 0x41                     ;  msbs: dst=1 src0=1 src1=0 src2=0
	global_load_b32 v45 /*v301*/, v[50:51] /*v[306:307]*/, off
.LBB61_159:                             ;   in Loop: Header=BB61_146 Depth=1
	s_wait_xcnt 0x0
	s_or_b32 exec_lo, exec_lo, s2
	s_set_vgpr_msb 0x44                     ;  msbs: dst=1 src0=0 src1=1 src2=0
	v_add_nc_u64_e32 v[48:49] /*v[304:305]*/, 5, v[38:39] /*v[294:295]*/
	v_mov_b32_e32 v47 /*v303*/, 0
	s_delay_alu instid0(VALU_DEP_2)
	v_cmp_gt_i64_e32 vcc_lo, s[4:5], v[48:49] /*v[304:305]*/
	v_mov_b32_e32 v48 /*v304*/, 0
	s_and_saveexec_b32 s2, vcc_lo
	s_set_vgpr_msb 0                        ;  msbs: dst=0 src0=0 src1=0 src2=0
	s_cbranch_execz .LBB61_161
; %bb.160:                              ;   in Loop: Header=BB61_146 Depth=1
	s_set_vgpr_msb 0x41                     ;  msbs: dst=1 src0=1 src1=0 src2=0
	v_add_nc_u64_e32 v[50:51] /*v[306:307]*/, v[18:19] /*v[274:275]*/, v[164:165]
	v_add_nc_u64_e32 v[52:53] /*v[308:309]*/, v[20:21] /*v[276:277]*/, v[164:165]
	s_set_vgpr_msb 1                        ;  msbs: dst=0 src0=1 src1=0 src2=0
	global_load_b32 v9, v[50:51] /*v[306:307]*/, off
	s_set_vgpr_msb 0x41                     ;  msbs: dst=1 src0=1 src1=0 src2=0
	global_load_b32 v48 /*v304*/, v[52:53] /*v[308:309]*/, off
.LBB61_161:                             ;   in Loop: Header=BB61_146 Depth=1
	s_wait_xcnt 0x0
	s_or_b32 exec_lo, exec_lo, s2
	s_set_vgpr_msb 0x44                     ;  msbs: dst=1 src0=0 src1=1 src2=0
	v_add_nc_u64_e32 v[50:51] /*v[306:307]*/, 6, v[38:39] /*v[294:295]*/
	s_mov_b32 s2, exec_lo
	s_delay_alu instid0(VALU_DEP_1)
	v_cmpx_gt_i64_e64 s[4:5], v[50:51] /*v[306:307]*/
	s_set_vgpr_msb 0                        ;  msbs: dst=0 src0=0 src1=0 src2=0
	s_cbranch_execz .LBB61_163
; %bb.162:                              ;   in Loop: Header=BB61_146 Depth=1
	s_set_vgpr_msb 0x41                     ;  msbs: dst=1 src0=1 src1=0 src2=0
	v_add_nc_u64_e32 v[50:51] /*v[306:307]*/, v[14:15] /*v[270:271]*/, v[164:165]
	v_add_nc_u64_e32 v[52:53] /*v[308:309]*/, v[16:17] /*v[272:273]*/, v[164:165]
	s_set_vgpr_msb 1                        ;  msbs: dst=0 src0=1 src1=0 src2=0
	global_load_b32 v10, v[50:51] /*v[306:307]*/, off
	s_set_vgpr_msb 0x41                     ;  msbs: dst=1 src0=1 src1=0 src2=0
	global_load_b32 v47 /*v303*/, v[52:53] /*v[308:309]*/, off
.LBB61_163:                             ;   in Loop: Header=BB61_146 Depth=1
	;; [unrolled: 38-line block ×3, first 2 shown]
	s_wait_xcnt 0x0
	s_or_b32 exec_lo, exec_lo, s2
	s_set_vgpr_msb 0x44                     ;  msbs: dst=1 src0=0 src1=1 src2=0
	v_add_nc_u64_e32 v[54:55] /*v[310:311]*/, 9, v[38:39] /*v[294:295]*/
	v_dual_mov_b32 v56 /*v312*/, 0 :: v_dual_mov_b32 v58 /*v314*/, 0
	s_mov_b32 s2, exec_lo
	s_delay_alu instid0(VALU_DEP_2)
	v_cmpx_gt_i64_e64 s[4:5], v[54:55] /*v[310:311]*/
	s_set_vgpr_msb 0                        ;  msbs: dst=0 src0=0 src1=0 src2=0
	s_cbranch_execz .LBB61_169
; %bb.168:                              ;   in Loop: Header=BB61_146 Depth=1
	s_set_vgpr_msb 0x41                     ;  msbs: dst=1 src0=1 src1=0 src2=0
	v_add_nc_u64_e32 v[54:55] /*v[310:311]*/, v[2:3] /*v[258:259]*/, v[164:165]
	v_add_nc_u64_e32 v[60:61] /*v[316:317]*/, v[4:5] /*v[260:261]*/, v[164:165]
	s_set_vgpr_msb 1                        ;  msbs: dst=0 src0=1 src1=0 src2=0
	global_load_b32 v13, v[54:55] /*v[310:311]*/, off
	s_set_vgpr_msb 0x41                     ;  msbs: dst=1 src0=1 src1=0 src2=0
	global_load_b32 v58 /*v314*/, v[60:61] /*v[316:317]*/, off
.LBB61_169:                             ;   in Loop: Header=BB61_146 Depth=1
	s_wait_xcnt 0x0
	s_or_b32 exec_lo, exec_lo, s2
	s_set_vgpr_msb 0x44                     ;  msbs: dst=1 src0=0 src1=1 src2=0
	v_add_nc_u64_e32 v[54:55] /*v[310:311]*/, 10, v[38:39] /*v[294:295]*/
	s_mov_b32 s2, exec_lo
	s_delay_alu instid0(VALU_DEP_1)
	v_cmpx_gt_i64_e64 s[4:5], v[54:55] /*v[310:311]*/
	s_set_vgpr_msb 0                        ;  msbs: dst=0 src0=0 src1=0 src2=0
	s_cbranch_execz .LBB61_171
; %bb.170:                              ;   in Loop: Header=BB61_146 Depth=1
	s_set_vgpr_msb 64                       ;  msbs: dst=1 src0=0 src1=0 src2=0
	v_add_nc_u64_e32 v[54:55] /*v[310:311]*/, v[254:255], v[164:165]
	s_set_vgpr_msb 0x41                     ;  msbs: dst=1 src0=1 src1=0 src2=0
	v_add_nc_u64_e32 v[60:61] /*v[316:317]*/, v[0:1] /*v[256:257]*/, v[164:165]
	s_set_vgpr_msb 1                        ;  msbs: dst=0 src0=1 src1=0 src2=0
	global_load_b32 v14, v[54:55] /*v[310:311]*/, off
	s_set_vgpr_msb 0x41                     ;  msbs: dst=1 src0=1 src1=0 src2=0
	global_load_b32 v56 /*v312*/, v[60:61] /*v[316:317]*/, off
.LBB61_171:                             ;   in Loop: Header=BB61_146 Depth=1
	s_wait_xcnt 0x0
	s_or_b32 exec_lo, exec_lo, s2
	s_set_vgpr_msb 0x44                     ;  msbs: dst=1 src0=0 src1=1 src2=0
	v_add_nc_u64_e32 v[54:55] /*v[310:311]*/, 11, v[38:39] /*v[294:295]*/
	v_dual_mov_b32 v49 /*v305*/, 0 :: v_dual_mov_b32 v50 /*v306*/, 0
	s_mov_b32 s2, exec_lo
	s_delay_alu instid0(VALU_DEP_2)
	v_cmpx_gt_i64_e64 s[4:5], v[54:55] /*v[310:311]*/
	s_set_vgpr_msb 0                        ;  msbs: dst=0 src0=0 src1=0 src2=0
	s_cbranch_execz .LBB61_173
; %bb.172:                              ;   in Loop: Header=BB61_146 Depth=1
	s_set_vgpr_msb 64                       ;  msbs: dst=1 src0=0 src1=0 src2=0
	v_add_nc_u64_e32 v[54:55] /*v[310:311]*/, v[250:251], v[164:165]
	v_add_nc_u64_e32 v[60:61] /*v[316:317]*/, v[252:253], v[164:165]
	s_set_vgpr_msb 1                        ;  msbs: dst=0 src0=1 src1=0 src2=0
	global_load_b32 v15, v[54:55] /*v[310:311]*/, off
	s_set_vgpr_msb 0x41                     ;  msbs: dst=1 src0=1 src1=0 src2=0
	global_load_b32 v50 /*v306*/, v[60:61] /*v[316:317]*/, off
.LBB61_173:                             ;   in Loop: Header=BB61_146 Depth=1
	s_wait_xcnt 0x0
	s_or_b32 exec_lo, exec_lo, s2
	s_set_vgpr_msb 0x44                     ;  msbs: dst=1 src0=0 src1=1 src2=0
	v_add_nc_u64_e32 v[54:55] /*v[310:311]*/, 12, v[38:39] /*v[294:295]*/
	s_mov_b32 s2, exec_lo
	s_delay_alu instid0(VALU_DEP_1)
	v_cmpx_gt_i64_e64 s[4:5], v[54:55] /*v[310:311]*/
	s_set_vgpr_msb 0                        ;  msbs: dst=0 src0=0 src1=0 src2=0
	s_cbranch_execz .LBB61_175
; %bb.174:                              ;   in Loop: Header=BB61_146 Depth=1
	s_set_vgpr_msb 64                       ;  msbs: dst=1 src0=0 src1=0 src2=0
	v_add_nc_u64_e32 v[54:55] /*v[310:311]*/, v[246:247], v[164:165]
	v_add_nc_u64_e32 v[60:61] /*v[316:317]*/, v[248:249], v[164:165]
	s_set_vgpr_msb 1                        ;  msbs: dst=0 src0=1 src1=0 src2=0
	global_load_b32 v16, v[54:55] /*v[310:311]*/, off
	s_set_vgpr_msb 0x41                     ;  msbs: dst=1 src0=1 src1=0 src2=0
	global_load_b32 v49 /*v305*/, v[60:61] /*v[316:317]*/, off
.LBB61_175:                             ;   in Loop: Header=BB61_146 Depth=1
	s_wait_xcnt 0x0
	s_or_b32 exec_lo, exec_lo, s2
	s_set_vgpr_msb 0x44                     ;  msbs: dst=1 src0=0 src1=1 src2=0
	v_add_nc_u64_e32 v[54:55] /*v[310:311]*/, 13, v[38:39] /*v[294:295]*/
	v_mov_b32_e32 v52 /*v308*/, 0
	s_delay_alu instid0(VALU_DEP_2)
	v_cmp_gt_i64_e32 vcc_lo, s[4:5], v[54:55] /*v[310:311]*/
	v_mov_b32_e32 v54 /*v310*/, 0
	s_and_saveexec_b32 s2, vcc_lo
	s_set_vgpr_msb 0                        ;  msbs: dst=0 src0=0 src1=0 src2=0
	s_cbranch_execz .LBB61_177
; %bb.176:                              ;   in Loop: Header=BB61_146 Depth=1
	s_set_vgpr_msb 64                       ;  msbs: dst=1 src0=0 src1=0 src2=0
	v_add_nc_u64_e32 v[60:61] /*v[316:317]*/, v[242:243], v[164:165]
	v_add_nc_u64_e32 v[62:63] /*v[318:319]*/, v[244:245], v[164:165]
	s_set_vgpr_msb 1                        ;  msbs: dst=0 src0=1 src1=0 src2=0
	global_load_b32 v17, v[60:61] /*v[316:317]*/, off
	s_set_vgpr_msb 0x41                     ;  msbs: dst=1 src0=1 src1=0 src2=0
	global_load_b32 v54 /*v310*/, v[62:63] /*v[318:319]*/, off
.LBB61_177:                             ;   in Loop: Header=BB61_146 Depth=1
	s_wait_xcnt 0x0
	s_or_b32 exec_lo, exec_lo, s2
	s_set_vgpr_msb 0x44                     ;  msbs: dst=1 src0=0 src1=1 src2=0
	v_add_nc_u64_e32 v[60:61] /*v[316:317]*/, 14, v[38:39] /*v[294:295]*/
	s_mov_b32 s2, exec_lo
	s_delay_alu instid0(VALU_DEP_1)
	v_cmpx_gt_i64_e64 s[4:5], v[60:61] /*v[316:317]*/
	s_set_vgpr_msb 0                        ;  msbs: dst=0 src0=0 src1=0 src2=0
	s_cbranch_execz .LBB61_179
; %bb.178:                              ;   in Loop: Header=BB61_146 Depth=1
	s_set_vgpr_msb 64                       ;  msbs: dst=1 src0=0 src1=0 src2=0
	v_add_nc_u64_e32 v[60:61] /*v[316:317]*/, v[238:239], v[164:165]
	v_add_nc_u64_e32 v[62:63] /*v[318:319]*/, v[240:241], v[164:165]
	s_set_vgpr_msb 1                        ;  msbs: dst=0 src0=1 src1=0 src2=0
	global_load_b32 v18, v[60:61] /*v[316:317]*/, off
	s_set_vgpr_msb 0x41                     ;  msbs: dst=1 src0=1 src1=0 src2=0
	global_load_b32 v52 /*v308*/, v[62:63] /*v[318:319]*/, off
.LBB61_179:                             ;   in Loop: Header=BB61_146 Depth=1
	s_wait_xcnt 0x0
	s_or_b32 exec_lo, exec_lo, s2
	s_set_vgpr_msb 0x44                     ;  msbs: dst=1 src0=0 src1=1 src2=0
	v_add_nc_u64_e32 v[60:61] /*v[316:317]*/, 15, v[38:39] /*v[294:295]*/
	v_dual_mov_b32 v55 /*v311*/, 0 :: v_dual_mov_b32 v59 /*v315*/, 0
	s_mov_b32 s2, exec_lo
	s_delay_alu instid0(VALU_DEP_2)
	v_cmpx_gt_i64_e64 s[4:5], v[60:61] /*v[316:317]*/
	s_set_vgpr_msb 0                        ;  msbs: dst=0 src0=0 src1=0 src2=0
	s_cbranch_execz .LBB61_181
; %bb.180:                              ;   in Loop: Header=BB61_146 Depth=1
	s_set_vgpr_msb 64                       ;  msbs: dst=1 src0=0 src1=0 src2=0
	v_add_nc_u64_e32 v[60:61] /*v[316:317]*/, v[234:235], v[164:165]
	v_add_nc_u64_e32 v[62:63] /*v[318:319]*/, v[236:237], v[164:165]
	s_set_vgpr_msb 1                        ;  msbs: dst=0 src0=1 src1=0 src2=0
	global_load_b32 v19, v[60:61] /*v[316:317]*/, off
	s_set_vgpr_msb 0x41                     ;  msbs: dst=1 src0=1 src1=0 src2=0
	global_load_b32 v59 /*v315*/, v[62:63] /*v[318:319]*/, off
.LBB61_181:                             ;   in Loop: Header=BB61_146 Depth=1
	s_wait_xcnt 0x0
	s_or_b32 exec_lo, exec_lo, s2
	s_set_vgpr_msb 0x44                     ;  msbs: dst=1 src0=0 src1=1 src2=0
	v_add_nc_u64_e32 v[60:61] /*v[316:317]*/, 16, v[38:39] /*v[294:295]*/
	s_mov_b32 s2, exec_lo
	s_delay_alu instid0(VALU_DEP_1)
	v_cmpx_gt_i64_e64 s[4:5], v[60:61] /*v[316:317]*/
	s_set_vgpr_msb 0                        ;  msbs: dst=0 src0=0 src1=0 src2=0
	s_cbranch_execz .LBB61_183
; %bb.182:                              ;   in Loop: Header=BB61_146 Depth=1
	s_set_vgpr_msb 64                       ;  msbs: dst=1 src0=0 src1=0 src2=0
	v_add_nc_u64_e32 v[60:61] /*v[316:317]*/, v[230:231], v[164:165]
	v_add_nc_u64_e32 v[62:63] /*v[318:319]*/, v[232:233], v[164:165]
	s_set_vgpr_msb 1                        ;  msbs: dst=0 src0=1 src1=0 src2=0
	global_load_b32 v20, v[60:61] /*v[316:317]*/, off
	s_set_vgpr_msb 0x41                     ;  msbs: dst=1 src0=1 src1=0 src2=0
	global_load_b32 v55 /*v311*/, v[62:63] /*v[318:319]*/, off
.LBB61_183:                             ;   in Loop: Header=BB61_146 Depth=1
	s_wait_xcnt 0x0
	s_or_b32 exec_lo, exec_lo, s2
	s_set_vgpr_msb 0x44                     ;  msbs: dst=1 src0=0 src1=1 src2=0
	v_add_nc_u64_e32 v[60:61] /*v[316:317]*/, 17, v[38:39] /*v[294:295]*/
	s_delay_alu instid0(VALU_DEP_1)
	v_cmp_gt_i64_e32 vcc_lo, s[4:5], v[60:61] /*v[316:317]*/
	v_dual_mov_b32 v60 /*v316*/, 0 :: v_dual_mov_b32 v61 /*v317*/, 0
	s_and_saveexec_b32 s2, vcc_lo
	s_set_vgpr_msb 0                        ;  msbs: dst=0 src0=0 src1=0 src2=0
	s_cbranch_execz .LBB61_185
; %bb.184:                              ;   in Loop: Header=BB61_146 Depth=1
	s_set_vgpr_msb 64                       ;  msbs: dst=1 src0=0 src1=0 src2=0
	v_add_nc_u64_e32 v[62:63] /*v[318:319]*/, v[226:227], v[164:165]
	v_add_nc_u64_e32 v[64:65] /*v[320:321]*/, v[228:229], v[164:165]
	s_set_vgpr_msb 1                        ;  msbs: dst=0 src0=1 src1=0 src2=0
	global_load_b32 v21, v[62:63] /*v[318:319]*/, off
	s_set_vgpr_msb 0x41                     ;  msbs: dst=1 src0=1 src1=0 src2=0
	global_load_b32 v61 /*v317*/, v[64:65] /*v[320:321]*/, off
.LBB61_185:                             ;   in Loop: Header=BB61_146 Depth=1
	s_wait_xcnt 0x0
	s_or_b32 exec_lo, exec_lo, s2
	s_set_vgpr_msb 0x44                     ;  msbs: dst=1 src0=0 src1=1 src2=0
	v_add_nc_u64_e32 v[62:63] /*v[318:319]*/, 18, v[38:39] /*v[294:295]*/
	s_mov_b32 s2, exec_lo
	s_delay_alu instid0(VALU_DEP_1)
	v_cmpx_gt_i64_e64 s[4:5], v[62:63] /*v[318:319]*/
	s_set_vgpr_msb 0                        ;  msbs: dst=0 src0=0 src1=0 src2=0
	s_cbranch_execz .LBB61_187
; %bb.186:                              ;   in Loop: Header=BB61_146 Depth=1
	s_set_vgpr_msb 64                       ;  msbs: dst=1 src0=0 src1=0 src2=0
	v_add_nc_u64_e32 v[62:63] /*v[318:319]*/, v[222:223], v[164:165]
	v_add_nc_u64_e32 v[64:65] /*v[320:321]*/, v[224:225], v[164:165]
	s_set_vgpr_msb 1                        ;  msbs: dst=0 src0=1 src1=0 src2=0
	global_load_b32 v22, v[62:63] /*v[318:319]*/, off
	s_set_vgpr_msb 0x41                     ;  msbs: dst=1 src0=1 src1=0 src2=0
	global_load_b32 v60 /*v316*/, v[64:65] /*v[320:321]*/, off
.LBB61_187:                             ;   in Loop: Header=BB61_146 Depth=1
	s_wait_xcnt 0x0
	s_or_b32 exec_lo, exec_lo, s2
	s_set_vgpr_msb 0x44                     ;  msbs: dst=1 src0=0 src1=1 src2=0
	v_add_nc_u64_e32 v[62:63] /*v[318:319]*/, 19, v[38:39] /*v[294:295]*/
	v_dual_mov_b32 v66 /*v322*/, 0 :: v_dual_mov_b32 v67 /*v323*/, 0
	s_mov_b32 s2, exec_lo
	s_delay_alu instid0(VALU_DEP_2)
	v_cmpx_gt_i64_e64 s[4:5], v[62:63] /*v[318:319]*/
	s_set_vgpr_msb 0                        ;  msbs: dst=0 src0=0 src1=0 src2=0
	s_cbranch_execz .LBB61_189
; %bb.188:                              ;   in Loop: Header=BB61_146 Depth=1
	s_set_vgpr_msb 64                       ;  msbs: dst=1 src0=0 src1=0 src2=0
	v_add_nc_u64_e32 v[62:63] /*v[318:319]*/, v[218:219], v[164:165]
	v_add_nc_u64_e32 v[64:65] /*v[320:321]*/, v[220:221], v[164:165]
	s_set_vgpr_msb 1                        ;  msbs: dst=0 src0=1 src1=0 src2=0
	global_load_b32 v23, v[62:63] /*v[318:319]*/, off
	s_set_vgpr_msb 0x41                     ;  msbs: dst=1 src0=1 src1=0 src2=0
	global_load_b32 v67 /*v323*/, v[64:65] /*v[320:321]*/, off
.LBB61_189:                             ;   in Loop: Header=BB61_146 Depth=1
	s_wait_xcnt 0x0
	s_or_b32 exec_lo, exec_lo, s2
	s_set_vgpr_msb 0x44                     ;  msbs: dst=1 src0=0 src1=1 src2=0
	v_add_nc_u64_e32 v[62:63] /*v[318:319]*/, 20, v[38:39] /*v[294:295]*/
	s_mov_b32 s2, exec_lo
	s_delay_alu instid0(VALU_DEP_1)
	v_cmpx_gt_i64_e64 s[4:5], v[62:63] /*v[318:319]*/
	s_set_vgpr_msb 0                        ;  msbs: dst=0 src0=0 src1=0 src2=0
	s_cbranch_execz .LBB61_191
; %bb.190:                              ;   in Loop: Header=BB61_146 Depth=1
	s_set_vgpr_msb 64                       ;  msbs: dst=1 src0=0 src1=0 src2=0
	v_add_nc_u64_e32 v[62:63] /*v[318:319]*/, v[214:215], v[164:165]
	v_add_nc_u64_e32 v[64:65] /*v[320:321]*/, v[216:217], v[164:165]
	s_set_vgpr_msb 1                        ;  msbs: dst=0 src0=1 src1=0 src2=0
	global_load_b32 v24, v[62:63] /*v[318:319]*/, off
	s_set_vgpr_msb 0x41                     ;  msbs: dst=1 src0=1 src1=0 src2=0
	global_load_b32 v66 /*v322*/, v[64:65] /*v[320:321]*/, off
.LBB61_191:                             ;   in Loop: Header=BB61_146 Depth=1
	s_wait_xcnt 0x0
	s_or_b32 exec_lo, exec_lo, s2
	s_set_vgpr_msb 0x44                     ;  msbs: dst=1 src0=0 src1=1 src2=0
	v_add_nc_u64_e32 v[62:63] /*v[318:319]*/, 21, v[38:39] /*v[294:295]*/
	v_dual_mov_b32 v57 /*v313*/, 0 :: v_dual_mov_b32 v72 /*v328*/, 0
	s_mov_b32 s2, exec_lo
	s_delay_alu instid0(VALU_DEP_2)
	v_cmpx_gt_i64_e64 s[4:5], v[62:63] /*v[318:319]*/
	s_set_vgpr_msb 0                        ;  msbs: dst=0 src0=0 src1=0 src2=0
	s_cbranch_execz .LBB61_193
; %bb.192:                              ;   in Loop: Header=BB61_146 Depth=1
	s_set_vgpr_msb 64                       ;  msbs: dst=1 src0=0 src1=0 src2=0
	v_add_nc_u64_e32 v[62:63] /*v[318:319]*/, v[210:211], v[164:165]
	v_add_nc_u64_e32 v[64:65] /*v[320:321]*/, v[212:213], v[164:165]
	s_set_vgpr_msb 1                        ;  msbs: dst=0 src0=1 src1=0 src2=0
	global_load_b32 v25, v[62:63] /*v[318:319]*/, off
	s_set_vgpr_msb 0x41                     ;  msbs: dst=1 src0=1 src1=0 src2=0
	global_load_b32 v72 /*v328*/, v[64:65] /*v[320:321]*/, off
.LBB61_193:                             ;   in Loop: Header=BB61_146 Depth=1
	s_wait_xcnt 0x0
	s_or_b32 exec_lo, exec_lo, s2
	s_set_vgpr_msb 0x44                     ;  msbs: dst=1 src0=0 src1=1 src2=0
	v_add_nc_u64_e32 v[62:63] /*v[318:319]*/, 22, v[38:39] /*v[294:295]*/
	s_mov_b32 s2, exec_lo
	s_delay_alu instid0(VALU_DEP_1)
	v_cmpx_gt_i64_e64 s[4:5], v[62:63] /*v[318:319]*/
	s_set_vgpr_msb 0                        ;  msbs: dst=0 src0=0 src1=0 src2=0
	s_cbranch_execz .LBB61_195
; %bb.194:                              ;   in Loop: Header=BB61_146 Depth=1
	s_set_vgpr_msb 64                       ;  msbs: dst=1 src0=0 src1=0 src2=0
	v_add_nc_u64_e32 v[62:63] /*v[318:319]*/, v[206:207], v[164:165]
	v_add_nc_u64_e32 v[64:65] /*v[320:321]*/, v[208:209], v[164:165]
	s_set_vgpr_msb 1                        ;  msbs: dst=0 src0=1 src1=0 src2=0
	global_load_b32 v26, v[62:63] /*v[318:319]*/, off
	s_set_vgpr_msb 0x41                     ;  msbs: dst=1 src0=1 src1=0 src2=0
	global_load_b32 v57 /*v313*/, v[64:65] /*v[320:321]*/, off
.LBB61_195:                             ;   in Loop: Header=BB61_146 Depth=1
	s_wait_xcnt 0x0
	s_or_b32 exec_lo, exec_lo, s2
	s_set_vgpr_msb 0x44                     ;  msbs: dst=1 src0=0 src1=1 src2=0
	v_add_nc_u64_e32 v[62:63] /*v[318:319]*/, 23, v[38:39] /*v[294:295]*/
	s_delay_alu instid0(VALU_DEP_1)
	v_cmp_gt_i64_e32 vcc_lo, s[4:5], v[62:63] /*v[318:319]*/
	v_dual_mov_b32 v62 /*v318*/, 0 :: v_dual_mov_b32 v63 /*v319*/, 0
	s_and_saveexec_b32 s2, vcc_lo
	s_set_vgpr_msb 0                        ;  msbs: dst=0 src0=0 src1=0 src2=0
	s_cbranch_execz .LBB61_197
; %bb.196:                              ;   in Loop: Header=BB61_146 Depth=1
	s_set_vgpr_msb 64                       ;  msbs: dst=1 src0=0 src1=0 src2=0
	v_add_nc_u64_e32 v[64:65] /*v[320:321]*/, v[202:203], v[164:165]
	v_add_nc_u64_e32 v[68:69] /*v[324:325]*/, v[204:205], v[164:165]
	s_set_vgpr_msb 1                        ;  msbs: dst=0 src0=1 src1=0 src2=0
	global_load_b32 v27, v[64:65] /*v[320:321]*/, off
	s_set_vgpr_msb 0x41                     ;  msbs: dst=1 src0=1 src1=0 src2=0
	global_load_b32 v63 /*v319*/, v[68:69] /*v[324:325]*/, off
.LBB61_197:                             ;   in Loop: Header=BB61_146 Depth=1
	s_wait_xcnt 0x0
	s_or_b32 exec_lo, exec_lo, s2
	s_set_vgpr_msb 0x44                     ;  msbs: dst=1 src0=0 src1=1 src2=0
	v_add_nc_u64_e32 v[64:65] /*v[320:321]*/, 24, v[38:39] /*v[294:295]*/
	s_mov_b32 s2, exec_lo
	s_delay_alu instid0(VALU_DEP_1)
	v_cmpx_gt_i64_e64 s[4:5], v[64:65] /*v[320:321]*/
	s_set_vgpr_msb 0                        ;  msbs: dst=0 src0=0 src1=0 src2=0
	s_cbranch_execz .LBB61_199
; %bb.198:                              ;   in Loop: Header=BB61_146 Depth=1
	s_set_vgpr_msb 64                       ;  msbs: dst=1 src0=0 src1=0 src2=0
	v_add_nc_u64_e32 v[64:65] /*v[320:321]*/, v[198:199], v[164:165]
	v_add_nc_u64_e32 v[68:69] /*v[324:325]*/, v[200:201], v[164:165]
	s_set_vgpr_msb 1                        ;  msbs: dst=0 src0=1 src1=0 src2=0
	global_load_b32 v28, v[64:65] /*v[320:321]*/, off
	s_set_vgpr_msb 0x41                     ;  msbs: dst=1 src0=1 src1=0 src2=0
	global_load_b32 v62 /*v318*/, v[68:69] /*v[324:325]*/, off
.LBB61_199:                             ;   in Loop: Header=BB61_146 Depth=1
	s_wait_xcnt 0x0
	s_or_b32 exec_lo, exec_lo, s2
	s_set_vgpr_msb 0x44                     ;  msbs: dst=1 src0=0 src1=1 src2=0
	v_add_nc_u64_e32 v[64:65] /*v[320:321]*/, 25, v[38:39] /*v[294:295]*/
	v_mov_b32_e32 v68 /*v324*/, 0
	s_delay_alu instid0(VALU_DEP_2)
	v_cmp_gt_i64_e32 vcc_lo, s[4:5], v[64:65] /*v[320:321]*/
	v_mov_b32_e32 v64 /*v320*/, 0
	s_and_saveexec_b32 s2, vcc_lo
	s_set_vgpr_msb 0                        ;  msbs: dst=0 src0=0 src1=0 src2=0
	s_cbranch_execz .LBB61_201
; %bb.200:                              ;   in Loop: Header=BB61_146 Depth=1
	s_set_vgpr_msb 64                       ;  msbs: dst=1 src0=0 src1=0 src2=0
	v_add_nc_u64_e32 v[70:71] /*v[326:327]*/, v[194:195], v[164:165]
	v_add_nc_u64_e32 v[74:75] /*v[330:331]*/, v[196:197], v[164:165]
	s_set_vgpr_msb 1                        ;  msbs: dst=0 src0=1 src1=0 src2=0
	global_load_b32 v29, v[70:71] /*v[326:327]*/, off
	s_set_vgpr_msb 0x41                     ;  msbs: dst=1 src0=1 src1=0 src2=0
	global_load_b32 v68 /*v324*/, v[74:75] /*v[330:331]*/, off
.LBB61_201:                             ;   in Loop: Header=BB61_146 Depth=1
	s_wait_xcnt 0x0
	s_or_b32 exec_lo, exec_lo, s2
	s_set_vgpr_msb 0x44                     ;  msbs: dst=1 src0=0 src1=1 src2=0
	v_add_nc_u64_e32 v[70:71] /*v[326:327]*/, 26, v[38:39] /*v[294:295]*/
	s_mov_b32 s2, exec_lo
	s_delay_alu instid0(VALU_DEP_1)
	v_cmpx_gt_i64_e64 s[4:5], v[70:71] /*v[326:327]*/
	s_set_vgpr_msb 0                        ;  msbs: dst=0 src0=0 src1=0 src2=0
	s_cbranch_execz .LBB61_203
; %bb.202:                              ;   in Loop: Header=BB61_146 Depth=1
	s_set_vgpr_msb 64                       ;  msbs: dst=1 src0=0 src1=0 src2=0
	v_add_nc_u64_e32 v[70:71] /*v[326:327]*/, v[190:191], v[164:165]
	v_add_nc_u64_e32 v[74:75] /*v[330:331]*/, v[192:193], v[164:165]
	s_set_vgpr_msb 1                        ;  msbs: dst=0 src0=1 src1=0 src2=0
	global_load_b32 v30, v[70:71] /*v[326:327]*/, off
	s_set_vgpr_msb 0x41                     ;  msbs: dst=1 src0=1 src1=0 src2=0
	global_load_b32 v64 /*v320*/, v[74:75] /*v[330:331]*/, off
.LBB61_203:                             ;   in Loop: Header=BB61_146 Depth=1
	s_wait_xcnt 0x0
	s_or_b32 exec_lo, exec_lo, s2
	s_set_vgpr_msb 0x44                     ;  msbs: dst=1 src0=0 src1=1 src2=0
	v_add_nc_u64_e32 v[70:71] /*v[326:327]*/, 27, v[38:39] /*v[294:295]*/
	s_delay_alu instid0(VALU_DEP_1)
	v_cmp_gt_i64_e32 vcc_lo, s[4:5], v[70:71] /*v[326:327]*/
	v_dual_mov_b32 v70 /*v326*/, 0 :: v_dual_mov_b32 v71 /*v327*/, 0
	s_and_saveexec_b32 s2, vcc_lo
	s_set_vgpr_msb 0                        ;  msbs: dst=0 src0=0 src1=0 src2=0
	s_cbranch_execz .LBB61_205
; %bb.204:                              ;   in Loop: Header=BB61_146 Depth=1
	s_set_vgpr_msb 64                       ;  msbs: dst=1 src0=0 src1=0 src2=0
	v_add_nc_u64_e32 v[74:75] /*v[330:331]*/, v[186:187], v[164:165]
	v_add_nc_u64_e32 v[76:77] /*v[332:333]*/, v[188:189], v[164:165]
	s_set_vgpr_msb 1                        ;  msbs: dst=0 src0=1 src1=0 src2=0
	global_load_b32 v31, v[74:75] /*v[330:331]*/, off
	s_set_vgpr_msb 0x41                     ;  msbs: dst=1 src0=1 src1=0 src2=0
	global_load_b32 v71 /*v327*/, v[76:77] /*v[332:333]*/, off
.LBB61_205:                             ;   in Loop: Header=BB61_146 Depth=1
	s_wait_xcnt 0x0
	s_or_b32 exec_lo, exec_lo, s2
	s_set_vgpr_msb 0x44                     ;  msbs: dst=1 src0=0 src1=1 src2=0
	v_add_nc_u64_e32 v[74:75] /*v[330:331]*/, 28, v[38:39] /*v[294:295]*/
	s_mov_b32 s2, exec_lo
	s_delay_alu instid0(VALU_DEP_1)
	v_cmpx_gt_i64_e64 s[4:5], v[74:75] /*v[330:331]*/
	s_set_vgpr_msb 0                        ;  msbs: dst=0 src0=0 src1=0 src2=0
	s_cbranch_execz .LBB61_207
; %bb.206:                              ;   in Loop: Header=BB61_146 Depth=1
	s_set_vgpr_msb 64                       ;  msbs: dst=1 src0=0 src1=0 src2=0
	v_add_nc_u64_e32 v[74:75] /*v[330:331]*/, v[182:183], v[164:165]
	v_add_nc_u64_e32 v[76:77] /*v[332:333]*/, v[184:185], v[164:165]
	s_set_vgpr_msb 1                        ;  msbs: dst=0 src0=1 src1=0 src2=0
	global_load_b32 v32, v[74:75] /*v[330:331]*/, off
	s_set_vgpr_msb 0x41                     ;  msbs: dst=1 src0=1 src1=0 src2=0
	global_load_b32 v70 /*v326*/, v[76:77] /*v[332:333]*/, off
.LBB61_207:                             ;   in Loop: Header=BB61_146 Depth=1
	s_wait_xcnt 0x0
	s_or_b32 exec_lo, exec_lo, s2
	s_set_vgpr_msb 0x44                     ;  msbs: dst=1 src0=0 src1=1 src2=0
	v_add_nc_u64_e32 v[74:75] /*v[330:331]*/, 29, v[38:39] /*v[294:295]*/
	v_dual_mov_b32 v65 /*v321*/, 0 :: v_dual_mov_b32 v73 /*v329*/, 0
	s_mov_b32 s2, exec_lo
	s_delay_alu instid0(VALU_DEP_2)
	v_cmpx_gt_i64_e64 s[4:5], v[74:75] /*v[330:331]*/
	s_set_vgpr_msb 0                        ;  msbs: dst=0 src0=0 src1=0 src2=0
	s_cbranch_execz .LBB61_209
; %bb.208:                              ;   in Loop: Header=BB61_146 Depth=1
	s_set_vgpr_msb 64                       ;  msbs: dst=1 src0=0 src1=0 src2=0
	v_add_nc_u64_e32 v[74:75] /*v[330:331]*/, v[178:179], v[164:165]
	v_add_nc_u64_e32 v[76:77] /*v[332:333]*/, v[180:181], v[164:165]
	s_set_vgpr_msb 1                        ;  msbs: dst=0 src0=1 src1=0 src2=0
	global_load_b32 v33, v[74:75] /*v[330:331]*/, off
	s_set_vgpr_msb 0x41                     ;  msbs: dst=1 src0=1 src1=0 src2=0
	global_load_b32 v73 /*v329*/, v[76:77] /*v[332:333]*/, off
.LBB61_209:                             ;   in Loop: Header=BB61_146 Depth=1
	s_wait_xcnt 0x0
	s_or_b32 exec_lo, exec_lo, s2
	s_set_vgpr_msb 0x44                     ;  msbs: dst=1 src0=0 src1=1 src2=0
	v_add_nc_u64_e32 v[74:75] /*v[330:331]*/, 30, v[38:39] /*v[294:295]*/
	s_mov_b32 s2, exec_lo
	s_delay_alu instid0(VALU_DEP_1)
	v_cmpx_gt_i64_e64 s[4:5], v[74:75] /*v[330:331]*/
	s_set_vgpr_msb 0                        ;  msbs: dst=0 src0=0 src1=0 src2=0
	s_cbranch_execz .LBB61_211
; %bb.210:                              ;   in Loop: Header=BB61_146 Depth=1
	s_set_vgpr_msb 64                       ;  msbs: dst=1 src0=0 src1=0 src2=0
	v_add_nc_u64_e32 v[74:75] /*v[330:331]*/, v[174:175], v[164:165]
	v_add_nc_u64_e32 v[76:77] /*v[332:333]*/, v[176:177], v[164:165]
	s_set_vgpr_msb 1                        ;  msbs: dst=0 src0=1 src1=0 src2=0
	global_load_b32 v34, v[74:75] /*v[330:331]*/, off
	s_set_vgpr_msb 0x41                     ;  msbs: dst=1 src0=1 src1=0 src2=0
	global_load_b32 v65 /*v321*/, v[76:77] /*v[332:333]*/, off
.LBB61_211:                             ;   in Loop: Header=BB61_146 Depth=1
	s_wait_xcnt 0x0
	s_or_b32 exec_lo, exec_lo, s2
	s_set_vgpr_msb 0x44                     ;  msbs: dst=1 src0=0 src1=1 src2=0
	v_add_nc_u64_e32 v[74:75] /*v[330:331]*/, 31, v[38:39] /*v[294:295]*/
	v_mov_b32_e32 v69 /*v325*/, 0
	s_mov_b32 s2, exec_lo
	s_delay_alu instid0(VALU_DEP_2)
	v_cmpx_gt_i64_e64 s[4:5], v[74:75] /*v[330:331]*/
	s_set_vgpr_msb 0                        ;  msbs: dst=0 src0=0 src1=0 src2=0
	s_cbranch_execz .LBB61_213
; %bb.212:                              ;   in Loop: Header=BB61_146 Depth=1
	s_set_vgpr_msb 64                       ;  msbs: dst=1 src0=0 src1=0 src2=0
	v_add_nc_u64_e32 v[74:75] /*v[330:331]*/, v[170:171], v[164:165]
	v_add_nc_u64_e32 v[76:77] /*v[332:333]*/, v[172:173], v[164:165]
	s_set_vgpr_msb 1                        ;  msbs: dst=0 src0=1 src1=0 src2=0
	global_load_b32 v35, v[74:75] /*v[330:331]*/, off
	s_set_vgpr_msb 0x41                     ;  msbs: dst=1 src0=1 src1=0 src2=0
	global_load_b32 v69 /*v325*/, v[76:77] /*v[332:333]*/, off
.LBB61_213:                             ;   in Loop: Header=BB61_146 Depth=1
	s_wait_xcnt 0x0
	s_or_b32 exec_lo, exec_lo, s2
	s_wait_loadcnt 0x1
	s_set_vgpr_msb 0x44                     ;  msbs: dst=1 src0=0 src1=1 src2=0
	ds_bpermute_b32 v75 /*v331*/, v2, v41 /*v297*/
	s_wait_loadcnt 0x0
	ds_bpermute_b32 v74 /*v330*/, v2, v42 /*v298*/
	v_dual_mov_b32 v78 /*v334*/, v6 :: v_dual_mov_b32 v86 /*v342*/, v12
	v_dual_mov_b32 v88 /*v344*/, v13 :: v_dual_mov_b32 v90 /*v346*/, v14
	s_mov_b32 s2, 0
	v_dual_mov_b32 v80 /*v336*/, v7 :: v_dual_mov_b32 v76 /*v332*/, v5
	v_dual_mov_b32 v82 /*v338*/, v9 :: v_dual_mov_b32 v84 /*v340*/, v11
	s_wait_dscnt 0x1
	s_set_vgpr_msb 0x45                     ;  msbs: dst=1 src0=1 src1=1 src2=0
	v_sub_f32_e32 v43 /*v299*/, v43 /*v299*/, v75 /*v331*/
	s_set_vgpr_msb 0x44                     ;  msbs: dst=1 src0=0 src1=1 src2=0
	s_delay_alu instid0(VALU_DEP_1) | instskip(SKIP_2) | instid1(VALU_DEP_1)
	v_mul_f32_e32 v43 /*v299*/, v4, v43 /*v299*/
	s_wait_dscnt 0x0
	s_set_vgpr_msb 0x45                     ;  msbs: dst=1 src0=1 src1=1 src2=0
	v_mul_f32_e32 v75 /*v331*/, v43 /*v299*/, v74 /*v330*/
	s_set_vgpr_msb 0x44                     ;  msbs: dst=1 src0=0 src1=1 src2=0
	ds_bpermute_b32 v74 /*v330*/, v2, v41 /*v297*/ offset:4
	ds_bpermute_b32 v43 /*v299*/, v2, v42 /*v298*/ offset:4
	s_wait_dscnt 0x1
	s_set_vgpr_msb 0x45                     ;  msbs: dst=1 src0=1 src1=1 src2=0
	v_sub_f32_e32 v44 /*v300*/, v44 /*v300*/, v74 /*v330*/
	s_set_vgpr_msb 0x44                     ;  msbs: dst=1 src0=0 src1=1 src2=0
	s_delay_alu instid0(VALU_DEP_1) | instskip(SKIP_2) | instid1(VALU_DEP_1)
	v_dual_mov_b32 v74 /*v330*/, v4 :: v_dual_mul_f32 v44 /*v300*/, v5, v44 /*v300*/
	s_wait_dscnt 0x0
	s_set_vgpr_msb 0x45                     ;  msbs: dst=1 src0=1 src1=1 src2=0
	v_mul_f32_e32 v77 /*v333*/, v44 /*v300*/, v43 /*v299*/
	s_set_vgpr_msb 0x44                     ;  msbs: dst=1 src0=0 src1=1 src2=0
	ds_bpermute_b32 v44 /*v300*/, v2, v41 /*v297*/ offset:8
	ds_bpermute_b32 v43 /*v299*/, v2, v42 /*v298*/ offset:8
	v_pk_add_f32 v[74:75] /*v[330:331]*/, v[36:37], v[74:75] /*v[330:331]*/
	s_set_vgpr_msb 5                        ;  msbs: dst=0 src0=1 src1=1 src2=0
	s_delay_alu instid0(VALU_DEP_1)
	v_pk_add_f32 v[4:5], v[76:77] /*v[332:333]*/, v[74:75] /*v[330:331]*/
	s_wait_dscnt 0x1
	s_set_vgpr_msb 4                        ;  msbs: dst=0 src0=0 src1=1 src2=0
	v_sub_f32_e32 v3, v3, v44 /*v300*/
	s_set_vgpr_msb 64                       ;  msbs: dst=1 src0=0 src1=0 src2=0
	v_mov_b32_e32 v44 /*v300*/, v8
	s_set_vgpr_msb 0                        ;  msbs: dst=0 src0=0 src1=0 src2=0
	s_delay_alu instid0(VALU_DEP_2)
	v_mul_f32_e32 v3, v6, v3
	s_set_vgpr_msb 4                        ;  msbs: dst=0 src0=0 src1=1 src2=0
	ds_bpermute_b32 v6, v2, v41 /*v297*/ offset:44
	s_wait_dscnt 0x0
	s_set_vgpr_msb 1                        ;  msbs: dst=0 src0=1 src1=0 src2=0
	v_sub_f32_e32 v6, v50 /*v306*/, v6
	s_set_vgpr_msb 64                       ;  msbs: dst=1 src0=0 src1=0 src2=0
	v_mov_b32_e32 v50 /*v306*/, v22
	s_set_vgpr_msb 0                        ;  msbs: dst=0 src0=0 src1=0 src2=0
	s_delay_alu instid0(VALU_DEP_2)
	v_mul_f32_e32 v6, v15, v6
	s_set_vgpr_msb 0x44                     ;  msbs: dst=1 src0=0 src1=1 src2=0
	v_mul_f32_e32 v79 /*v335*/, v3, v43 /*v299*/
	ds_bpermute_b32 v43 /*v299*/, v2, v41 /*v297*/ offset:12
	s_set_vgpr_msb 4                        ;  msbs: dst=0 src0=0 src1=1 src2=0
	ds_bpermute_b32 v3, v2, v42 /*v298*/ offset:12
	s_wait_dscnt 0x1
	s_set_vgpr_msb 0x45                     ;  msbs: dst=1 src0=1 src1=1 src2=0
	v_sub_f32_e32 v43 /*v299*/, v46 /*v302*/, v43 /*v299*/
	s_set_vgpr_msb 0x44                     ;  msbs: dst=1 src0=0 src1=1 src2=0
	s_delay_alu instid0(VALU_DEP_1) | instskip(SKIP_2) | instid1(VALU_DEP_1)
	v_dual_mov_b32 v46 /*v302*/, v10 :: v_dual_mul_f32 v43 /*v299*/, v7, v43 /*v299*/
	s_wait_dscnt 0x0
	s_set_vgpr_msb 0x41                     ;  msbs: dst=1 src0=1 src1=0 src2=0
	v_mul_f32_e32 v81 /*v337*/, v43 /*v299*/, v3
	s_set_vgpr_msb 0x44                     ;  msbs: dst=1 src0=0 src1=1 src2=0
	ds_bpermute_b32 v43 /*v299*/, v2, v41 /*v297*/ offset:16
	s_set_vgpr_msb 4                        ;  msbs: dst=0 src0=0 src1=1 src2=0
	ds_bpermute_b32 v3, v2, v42 /*v298*/ offset:16
	s_wait_dscnt 0x1
	s_set_vgpr_msb 0x45                     ;  msbs: dst=1 src0=1 src1=1 src2=0
	v_sub_f32_e32 v43 /*v299*/, v45 /*v301*/, v43 /*v299*/
	s_set_vgpr_msb 0x44                     ;  msbs: dst=1 src0=0 src1=1 src2=0
	s_delay_alu instid0(VALU_DEP_1)
	v_mul_f32_e32 v43 /*v299*/, v8, v43 /*v299*/
	s_set_vgpr_msb 1                        ;  msbs: dst=0 src0=1 src1=0 src2=0
	v_pk_add_f32 v[4:5], v[78:79] /*v[334:335]*/, v[4:5]
	s_set_vgpr_msb 0                        ;  msbs: dst=0 src0=0 src1=0 src2=0
	v_mov_b32_e32 v8, v16
	s_wait_dscnt 0x0
	s_set_vgpr_msb 0x41                     ;  msbs: dst=1 src0=1 src1=0 src2=0
	v_mul_f32_e32 v45 /*v301*/, v43 /*v299*/, v3
	s_set_vgpr_msb 0x44                     ;  msbs: dst=1 src0=0 src1=1 src2=0
	ds_bpermute_b32 v43 /*v299*/, v2, v41 /*v297*/ offset:20
	s_set_vgpr_msb 4                        ;  msbs: dst=0 src0=0 src1=1 src2=0
	ds_bpermute_b32 v3, v2, v42 /*v298*/ offset:20
	s_set_vgpr_msb 1                        ;  msbs: dst=0 src0=1 src1=0 src2=0
	v_pk_add_f32 v[4:5], v[80:81] /*v[336:337]*/, v[4:5]
	s_delay_alu instid0(VALU_DEP_1)
	v_pk_add_f32 v[4:5], v[44:45] /*v[300:301]*/, v[4:5]
	s_set_vgpr_msb 64                       ;  msbs: dst=1 src0=0 src1=0 src2=0
	v_mov_b32_e32 v44 /*v300*/, v19
	s_wait_dscnt 0x1
	s_set_vgpr_msb 0x45                     ;  msbs: dst=1 src0=1 src1=1 src2=0
	v_sub_f32_e32 v43 /*v299*/, v48 /*v304*/, v43 /*v299*/
	s_set_vgpr_msb 0x44                     ;  msbs: dst=1 src0=0 src1=1 src2=0
	v_mov_b32_e32 v48 /*v304*/, v21
	s_delay_alu instid0(VALU_DEP_2) | instskip(SKIP_2) | instid1(VALU_DEP_1)
	v_mul_f32_e32 v43 /*v299*/, v9, v43 /*v299*/
	s_wait_dscnt 0x0
	s_set_vgpr_msb 0x41                     ;  msbs: dst=1 src0=1 src1=0 src2=0
	v_mul_f32_e32 v83 /*v339*/, v43 /*v299*/, v3
	s_set_vgpr_msb 0x44                     ;  msbs: dst=1 src0=0 src1=1 src2=0
	ds_bpermute_b32 v43 /*v299*/, v2, v41 /*v297*/ offset:24
	s_set_vgpr_msb 4                        ;  msbs: dst=0 src0=0 src1=1 src2=0
	ds_bpermute_b32 v3, v2, v42 /*v298*/ offset:24
	s_wait_dscnt 0x1
	s_set_vgpr_msb 0x45                     ;  msbs: dst=1 src0=1 src1=1 src2=0
	v_sub_f32_e32 v43 /*v299*/, v47 /*v303*/, v43 /*v299*/
	s_set_vgpr_msb 0x44                     ;  msbs: dst=1 src0=0 src1=1 src2=0
	s_delay_alu instid0(VALU_DEP_1)
	v_mul_f32_e32 v43 /*v299*/, v10, v43 /*v299*/
	s_set_vgpr_msb 0                        ;  msbs: dst=0 src0=0 src1=0 src2=0
	v_mov_b32_e32 v10, v17
	s_wait_dscnt 0x0
	s_set_vgpr_msb 0x41                     ;  msbs: dst=1 src0=1 src1=0 src2=0
	v_mul_f32_e32 v47 /*v303*/, v43 /*v299*/, v3
	s_set_vgpr_msb 0x44                     ;  msbs: dst=1 src0=0 src1=1 src2=0
	ds_bpermute_b32 v43 /*v299*/, v2, v41 /*v297*/ offset:28
	s_set_vgpr_msb 4                        ;  msbs: dst=0 src0=0 src1=1 src2=0
	ds_bpermute_b32 v3, v2, v42 /*v298*/ offset:28
	s_set_vgpr_msb 1                        ;  msbs: dst=0 src0=1 src1=0 src2=0
	v_pk_add_f32 v[4:5], v[82:83] /*v[338:339]*/, v[4:5]
	s_delay_alu instid0(VALU_DEP_1)
	v_pk_add_f32 v[4:5], v[46:47] /*v[302:303]*/, v[4:5]
	s_set_vgpr_msb 64                       ;  msbs: dst=1 src0=0 src1=0 src2=0
	v_mov_b32_e32 v46 /*v302*/, v20
	s_wait_dscnt 0x1
	s_set_vgpr_msb 0x45                     ;  msbs: dst=1 src0=1 src1=1 src2=0
	v_sub_f32_e32 v43 /*v299*/, v53 /*v309*/, v43 /*v299*/
	s_set_vgpr_msb 0x44                     ;  msbs: dst=1 src0=0 src1=1 src2=0
	s_delay_alu instid0(VALU_DEP_1) | instskip(SKIP_2) | instid1(VALU_DEP_1)
	v_mul_f32_e32 v43 /*v299*/, v11, v43 /*v299*/
	s_wait_dscnt 0x0
	s_set_vgpr_msb 0x41                     ;  msbs: dst=1 src0=1 src1=0 src2=0
	v_mul_f32_e32 v85 /*v341*/, v43 /*v299*/, v3
	s_set_vgpr_msb 0x44                     ;  msbs: dst=1 src0=0 src1=1 src2=0
	ds_bpermute_b32 v43 /*v299*/, v2, v41 /*v297*/ offset:32
	s_set_vgpr_msb 4                        ;  msbs: dst=0 src0=0 src1=1 src2=0
	ds_bpermute_b32 v3, v2, v42 /*v298*/ offset:32
	s_wait_dscnt 0x1
	s_set_vgpr_msb 0x45                     ;  msbs: dst=1 src0=1 src1=1 src2=0
	v_sub_f32_e32 v43 /*v299*/, v51 /*v307*/, v43 /*v299*/
	s_set_vgpr_msb 0x44                     ;  msbs: dst=1 src0=0 src1=1 src2=0
	s_delay_alu instid0(VALU_DEP_1)
	v_mul_f32_e32 v43 /*v299*/, v12, v43 /*v299*/
	s_set_vgpr_msb 0                        ;  msbs: dst=0 src0=0 src1=0 src2=0
	v_mov_b32_e32 v12, v18
	s_wait_dscnt 0x0
	s_set_vgpr_msb 0x41                     ;  msbs: dst=1 src0=1 src1=0 src2=0
	v_mul_f32_e32 v87 /*v343*/, v43 /*v299*/, v3
	s_set_vgpr_msb 0x44                     ;  msbs: dst=1 src0=0 src1=1 src2=0
	ds_bpermute_b32 v43 /*v299*/, v2, v41 /*v297*/ offset:36
	s_set_vgpr_msb 4                        ;  msbs: dst=0 src0=0 src1=1 src2=0
	ds_bpermute_b32 v3, v2, v42 /*v298*/ offset:36
	s_set_vgpr_msb 1                        ;  msbs: dst=0 src0=1 src1=0 src2=0
	v_pk_add_f32 v[4:5], v[84:85] /*v[340:341]*/, v[4:5]
	s_delay_alu instid0(VALU_DEP_1)
	v_pk_add_f32 v[4:5], v[86:87] /*v[342:343]*/, v[4:5]
	s_wait_dscnt 0x1
	s_set_vgpr_msb 0x45                     ;  msbs: dst=1 src0=1 src1=1 src2=0
	v_sub_f32_e32 v43 /*v299*/, v58 /*v314*/, v43 /*v299*/
	s_set_vgpr_msb 0x44                     ;  msbs: dst=1 src0=0 src1=1 src2=0
	v_mov_b32_e32 v58 /*v314*/, v25
	s_delay_alu instid0(VALU_DEP_2) | instskip(SKIP_2) | instid1(VALU_DEP_1)
	v_mul_f32_e32 v43 /*v299*/, v13, v43 /*v299*/
	s_wait_dscnt 0x0
	s_set_vgpr_msb 0x41                     ;  msbs: dst=1 src0=1 src1=0 src2=0
	v_mul_f32_e32 v89 /*v345*/, v43 /*v299*/, v3
	s_set_vgpr_msb 0x44                     ;  msbs: dst=1 src0=0 src1=1 src2=0
	ds_bpermute_b32 v43 /*v299*/, v2, v41 /*v297*/ offset:40
	s_set_vgpr_msb 4                        ;  msbs: dst=0 src0=0 src1=1 src2=0
	ds_bpermute_b32 v3, v2, v42 /*v298*/ offset:40
	s_wait_dscnt 0x1
	s_set_vgpr_msb 0x45                     ;  msbs: dst=1 src0=1 src1=1 src2=0
	v_sub_f32_e32 v43 /*v299*/, v56 /*v312*/, v43 /*v299*/
	s_set_vgpr_msb 0x44                     ;  msbs: dst=1 src0=0 src1=1 src2=0
	s_delay_alu instid0(VALU_DEP_1)
	v_mul_f32_e32 v43 /*v299*/, v14, v43 /*v299*/
	s_set_vgpr_msb 0                        ;  msbs: dst=0 src0=0 src1=0 src2=0
	v_mov_b32_e32 v14, v30
	s_wait_dscnt 0x0
	s_set_vgpr_msb 0x41                     ;  msbs: dst=1 src0=1 src1=0 src2=0
	v_mul_f32_e32 v91 /*v347*/, v43 /*v299*/, v3
	s_set_vgpr_msb 4                        ;  msbs: dst=0 src0=0 src1=1 src2=0
	ds_bpermute_b32 v3, v2, v42 /*v298*/ offset:44
	s_set_vgpr_msb 1                        ;  msbs: dst=0 src0=1 src1=0 src2=0
	v_pk_add_f32 v[4:5], v[88:89] /*v[344:345]*/, v[4:5]
	s_delay_alu instid0(VALU_DEP_1)
	v_pk_add_f32 v[4:5], v[90:91] /*v[346:347]*/, v[4:5]
	s_wait_dscnt 0x0
	s_set_vgpr_msb 0                        ;  msbs: dst=0 src0=0 src1=0 src2=0
	v_mul_f32_e32 v7, v6, v3
	s_set_vgpr_msb 4                        ;  msbs: dst=0 src0=0 src1=1 src2=0
	ds_bpermute_b32 v6, v2, v41 /*v297*/ offset:48
	ds_bpermute_b32 v3, v2, v42 /*v298*/ offset:48
	s_wait_dscnt 0x1
	s_set_vgpr_msb 1                        ;  msbs: dst=0 src0=1 src1=0 src2=0
	v_sub_f32_e32 v6, v49 /*v305*/, v6
	s_set_vgpr_msb 0                        ;  msbs: dst=0 src0=0 src1=0 src2=0
	s_delay_alu instid0(VALU_DEP_1) | instskip(SKIP_1) | instid1(VALU_DEP_1)
	v_dual_mul_f32 v6, v16, v6 :: v_dual_mov_b32 v16, v31
	s_wait_dscnt 0x0
	v_mul_f32_e32 v9, v6, v3
	s_set_vgpr_msb 4                        ;  msbs: dst=0 src0=0 src1=1 src2=0
	ds_bpermute_b32 v6, v2, v41 /*v297*/ offset:52
	ds_bpermute_b32 v3, v2, v42 /*v298*/ offset:52
	s_wait_dscnt 0x1
	s_set_vgpr_msb 1                        ;  msbs: dst=0 src0=1 src1=0 src2=0
	v_sub_f32_e32 v6, v54 /*v310*/, v6
	s_set_vgpr_msb 64                       ;  msbs: dst=1 src0=0 src1=0 src2=0
	v_mov_b32_e32 v54 /*v310*/, v24
	s_set_vgpr_msb 0                        ;  msbs: dst=0 src0=0 src1=0 src2=0
	s_delay_alu instid0(VALU_DEP_2) | instskip(SKIP_1) | instid1(VALU_DEP_1)
	v_mul_f32_e32 v6, v17, v6
	s_wait_dscnt 0x0
	v_mul_f32_e32 v11, v6, v3
	s_set_vgpr_msb 4                        ;  msbs: dst=0 src0=0 src1=1 src2=0
	ds_bpermute_b32 v6, v2, v41 /*v297*/ offset:56
	ds_bpermute_b32 v3, v2, v42 /*v298*/ offset:56
	s_wait_dscnt 0x1
	s_set_vgpr_msb 1                        ;  msbs: dst=0 src0=1 src1=0 src2=0
	v_sub_f32_e32 v6, v52 /*v308*/, v6
	s_set_vgpr_msb 64                       ;  msbs: dst=1 src0=0 src1=0 src2=0
	v_mov_b32_e32 v52 /*v308*/, v23
	s_set_vgpr_msb 0                        ;  msbs: dst=0 src0=0 src1=0 src2=0
	s_delay_alu instid0(VALU_DEP_2) | instskip(SKIP_1) | instid1(VALU_DEP_1)
	v_dual_mul_f32 v6, v18, v6 :: v_dual_mov_b32 v18, v32
	s_wait_dscnt 0x0
	v_mul_f32_e32 v13, v6, v3
	s_set_vgpr_msb 4                        ;  msbs: dst=0 src0=0 src1=1 src2=0
	ds_bpermute_b32 v6, v2, v41 /*v297*/ offset:60
	ds_bpermute_b32 v3, v2, v42 /*v298*/ offset:60
	s_wait_dscnt 0x1
	s_set_vgpr_msb 1                        ;  msbs: dst=0 src0=1 src1=0 src2=0
	v_sub_f32_e32 v6, v59 /*v315*/, v6
	s_set_vgpr_msb 0                        ;  msbs: dst=0 src0=0 src1=0 src2=0
	s_delay_alu instid0(VALU_DEP_1) | instskip(SKIP_2) | instid1(VALU_DEP_1)
	v_mul_f32_e32 v6, v19, v6
	s_wait_dscnt 0x0
	s_set_vgpr_msb 64                       ;  msbs: dst=1 src0=0 src1=0 src2=0
	v_mul_f32_e32 v45 /*v301*/, v6, v3
	s_set_vgpr_msb 4                        ;  msbs: dst=0 src0=0 src1=1 src2=0
	ds_bpermute_b32 v6, v2, v41 /*v297*/ offset:64
	ds_bpermute_b32 v3, v2, v42 /*v298*/ offset:64
	s_wait_dscnt 0x1
	s_set_vgpr_msb 1                        ;  msbs: dst=0 src0=1 src1=0 src2=0
	v_sub_f32_e32 v6, v55 /*v311*/, v6
	s_set_vgpr_msb 0                        ;  msbs: dst=0 src0=0 src1=0 src2=0
	s_delay_alu instid0(VALU_DEP_1) | instskip(SKIP_2) | instid1(VALU_DEP_1)
	v_dual_mul_f32 v6, v20, v6 :: v_dual_mov_b32 v20, v33
	s_wait_dscnt 0x0
	s_set_vgpr_msb 64                       ;  msbs: dst=1 src0=0 src1=0 src2=0
	v_mul_f32_e32 v47 /*v303*/, v6, v3
	s_set_vgpr_msb 4                        ;  msbs: dst=0 src0=0 src1=1 src2=0
	ds_bpermute_b32 v6, v2, v41 /*v297*/ offset:68
	ds_bpermute_b32 v3, v2, v42 /*v298*/ offset:68
	s_wait_dscnt 0x1
	s_set_vgpr_msb 1                        ;  msbs: dst=0 src0=1 src1=0 src2=0
	v_sub_f32_e32 v6, v61 /*v317*/, v6
	s_set_vgpr_msb 0                        ;  msbs: dst=0 src0=0 src1=0 src2=0
	s_delay_alu instid0(VALU_DEP_1) | instskip(SKIP_2) | instid1(VALU_DEP_1)
	v_mul_f32_e32 v6, v21, v6
	s_wait_dscnt 0x0
	s_set_vgpr_msb 64                       ;  msbs: dst=1 src0=0 src1=0 src2=0
	v_mul_f32_e32 v49 /*v305*/, v6, v3
	s_set_vgpr_msb 4                        ;  msbs: dst=0 src0=0 src1=1 src2=0
	ds_bpermute_b32 v6, v2, v41 /*v297*/ offset:72
	ds_bpermute_b32 v3, v2, v42 /*v298*/ offset:72
	s_wait_dscnt 0x1
	s_set_vgpr_msb 1                        ;  msbs: dst=0 src0=1 src1=0 src2=0
	v_sub_f32_e32 v6, v60 /*v316*/, v6
	s_set_vgpr_msb 0                        ;  msbs: dst=0 src0=0 src1=0 src2=0
	s_delay_alu instid0(VALU_DEP_1) | instskip(SKIP_2) | instid1(VALU_DEP_1)
	v_mul_f32_e32 v6, v22, v6
	;; [unrolled: 12-line block ×5, first 2 shown]
	s_wait_dscnt 0x0
	s_set_vgpr_msb 64                       ;  msbs: dst=1 src0=0 src1=0 src2=0
	v_mul_f32_e32 v59 /*v315*/, v6, v3
	s_set_vgpr_msb 4                        ;  msbs: dst=0 src0=0 src1=1 src2=0
	v_mov_b32_e32 v6, v15
	ds_bpermute_b32 v3, v2, v42 /*v298*/ offset:88
	s_set_vgpr_msb 0                        ;  msbs: dst=0 src0=0 src1=0 src2=0
	v_pk_add_f32 v[4:5], v[6:7], v[4:5]
	s_set_vgpr_msb 4                        ;  msbs: dst=0 src0=0 src1=1 src2=0
	ds_bpermute_b32 v6, v2, v41 /*v297*/ offset:88
	s_set_vgpr_msb 0                        ;  msbs: dst=0 src0=0 src1=0 src2=0
	v_pk_add_f32 v[4:5], v[8:9], v[4:5]
	v_mov_b32_e32 v8, v27
	s_delay_alu instid0(VALU_DEP_2) | instskip(SKIP_1) | instid1(VALU_DEP_2)
	v_pk_add_f32 v[4:5], v[10:11], v[4:5]
	v_mov_b32_e32 v10, v28
	v_pk_add_f32 v[4:5], v[12:13], v[4:5]
	v_mov_b32_e32 v12, v29
	s_set_vgpr_msb 1                        ;  msbs: dst=0 src0=1 src1=0 src2=0
	s_delay_alu instid0(VALU_DEP_2) | instskip(SKIP_2) | instid1(VALU_DEP_2)
	v_pk_add_f32 v[4:5], v[44:45] /*v[300:301]*/, v[4:5]
	s_wait_dscnt 0x0
	v_sub_f32_e32 v6, v57 /*v313*/, v6
	v_pk_add_f32 v[4:5], v[46:47] /*v[302:303]*/, v[4:5]
	s_set_vgpr_msb 0                        ;  msbs: dst=0 src0=0 src1=0 src2=0
	s_delay_alu instid0(VALU_DEP_2) | instskip(SKIP_1) | instid1(VALU_DEP_2)
	v_mul_f32_e32 v6, v26, v6
	s_set_vgpr_msb 1                        ;  msbs: dst=0 src0=1 src1=0 src2=0
	v_pk_add_f32 v[4:5], v[48:49] /*v[304:305]*/, v[4:5]
	s_set_vgpr_msb 0                        ;  msbs: dst=0 src0=0 src1=0 src2=0
	s_delay_alu instid0(VALU_DEP_2)
	v_mul_f32_e32 v7, v6, v3
	s_set_vgpr_msb 4                        ;  msbs: dst=0 src0=0 src1=1 src2=0
	ds_bpermute_b32 v6, v2, v41 /*v297*/ offset:92
	ds_bpermute_b32 v3, v2, v42 /*v298*/ offset:92
	s_set_vgpr_msb 1                        ;  msbs: dst=0 src0=1 src1=0 src2=0
	v_pk_add_f32 v[4:5], v[50:51] /*v[306:307]*/, v[4:5]
	s_delay_alu instid0(VALU_DEP_1) | instskip(NEXT) | instid1(VALU_DEP_1)
	v_pk_add_f32 v[4:5], v[52:53] /*v[308:309]*/, v[4:5]
	v_pk_add_f32 v[4:5], v[54:55] /*v[310:311]*/, v[4:5]
	s_delay_alu instid0(VALU_DEP_1) | instskip(SKIP_3) | instid1(VALU_DEP_1)
	v_pk_add_f32 v[4:5], v[58:59] /*v[314:315]*/, v[4:5]
	s_wait_dscnt 0x1
	v_sub_f32_e32 v6, v63 /*v319*/, v6
	s_set_vgpr_msb 0                        ;  msbs: dst=0 src0=0 src1=0 src2=0
	v_mul_f32_e32 v6, v27, v6
	s_wait_dscnt 0x0
	s_delay_alu instid0(VALU_DEP_1)
	v_mul_f32_e32 v9, v6, v3
	s_set_vgpr_msb 4                        ;  msbs: dst=0 src0=0 src1=1 src2=0
	ds_bpermute_b32 v6, v2, v41 /*v297*/ offset:96
	ds_bpermute_b32 v3, v2, v42 /*v298*/ offset:96
	s_wait_dscnt 0x1
	s_set_vgpr_msb 1                        ;  msbs: dst=0 src0=1 src1=0 src2=0
	v_sub_f32_e32 v6, v62 /*v318*/, v6
	s_set_vgpr_msb 0                        ;  msbs: dst=0 src0=0 src1=0 src2=0
	s_delay_alu instid0(VALU_DEP_1) | instskip(SKIP_1) | instid1(VALU_DEP_1)
	v_mul_f32_e32 v6, v28, v6
	s_wait_dscnt 0x0
	v_mul_f32_e32 v11, v6, v3
	s_set_vgpr_msb 4                        ;  msbs: dst=0 src0=0 src1=1 src2=0
	ds_bpermute_b32 v6, v2, v41 /*v297*/ offset:100
	ds_bpermute_b32 v3, v2, v42 /*v298*/ offset:100
	s_wait_dscnt 0x1
	s_set_vgpr_msb 1                        ;  msbs: dst=0 src0=1 src1=0 src2=0
	v_sub_f32_e32 v6, v68 /*v324*/, v6
	s_set_vgpr_msb 0                        ;  msbs: dst=0 src0=0 src1=0 src2=0
	s_delay_alu instid0(VALU_DEP_1) | instskip(SKIP_1) | instid1(VALU_DEP_1)
	v_mul_f32_e32 v6, v29, v6
	s_wait_dscnt 0x0
	;; [unrolled: 11-line block ×6, first 2 shown]
	v_mul_f32_e32 v21, v6, v3
	v_mov_b32_e32 v6, v26
	s_set_vgpr_msb 4                        ;  msbs: dst=0 src0=0 src1=1 src2=0
	ds_bpermute_b32 v3, v2, v42 /*v298*/ offset:120
	s_set_vgpr_msb 0                        ;  msbs: dst=0 src0=0 src1=0 src2=0
	v_pk_add_f32 v[4:5], v[6:7], v[4:5]
	s_set_vgpr_msb 4                        ;  msbs: dst=0 src0=0 src1=1 src2=0
	ds_bpermute_b32 v6, v2, v41 /*v297*/ offset:120
	s_set_vgpr_msb 0                        ;  msbs: dst=0 src0=0 src1=0 src2=0
	v_pk_add_f32 v[4:5], v[8:9], v[4:5]
	s_delay_alu instid0(VALU_DEP_1) | instskip(NEXT) | instid1(VALU_DEP_1)
	v_pk_add_f32 v[4:5], v[10:11], v[4:5]
	v_pk_add_f32 v[4:5], v[12:13], v[4:5]
	s_delay_alu instid0(VALU_DEP_1)
	v_pk_add_f32 v[4:5], v[14:15], v[4:5]
	s_wait_dscnt 0x0
	s_set_vgpr_msb 1                        ;  msbs: dst=0 src0=1 src1=0 src2=0
	v_sub_f32_e32 v6, v65 /*v321*/, v6
	s_set_vgpr_msb 0                        ;  msbs: dst=0 src0=0 src1=0 src2=0
	v_pk_add_f32 v[4:5], v[16:17], v[4:5]
	s_delay_alu instid0(VALU_DEP_2) | instskip(NEXT) | instid1(VALU_DEP_2)
	v_mul_f32_e32 v6, v34, v6
	v_pk_add_f32 v[4:5], v[18:19], v[4:5]
	s_delay_alu instid0(VALU_DEP_2)
	v_mul_f32_e32 v7, v6, v3
	v_mov_b32_e32 v6, v34
	s_set_vgpr_msb 4                        ;  msbs: dst=0 src0=0 src1=1 src2=0
	ds_bpermute_b32 v3, v2, v42 /*v298*/ offset:124
	s_set_vgpr_msb 0                        ;  msbs: dst=0 src0=0 src1=0 src2=0
	v_pk_add_f32 v[4:5], v[20:21], v[4:5]
	s_delay_alu instid0(VALU_DEP_1)
	v_pk_add_f32 v[6:7], v[6:7], v[4:5]
	s_set_vgpr_msb 4                        ;  msbs: dst=0 src0=0 src1=1 src2=0
	ds_bpermute_b32 v4, v2, v41 /*v297*/ offset:124
	s_wait_dscnt 0x0
	s_set_vgpr_msb 1                        ;  msbs: dst=0 src0=1 src1=0 src2=0
	v_sub_f32_e32 v4, v69 /*v325*/, v4
	s_set_vgpr_msb 0                        ;  msbs: dst=0 src0=0 src1=0 src2=0
	s_delay_alu instid0(VALU_DEP_1) | instskip(NEXT) | instid1(VALU_DEP_1)
	v_mul_f32_e32 v4, v35, v4
	v_dual_mul_f32 v5, v4, v3 :: v_dual_mov_b32 v4, v35
.LBB61_214:                             ;   in Loop: Header=BB61_146 Depth=1
	s_and_b32 vcc_lo, exec_lo, s2
	s_cbranch_vccz .LBB61_145
; %bb.215:                              ;   in Loop: Header=BB61_146 Depth=1
	s_load_b32 s2, s[20:21], 0x0
	v_dual_mov_b32 v8, 0 :: v_dual_mov_b32 v5, v2
	s_wait_kmcnt 0x0
	s_cmp_lt_u32 s16, s2
	s_cselect_b32 s2, 12, 18
	s_delay_alu instid0(SALU_CYCLE_1)
	s_add_nc_u64 s[26:27], s[20:21], s[2:3]
	s_load_u16 s2, s[26:27], 0x0
	s_wait_kmcnt 0x0
	s_set_vgpr_msb 16                       ;  msbs: dst=0 src0=0 src1=0 src2=1
	v_mad_u32_u24 v3, v1, s2, v40 /*v296*/
	s_mov_b32 s2, exec_lo
	s_delay_alu instid0(VALU_DEP_1) | instskip(SKIP_1) | instid1(VALU_DEP_1)
	v_dual_mov_b32 v3, 0 :: v_dual_bitop2_b32 v4, 31, v3 bitop3:0x40
	s_set_vgpr_msb 1                        ;  msbs: dst=0 src0=1 src1=0 src2=0
	v_add_nc_u64_e32 v[4:5], v[38:39] /*v[294:295]*/, v[4:5]
	s_delay_alu instid0(VALU_DEP_1)
	v_cmpx_gt_i64_e64 s[4:5], v[4:5]
	s_set_vgpr_msb 0                        ;  msbs: dst=0 src0=0 src1=0 src2=0
	s_cbranch_execz .LBB61_144
; %bb.216:                              ;   in Loop: Header=BB61_146 Depth=1
	v_lshlrev_b64_e32 v[4:5], 2, v[4:5]
	s_delay_alu instid0(VALU_DEP_1)
	v_add_nc_u64_e32 v[6:7], s[12:13], v[4:5]
	v_add_nc_u64_e32 v[4:5], s[14:15], v[4:5]
	global_load_b32 v3, v[6:7], off
	global_load_b32 v8, v[4:5], off
	s_branch .LBB61_144
.LBB61_217:
	s_mov_b32 s17, 0
	s_delay_alu instid0(SALU_CYCLE_1) | instskip(NEXT) | instid1(SALU_CYCLE_1)
	s_lshl_b64 s[2:3], s[16:17], 5
	v_and_or_b32 v2, 0x3ff, v0, s2
	v_mov_b32_e32 v3, s3
	s_mov_b32 s2, exec_lo
	s_delay_alu instid0(VALU_DEP_1)
	v_cmpx_gt_i64_e64 s[6:7], v[2:3]
	s_cbranch_execz .LBB61_222
; %bb.218:
	s_load_u16 s2, s[0:1], 0x4e
	v_bfe_u32 v0, v0, 10, 10
	v_mov_b32_e32 v1, 0
	s_wait_kmcnt 0x0
	s_delay_alu instid0(VALU_DEP_1) | instskip(SKIP_1) | instid1(VALU_DEP_1)
	v_mad_nc_u64_u32 v[0:1], s2, s33, v[0:1]
	s_load_b128 s[0:3], s[0:1], 0x30
	v_mul_u64_e32 v[0:1], s[6:7], v[0:1]
	s_wait_kmcnt 0x0
	s_cmp_eq_u64 s[0:1], 0
	s_cbranch_scc1 .LBB61_220
; %bb.219:
	s_delay_alu instid0(VALU_DEP_1) | instskip(NEXT) | instid1(VALU_DEP_1)
	v_lshl_add_u64 v[4:5], v[0:1], 2, s[0:1]
	v_lshl_add_u64 v[4:5], v[2:3], 2, v[4:5]
	global_store_b32 v[4:5], v37, off
.LBB61_220:
	s_cmp_eq_u64 s[2:3], 0
	s_cbranch_scc1 .LBB61_222
; %bb.221:
	s_delay_alu instid0(VALU_DEP_1) | instskip(NEXT) | instid1(VALU_DEP_1)
	v_lshl_add_u64 v[0:1], v[0:1], 2, s[2:3]
	v_lshl_add_u64 v[0:1], v[2:3], 2, v[0:1]
	global_store_b32 v[0:1], v36, off
.LBB61_222:
	s_sendmsg sendmsg(MSG_DEALLOC_VGPRS)
	s_endpgm
	.section	.rodata,"a",@progbits
	.p2align	6, 0x0
	.amdhsa_kernel _ZN2at6native12_GLOBAL__N_135GammaBetaBackwardCUDAKernelTemplateIffLj32ELj1ELj32ELb1ELb0ELb0EEEvllPKT_S5_PKT0_S8_PS3_S9_
		.amdhsa_group_segment_fixed_size 0
		.amdhsa_private_segment_fixed_size 0
		.amdhsa_kernarg_size 320
		.amdhsa_user_sgpr_count 2
		.amdhsa_user_sgpr_dispatch_ptr 0
		.amdhsa_user_sgpr_queue_ptr 0
		.amdhsa_user_sgpr_kernarg_segment_ptr 1
		.amdhsa_user_sgpr_dispatch_id 0
		.amdhsa_user_sgpr_kernarg_preload_length 0
		.amdhsa_user_sgpr_kernarg_preload_offset 0
		.amdhsa_user_sgpr_private_segment_size 0
		.amdhsa_wavefront_size32 1
		.amdhsa_uses_dynamic_stack 0
		.amdhsa_enable_private_segment 0
		.amdhsa_system_sgpr_workgroup_id_x 1
		.amdhsa_system_sgpr_workgroup_id_y 1
		.amdhsa_system_sgpr_workgroup_id_z 0
		.amdhsa_system_sgpr_workgroup_info 0
		.amdhsa_system_vgpr_workitem_id 1
		.amdhsa_next_free_vgpr 348
		.amdhsa_next_free_sgpr 36
		.amdhsa_named_barrier_count 0
		.amdhsa_reserve_vcc 1
		.amdhsa_float_round_mode_32 0
		.amdhsa_float_round_mode_16_64 0
		.amdhsa_float_denorm_mode_32 3
		.amdhsa_float_denorm_mode_16_64 3
		.amdhsa_fp16_overflow 0
		.amdhsa_memory_ordered 1
		.amdhsa_forward_progress 1
		.amdhsa_inst_pref_size 170
		.amdhsa_round_robin_scheduling 0
		.amdhsa_exception_fp_ieee_invalid_op 0
		.amdhsa_exception_fp_denorm_src 0
		.amdhsa_exception_fp_ieee_div_zero 0
		.amdhsa_exception_fp_ieee_overflow 0
		.amdhsa_exception_fp_ieee_underflow 0
		.amdhsa_exception_fp_ieee_inexact 0
		.amdhsa_exception_int_div_zero 0
	.end_amdhsa_kernel
	.section	.text._ZN2at6native12_GLOBAL__N_135GammaBetaBackwardCUDAKernelTemplateIffLj32ELj1ELj32ELb1ELb0ELb0EEEvllPKT_S5_PKT0_S8_PS3_S9_,"axG",@progbits,_ZN2at6native12_GLOBAL__N_135GammaBetaBackwardCUDAKernelTemplateIffLj32ELj1ELj32ELb1ELb0ELb0EEEvllPKT_S5_PKT0_S8_PS3_S9_,comdat
.Lfunc_end61:
	.size	_ZN2at6native12_GLOBAL__N_135GammaBetaBackwardCUDAKernelTemplateIffLj32ELj1ELj32ELb1ELb0ELb0EEEvllPKT_S5_PKT0_S8_PS3_S9_, .Lfunc_end61-_ZN2at6native12_GLOBAL__N_135GammaBetaBackwardCUDAKernelTemplateIffLj32ELj1ELj32ELb1ELb0ELb0EEEvllPKT_S5_PKT0_S8_PS3_S9_
                                        ; -- End function
	.set _ZN2at6native12_GLOBAL__N_135GammaBetaBackwardCUDAKernelTemplateIffLj32ELj1ELj32ELb1ELb0ELb0EEEvllPKT_S5_PKT0_S8_PS3_S9_.num_vgpr, 348
	.set _ZN2at6native12_GLOBAL__N_135GammaBetaBackwardCUDAKernelTemplateIffLj32ELj1ELj32ELb1ELb0ELb0EEEvllPKT_S5_PKT0_S8_PS3_S9_.num_agpr, 0
	.set _ZN2at6native12_GLOBAL__N_135GammaBetaBackwardCUDAKernelTemplateIffLj32ELj1ELj32ELb1ELb0ELb0EEEvllPKT_S5_PKT0_S8_PS3_S9_.numbered_sgpr, 36
	.set _ZN2at6native12_GLOBAL__N_135GammaBetaBackwardCUDAKernelTemplateIffLj32ELj1ELj32ELb1ELb0ELb0EEEvllPKT_S5_PKT0_S8_PS3_S9_.num_named_barrier, 0
	.set _ZN2at6native12_GLOBAL__N_135GammaBetaBackwardCUDAKernelTemplateIffLj32ELj1ELj32ELb1ELb0ELb0EEEvllPKT_S5_PKT0_S8_PS3_S9_.private_seg_size, 0
	.set _ZN2at6native12_GLOBAL__N_135GammaBetaBackwardCUDAKernelTemplateIffLj32ELj1ELj32ELb1ELb0ELb0EEEvllPKT_S5_PKT0_S8_PS3_S9_.uses_vcc, 1
	.set _ZN2at6native12_GLOBAL__N_135GammaBetaBackwardCUDAKernelTemplateIffLj32ELj1ELj32ELb1ELb0ELb0EEEvllPKT_S5_PKT0_S8_PS3_S9_.uses_flat_scratch, 0
	.set _ZN2at6native12_GLOBAL__N_135GammaBetaBackwardCUDAKernelTemplateIffLj32ELj1ELj32ELb1ELb0ELb0EEEvllPKT_S5_PKT0_S8_PS3_S9_.has_dyn_sized_stack, 0
	.set _ZN2at6native12_GLOBAL__N_135GammaBetaBackwardCUDAKernelTemplateIffLj32ELj1ELj32ELb1ELb0ELb0EEEvllPKT_S5_PKT0_S8_PS3_S9_.has_recursion, 0
	.set _ZN2at6native12_GLOBAL__N_135GammaBetaBackwardCUDAKernelTemplateIffLj32ELj1ELj32ELb1ELb0ELb0EEEvllPKT_S5_PKT0_S8_PS3_S9_.has_indirect_call, 0
	.section	.AMDGPU.csdata,"",@progbits
; Kernel info:
; codeLenInByte = 21644
; TotalNumSgprs: 38
; NumVgprs: 348
; ScratchSize: 0
; MemoryBound: 0
; FloatMode: 240
; IeeeMode: 1
; LDSByteSize: 0 bytes/workgroup (compile time only)
; SGPRBlocks: 0
; VGPRBlocks: 21
; NumSGPRsForWavesPerEU: 38
; NumVGPRsForWavesPerEU: 348
; NamedBarCnt: 0
; Occupancy: 2
; WaveLimiterHint : 0
; COMPUTE_PGM_RSRC2:SCRATCH_EN: 0
; COMPUTE_PGM_RSRC2:USER_SGPR: 2
; COMPUTE_PGM_RSRC2:TRAP_HANDLER: 0
; COMPUTE_PGM_RSRC2:TGID_X_EN: 1
; COMPUTE_PGM_RSRC2:TGID_Y_EN: 1
; COMPUTE_PGM_RSRC2:TGID_Z_EN: 0
; COMPUTE_PGM_RSRC2:TIDIG_COMP_CNT: 1
	.section	.text._ZN2at6native12_GLOBAL__N_135GammaBetaBackwardCUDAKernelTemplateIffLj32ELj1ELj8ELb1ELb1ELb0EEEvllPKT_S5_PKT0_S8_PS3_S9_,"axG",@progbits,_ZN2at6native12_GLOBAL__N_135GammaBetaBackwardCUDAKernelTemplateIffLj32ELj1ELj8ELb1ELb1ELb0EEEvllPKT_S5_PKT0_S8_PS3_S9_,comdat
	.globl	_ZN2at6native12_GLOBAL__N_135GammaBetaBackwardCUDAKernelTemplateIffLj32ELj1ELj8ELb1ELb1ELb0EEEvllPKT_S5_PKT0_S8_PS3_S9_ ; -- Begin function _ZN2at6native12_GLOBAL__N_135GammaBetaBackwardCUDAKernelTemplateIffLj32ELj1ELj8ELb1ELb1ELb0EEEvllPKT_S5_PKT0_S8_PS3_S9_
	.p2align	8
	.type	_ZN2at6native12_GLOBAL__N_135GammaBetaBackwardCUDAKernelTemplateIffLj32ELj1ELj8ELb1ELb1ELb0EEEvllPKT_S5_PKT0_S8_PS3_S9_,@function
_ZN2at6native12_GLOBAL__N_135GammaBetaBackwardCUDAKernelTemplateIffLj32ELj1ELj8ELb1ELb1ELb0EEEvllPKT_S5_PKT0_S8_PS3_S9_: ; @_ZN2at6native12_GLOBAL__N_135GammaBetaBackwardCUDAKernelTemplateIffLj32ELj1ELj8ELb1ELb1ELb0EEEvllPKT_S5_PKT0_S8_PS3_S9_
; %bb.0:
	s_load_b128 s[12:15], s[0:1], 0x0
	s_bfe_u32 s3, ttmp6, 0x4000c
	s_bfe_u32 s4, ttmp6, 0x40010
	s_add_co_i32 s3, s3, 1
	s_add_co_i32 s4, s4, 1
	s_and_b32 s2, ttmp6, 15
	s_bfe_u32 s5, ttmp6, 0x40004
	s_mul_i32 s3, ttmp9, s3
	s_mul_i32 s4, ttmp7, s4
	s_getreg_b32 s6, hwreg(HW_REG_IB_STS2, 6, 4)
	s_add_co_i32 s2, s2, s3
	s_add_co_i32 s5, s5, s4
	s_cmp_eq_u32 s6, 0
	s_mov_b32 s19, 0
	s_cselect_b32 s17, ttmp7, s5
	s_cselect_b32 s16, ttmp9, s2
	s_lshl_b32 s18, s17, 3
	v_bfe_u32 v1, v0, 10, 10
	s_add_nc_u64 s[20:21], s[0:1], 64
	s_wait_kmcnt 0x0
	v_cmp_gt_i64_e64 s2, s[12:13], s[18:19]
	s_and_b32 vcc_lo, exec_lo, s2
	s_cbranch_vccnz .LBB62_2
; %bb.1:
	v_bfe_u32 v2, v0, 10, 10
	s_add_nc_u64 s[4:5], s[0:1], 64
	s_mov_b32 s2, s19
	s_branch .LBB62_3
.LBB62_2:
	s_mov_b32 s2, -1
                                        ; implicit-def: $sgpr4_sgpr5
                                        ; implicit-def: $vgpr2
.LBB62_3:
	v_mov_b32_e32 v9, 0
	v_and_b32_e32 v0, 0x3ff, v0
	s_and_not1_b32 vcc_lo, exec_lo, s2
	s_delay_alu instid0(VALU_DEP_2)
	v_mov_b32_e32 v8, v9
	s_cbranch_vccnz .LBB62_11
; %bb.4:
	v_dual_mov_b32 v3, 0 :: v_dual_lshlrev_b32 v2, 3, v1
	s_clause 0x2
	s_load_b32 s2, s[0:1], 0x4c
	s_load_b32 s3, s[0:1], 0x44
	s_load_b256 s[4:11], s[0:1], 0x10
	v_mov_b32_e32 v13, 12
	v_lshl_add_u32 v6, s16, 5, v0
	v_add_nc_u64_e32 v[4:5], s[18:19], v[2:3]
	v_mov_b32_e32 v19, v3
	s_mov_b32 s23, 0
	v_dual_mov_b32 v2, 8 :: v_dual_mov_b32 v12, 4
	v_dual_mov_b32 v14, 16 :: v_dual_mov_b32 v15, 20
	s_delay_alu instid0(VALU_DEP_4)
	v_mul_u64_e32 v[10:11], s[14:15], v[4:5]
	v_dual_mov_b32 v16, 24 :: v_dual_mov_b32 v17, 28
	v_dual_mov_b32 v8, 0 :: v_dual_mov_b32 v9, v3
	s_lshl_b64 s[28:29], s[14:15], 2
	s_wait_kmcnt 0x0
	s_lshl_b32 s22, s3, 3
	s_and_b32 s2, s2, 0xffff
	s_mul_u64 s[26:27], s[14:15], s[22:23]
	v_mad_u32_u24 v7, v1, s2, v0
	s_lshl_b64 s[24:25], s[22:23], 2
	s_lshl_b64 s[26:27], s[26:27], 2
	s_delay_alu instid0(VALU_DEP_1) | instskip(NEXT) | instid1(VALU_DEP_1)
	v_dual_mov_b32 v7, v3 :: v_dual_bitop2_b32 v18, 31, v7 bitop3:0x40
	v_add_nc_u64_e32 v[4:5], v[4:5], v[18:19]
	s_delay_alu instid0(VALU_DEP_2) | instskip(SKIP_1) | instid1(VALU_DEP_3)
	v_lshlrev_b64_e32 v[20:21], 2, v[6:7]
	v_cmp_gt_u32_e64 s2, 8, v18
	v_lshlrev_b64_e32 v[6:7], 2, v[4:5]
	s_delay_alu instid0(VALU_DEP_3)
	v_lshl_add_u64 v[10:11], v[10:11], 2, v[20:21]
	s_branch .LBB62_7
.LBB62_5:                               ;   in Loop: Header=BB62_7 Depth=1
	s_wait_xcnt 0x0
	s_or_b32 exec_lo, exec_lo, s30
.LBB62_6:                               ;   in Loop: Header=BB62_7 Depth=1
	s_delay_alu instid0(SALU_CYCLE_1)
	s_or_b32 exec_lo, exec_lo, s3
	v_add_nc_u64_e32 v[20:21], s[6:7], v[10:11]
	v_add_nc_u64_e32 v[22:23], s[4:5], v[10:11]
	s_wait_loadcnt 0x0
	ds_bpermute_b32 v42, v2, v18
	ds_bpermute_b32 v43, v14, v19
	;; [unrolled: 1-line block ×4, first 2 shown]
	s_add_nc_u64 s[18:19], s[18:19], s[22:23]
	v_add_nc_u64_e32 v[24:25], s[28:29], v[20:21]
	v_add_nc_u64_e32 v[26:27], s[28:29], v[22:23]
	global_load_b32 v31, v[20:21], off
	global_load_b32 v30, v[22:23], off
	v_cmp_lt_i64_e64 s3, s[18:19], s[12:13]
	v_add_nc_u64_e32 v[6:7], s[24:25], v[6:7]
	v_add_nc_u64_e32 v[4:5], s[22:23], v[4:5]
	;; [unrolled: 1-line block ×4, first 2 shown]
	s_wait_xcnt 0x1
	v_add_nc_u64_e32 v[20:21], s[28:29], v[26:27]
	global_load_b32 v25, v[24:25], off
	s_and_b32 vcc_lo, exec_lo, s3
	global_load_b32 v24, v[26:27], off
	global_load_b32 v33, v[28:29], off
	v_add_nc_u64_e32 v[22:23], s[28:29], v[28:29]
	s_wait_xcnt 0x1
	v_add_nc_u64_e32 v[26:27], s[28:29], v[20:21]
	global_load_b32 v32, v[20:21], off
	global_load_b32 v35, v[22:23], off
	s_wait_xcnt 0x2
	v_add_nc_u64_e32 v[28:29], s[28:29], v[22:23]
	s_wait_xcnt 0x1
	v_add_nc_u64_e32 v[20:21], s[28:29], v[26:27]
	global_load_b32 v34, v[26:27], off
	global_load_b32 v37, v[28:29], off
	s_wait_xcnt 0x2
	;; [unrolled: 6-line block ×3, first 2 shown]
	v_add_nc_u64_e32 v[28:29], s[28:29], v[22:23]
	s_wait_xcnt 0x1
	v_add_nc_u64_e32 v[20:21], s[28:29], v[26:27]
	global_load_b32 v22, v[26:27], off
	s_wait_xcnt 0x0
	v_add_nc_u64_e32 v[26:27], s[28:29], v[28:29]
	global_load_b32 v23, v[28:29], off
	;; [unrolled: 3-line block ×3, first 2 shown]
	global_load_b32 v41, v[26:27], off
	global_load_b32 v40, v[28:29], off
	s_wait_xcnt 0x2
	ds_bpermute_b32 v20, v3, v19
	ds_bpermute_b32 v21, v12, v19
	s_wait_xcnt 0x1
	ds_bpermute_b32 v26, v3, v18
	ds_bpermute_b32 v27, v2, v19
	;; [unrolled: 3-line block ×3, first 2 shown]
	s_wait_loadcnt_dscnt 0xd04
	v_dual_sub_f32 v20, v31, v20 :: v_dual_sub_f32 v21, v25, v21
	s_delay_alu instid0(VALU_DEP_1) | instskip(SKIP_1) | instid1(VALU_DEP_1)
	v_mul_f32_e32 v20, v30, v20
	s_wait_dscnt 0x3
	v_mul_f32_e32 v31, v20, v26
	s_wait_loadcnt_dscnt 0xb02
	v_dual_mul_f32 v20, v24, v21 :: v_dual_sub_f32 v21, v33, v27
	ds_bpermute_b32 v27, v16, v19
	ds_bpermute_b32 v19, v17, v19
	;; [unrolled: 1-line block ×3, first 2 shown]
	s_wait_dscnt 0x4
	v_mul_f32_e32 v25, v20, v28
	v_pk_add_f32 v[8:9], v[8:9], v[30:31]
	ds_bpermute_b32 v28, v15, v18
	s_wait_loadcnt 0xa
	v_mul_f32_e32 v20, v32, v21
	s_wait_loadcnt_dscnt 0x904
	v_sub_f32_e32 v21, v35, v29
	v_pk_add_f32 v[8:9], v[8:9], v[24:25]
	ds_bpermute_b32 v24, v16, v18
	ds_bpermute_b32 v18, v17, v18
	s_wait_loadcnt 0x8
	v_dual_mul_f32 v33, v20, v42 :: v_dual_mul_f32 v20, v34, v21
	s_wait_loadcnt 0x7
	v_sub_f32_e32 v21, v37, v43
	s_delay_alu instid0(VALU_DEP_2) | instskip(SKIP_3) | instid1(VALU_DEP_1)
	v_pk_add_f32 v[8:9], v[8:9], v[32:33]
	s_wait_loadcnt_dscnt 0x104
	v_dual_sub_f32 v19, v41, v19 :: v_dual_mul_f32 v35, v20, v44
	s_wait_loadcnt 0x0
	v_mul_f32_e32 v19, v40, v19
	v_mul_f32_e32 v20, v36, v21
	v_sub_f32_e32 v21, v39, v45
	v_pk_add_f32 v[8:9], v[8:9], v[34:35]
	s_wait_dscnt 0x0
	v_mul_f32_e32 v41, v19, v18
	s_delay_alu instid0(VALU_DEP_3) | instskip(SKIP_1) | instid1(VALU_DEP_2)
	v_dual_mul_f32 v37, v20, v26 :: v_dual_mul_f32 v20, v22, v21
	v_sub_f32_e32 v21, v23, v27
	v_pk_add_f32 v[8:9], v[8:9], v[36:37]
	s_delay_alu instid0(VALU_DEP_2) | instskip(NEXT) | instid1(VALU_DEP_1)
	v_dual_mul_f32 v23, v20, v28 :: v_dual_mul_f32 v20, v38, v21
	v_pk_add_f32 v[8:9], v[8:9], v[22:23]
	s_delay_alu instid0(VALU_DEP_2) | instskip(NEXT) | instid1(VALU_DEP_1)
	v_mul_f32_e32 v39, v20, v24
	v_pk_add_f32 v[8:9], v[8:9], v[38:39]
	s_delay_alu instid0(VALU_DEP_1)
	v_pk_add_f32 v[8:9], v[8:9], v[40:41]
	s_cbranch_vccz .LBB62_10
.LBB62_7:                               ; =>This Inner Loop Header: Depth=1
	v_dual_mov_b32 v18, 0 :: v_dual_mov_b32 v19, 0
	s_and_saveexec_b32 s3, s2
	s_cbranch_execz .LBB62_6
; %bb.8:                                ;   in Loop: Header=BB62_7 Depth=1
	v_dual_mov_b32 v19, 0 :: v_dual_mov_b32 v18, 0
	s_mov_b32 s30, exec_lo
	v_cmpx_gt_i64_e64 s[12:13], v[4:5]
	s_cbranch_execz .LBB62_5
; %bb.9:                                ;   in Loop: Header=BB62_7 Depth=1
	v_add_nc_u64_e32 v[20:21], s[8:9], v[6:7]
	v_add_nc_u64_e32 v[22:23], s[10:11], v[6:7]
	global_load_b32 v19, v[20:21], off
	global_load_b32 v18, v[22:23], off
	s_branch .LBB62_5
.LBB62_10:
	v_mov_b32_e32 v2, v1
	s_mov_b64 s[4:5], s[20:21]
.LBB62_11:
	s_load_b128 s[0:3], s[0:1], 0x30
	s_nop 0
	s_load_u16 s4, s[4:5], 0xe
	v_mov_b32_e32 v1, 0
	s_delay_alu instid0(VALU_DEP_1) | instskip(SKIP_1) | instid1(VALU_DEP_1)
	v_mov_b32_e32 v3, v1
	s_wait_kmcnt 0x0
	v_mad_nc_u64_u32 v[2:3], s4, s17, v[2:3]
	s_mov_b32 s17, 0
	s_delay_alu instid0(SALU_CYCLE_1) | instskip(SKIP_2) | instid1(VALU_DEP_2)
	s_lshl_b64 s[4:5], s[16:17], 5
	s_cmp_eq_u64 s[0:1], 0
	v_add_nc_u64_e32 v[0:1], s[4:5], v[0:1]
	v_mul_u64_e32 v[2:3], s[14:15], v[2:3]
	s_cbranch_scc1 .LBB62_13
; %bb.12:
	s_delay_alu instid0(VALU_DEP_1) | instskip(NEXT) | instid1(VALU_DEP_1)
	v_lshl_add_u64 v[4:5], v[2:3], 2, s[0:1]
	v_lshl_add_u64 v[4:5], v[0:1], 2, v[4:5]
	global_store_b32 v[4:5], v9, off
.LBB62_13:
	s_cmp_eq_u64 s[2:3], 0
	s_cbranch_scc1 .LBB62_15
; %bb.14:
	s_delay_alu instid0(VALU_DEP_1) | instskip(NEXT) | instid1(VALU_DEP_1)
	v_lshl_add_u64 v[2:3], v[2:3], 2, s[2:3]
	v_lshl_add_u64 v[0:1], v[0:1], 2, v[2:3]
	global_store_b32 v[0:1], v8, off
.LBB62_15:
	s_endpgm
	.section	.rodata,"a",@progbits
	.p2align	6, 0x0
	.amdhsa_kernel _ZN2at6native12_GLOBAL__N_135GammaBetaBackwardCUDAKernelTemplateIffLj32ELj1ELj8ELb1ELb1ELb0EEEvllPKT_S5_PKT0_S8_PS3_S9_
		.amdhsa_group_segment_fixed_size 0
		.amdhsa_private_segment_fixed_size 0
		.amdhsa_kernarg_size 320
		.amdhsa_user_sgpr_count 2
		.amdhsa_user_sgpr_dispatch_ptr 0
		.amdhsa_user_sgpr_queue_ptr 0
		.amdhsa_user_sgpr_kernarg_segment_ptr 1
		.amdhsa_user_sgpr_dispatch_id 0
		.amdhsa_user_sgpr_kernarg_preload_length 0
		.amdhsa_user_sgpr_kernarg_preload_offset 0
		.amdhsa_user_sgpr_private_segment_size 0
		.amdhsa_wavefront_size32 1
		.amdhsa_uses_dynamic_stack 0
		.amdhsa_enable_private_segment 0
		.amdhsa_system_sgpr_workgroup_id_x 1
		.amdhsa_system_sgpr_workgroup_id_y 1
		.amdhsa_system_sgpr_workgroup_id_z 0
		.amdhsa_system_sgpr_workgroup_info 0
		.amdhsa_system_vgpr_workitem_id 1
		.amdhsa_next_free_vgpr 46
		.amdhsa_next_free_sgpr 31
		.amdhsa_named_barrier_count 0
		.amdhsa_reserve_vcc 1
		.amdhsa_float_round_mode_32 0
		.amdhsa_float_round_mode_16_64 0
		.amdhsa_float_denorm_mode_32 3
		.amdhsa_float_denorm_mode_16_64 3
		.amdhsa_fp16_overflow 0
		.amdhsa_memory_ordered 1
		.amdhsa_forward_progress 1
		.amdhsa_inst_pref_size 11
		.amdhsa_round_robin_scheduling 0
		.amdhsa_exception_fp_ieee_invalid_op 0
		.amdhsa_exception_fp_denorm_src 0
		.amdhsa_exception_fp_ieee_div_zero 0
		.amdhsa_exception_fp_ieee_overflow 0
		.amdhsa_exception_fp_ieee_underflow 0
		.amdhsa_exception_fp_ieee_inexact 0
		.amdhsa_exception_int_div_zero 0
	.end_amdhsa_kernel
	.section	.text._ZN2at6native12_GLOBAL__N_135GammaBetaBackwardCUDAKernelTemplateIffLj32ELj1ELj8ELb1ELb1ELb0EEEvllPKT_S5_PKT0_S8_PS3_S9_,"axG",@progbits,_ZN2at6native12_GLOBAL__N_135GammaBetaBackwardCUDAKernelTemplateIffLj32ELj1ELj8ELb1ELb1ELb0EEEvllPKT_S5_PKT0_S8_PS3_S9_,comdat
.Lfunc_end62:
	.size	_ZN2at6native12_GLOBAL__N_135GammaBetaBackwardCUDAKernelTemplateIffLj32ELj1ELj8ELb1ELb1ELb0EEEvllPKT_S5_PKT0_S8_PS3_S9_, .Lfunc_end62-_ZN2at6native12_GLOBAL__N_135GammaBetaBackwardCUDAKernelTemplateIffLj32ELj1ELj8ELb1ELb1ELb0EEEvllPKT_S5_PKT0_S8_PS3_S9_
                                        ; -- End function
	.set _ZN2at6native12_GLOBAL__N_135GammaBetaBackwardCUDAKernelTemplateIffLj32ELj1ELj8ELb1ELb1ELb0EEEvllPKT_S5_PKT0_S8_PS3_S9_.num_vgpr, 46
	.set _ZN2at6native12_GLOBAL__N_135GammaBetaBackwardCUDAKernelTemplateIffLj32ELj1ELj8ELb1ELb1ELb0EEEvllPKT_S5_PKT0_S8_PS3_S9_.num_agpr, 0
	.set _ZN2at6native12_GLOBAL__N_135GammaBetaBackwardCUDAKernelTemplateIffLj32ELj1ELj8ELb1ELb1ELb0EEEvllPKT_S5_PKT0_S8_PS3_S9_.numbered_sgpr, 31
	.set _ZN2at6native12_GLOBAL__N_135GammaBetaBackwardCUDAKernelTemplateIffLj32ELj1ELj8ELb1ELb1ELb0EEEvllPKT_S5_PKT0_S8_PS3_S9_.num_named_barrier, 0
	.set _ZN2at6native12_GLOBAL__N_135GammaBetaBackwardCUDAKernelTemplateIffLj32ELj1ELj8ELb1ELb1ELb0EEEvllPKT_S5_PKT0_S8_PS3_S9_.private_seg_size, 0
	.set _ZN2at6native12_GLOBAL__N_135GammaBetaBackwardCUDAKernelTemplateIffLj32ELj1ELj8ELb1ELb1ELb0EEEvllPKT_S5_PKT0_S8_PS3_S9_.uses_vcc, 1
	.set _ZN2at6native12_GLOBAL__N_135GammaBetaBackwardCUDAKernelTemplateIffLj32ELj1ELj8ELb1ELb1ELb0EEEvllPKT_S5_PKT0_S8_PS3_S9_.uses_flat_scratch, 0
	.set _ZN2at6native12_GLOBAL__N_135GammaBetaBackwardCUDAKernelTemplateIffLj32ELj1ELj8ELb1ELb1ELb0EEEvllPKT_S5_PKT0_S8_PS3_S9_.has_dyn_sized_stack, 0
	.set _ZN2at6native12_GLOBAL__N_135GammaBetaBackwardCUDAKernelTemplateIffLj32ELj1ELj8ELb1ELb1ELb0EEEvllPKT_S5_PKT0_S8_PS3_S9_.has_recursion, 0
	.set _ZN2at6native12_GLOBAL__N_135GammaBetaBackwardCUDAKernelTemplateIffLj32ELj1ELj8ELb1ELb1ELb0EEEvllPKT_S5_PKT0_S8_PS3_S9_.has_indirect_call, 0
	.section	.AMDGPU.csdata,"",@progbits
; Kernel info:
; codeLenInByte = 1320
; TotalNumSgprs: 33
; NumVgprs: 46
; ScratchSize: 0
; MemoryBound: 0
; FloatMode: 240
; IeeeMode: 1
; LDSByteSize: 0 bytes/workgroup (compile time only)
; SGPRBlocks: 0
; VGPRBlocks: 2
; NumSGPRsForWavesPerEU: 33
; NumVGPRsForWavesPerEU: 46
; NamedBarCnt: 0
; Occupancy: 16
; WaveLimiterHint : 0
; COMPUTE_PGM_RSRC2:SCRATCH_EN: 0
; COMPUTE_PGM_RSRC2:USER_SGPR: 2
; COMPUTE_PGM_RSRC2:TRAP_HANDLER: 0
; COMPUTE_PGM_RSRC2:TGID_X_EN: 1
; COMPUTE_PGM_RSRC2:TGID_Y_EN: 1
; COMPUTE_PGM_RSRC2:TGID_Z_EN: 0
; COMPUTE_PGM_RSRC2:TIDIG_COMP_CNT: 1
	.section	.text._ZN2at6native12_GLOBAL__N_135GammaBetaBackwardCUDAKernelTemplateIffLj32ELj1ELj8ELb1ELb0ELb0EEEvllPKT_S5_PKT0_S8_PS3_S9_,"axG",@progbits,_ZN2at6native12_GLOBAL__N_135GammaBetaBackwardCUDAKernelTemplateIffLj32ELj1ELj8ELb1ELb0ELb0EEEvllPKT_S5_PKT0_S8_PS3_S9_,comdat
	.globl	_ZN2at6native12_GLOBAL__N_135GammaBetaBackwardCUDAKernelTemplateIffLj32ELj1ELj8ELb1ELb0ELb0EEEvllPKT_S5_PKT0_S8_PS3_S9_ ; -- Begin function _ZN2at6native12_GLOBAL__N_135GammaBetaBackwardCUDAKernelTemplateIffLj32ELj1ELj8ELb1ELb0ELb0EEEvllPKT_S5_PKT0_S8_PS3_S9_
	.p2align	8
	.type	_ZN2at6native12_GLOBAL__N_135GammaBetaBackwardCUDAKernelTemplateIffLj32ELj1ELj8ELb1ELb0ELb0EEEvllPKT_S5_PKT0_S8_PS3_S9_,@function
_ZN2at6native12_GLOBAL__N_135GammaBetaBackwardCUDAKernelTemplateIffLj32ELj1ELj8ELb1ELb0ELb0EEEvllPKT_S5_PKT0_S8_PS3_S9_: ; @_ZN2at6native12_GLOBAL__N_135GammaBetaBackwardCUDAKernelTemplateIffLj32ELj1ELj8ELb1ELb0ELb0EEEvllPKT_S5_PKT0_S8_PS3_S9_
; %bb.0:
	s_load_b256 s[4:11], s[0:1], 0x0
	s_bfe_u32 s3, ttmp6, 0x4000c
	s_bfe_u32 s12, ttmp6, 0x40010
	s_add_co_i32 s3, s3, 1
	s_add_co_i32 s12, s12, 1
	s_and_b32 s2, ttmp6, 15
	s_bfe_u32 s13, ttmp6, 0x40004
	s_mul_i32 s3, ttmp9, s3
	s_mul_i32 s12, ttmp7, s12
	s_getreg_b32 s14, hwreg(HW_REG_IB_STS2, 6, 4)
	s_add_co_i32 s2, s2, s3
	s_add_co_i32 s3, s13, s12
	s_cmp_eq_u32 s14, 0
	s_mov_b32 s19, 0
	s_cselect_b32 s16, ttmp9, s2
	s_cselect_b32 s33, ttmp7, s3
	s_lshl_b32 s3, s16, 5
	s_load_b128 s[12:15], s[0:1], 0x20
	s_or_b32 s18, s3, 31
	s_wait_kmcnt 0x0
	v_cmp_le_i64_e64 s2, s[6:7], s[18:19]
	s_lshl_b32 s18, s33, 3
	s_delay_alu instid0(SALU_CYCLE_1) | instskip(SKIP_2) | instid1(VALU_DEP_1)
	v_cmp_gt_i64_e64 s17, s[4:5], s[18:19]
	s_and_b32 vcc_lo, exec_lo, s2
	v_cndmask_b32_e64 v1, 0, 1, s17
	v_cmp_ne_u32_e64 s2, 1, v1
	s_cbranch_vccz .LBB63_48
; %bb.1:
	v_mov_b32_e32 v21, 0
	s_and_b32 vcc_lo, exec_lo, s2
	s_delay_alu instid0(VALU_DEP_1)
	v_mov_b32_e32 v20, v21
	s_cbranch_vccnz .LBB63_49
; %bb.2:
	v_bfe_u32 v1, v0, 10, 10
	v_mov_b32_e32 v2, 0
	v_and_b32_e32 v62, 0x3ff, v0
	s_load_b32 s20, s[0:1], 0x44
	s_mov_b32 s21, 0
	s_delay_alu instid0(VALU_DEP_2) | instskip(NEXT) | instid1(VALU_DEP_2)
	v_dual_mov_b32 v23, v2 :: v_dual_lshlrev_b32 v22, 3, v1
	v_dual_mov_b32 v19, v2 :: v_dual_add_nc_u32 v18, s3, v62
	s_mov_b32 s25, s21
	s_add_nc_u64 s[22:23], s[0:1], 64
	s_delay_alu instid0(VALU_DEP_2) | instskip(SKIP_2) | instid1(VALU_DEP_1)
	v_add_nc_u64_e32 v[4:5], s[18:19], v[22:23]
	s_mov_b64 s[28:29], 7
	s_mov_b64 s[30:31], s[18:19]
	v_mul_u64_e32 v[6:7], s[6:7], v[4:5]
	v_add_nc_u64_e32 v[8:9], 7, v[4:5]
	v_add_nc_u64_e32 v[10:11], 6, v[4:5]
	;; [unrolled: 1-line block ×6, first 2 shown]
	s_wait_kmcnt 0x0
	s_lshl_b32 s24, s20, 3
	v_mul_u64_e32 v[8:9], s[6:7], v[8:9]
	v_mul_u64_e32 v[10:11], s[6:7], v[10:11]
	;; [unrolled: 1-line block ×6, first 2 shown]
	s_mul_u64 s[26:27], s[6:7], s[24:25]
	s_delay_alu instid0(SALU_CYCLE_1) | instskip(SKIP_2) | instid1(VALU_DEP_2)
	s_lshl_b64 s[26:27], s[26:27], 2
	v_lshlrev_b64_e32 v[20:21], 2, v[6:7]
	v_add_nc_u64_e32 v[6:7], s[6:7], v[6:7]
	v_add_nc_u64_e32 v[26:27], s[8:9], v[20:21]
	v_lshlrev_b64_e32 v[8:9], 2, v[8:9]
	v_lshlrev_b64_e32 v[10:11], 2, v[10:11]
	;; [unrolled: 1-line block ×7, first 2 shown]
	v_add_nc_u64_e32 v[28:29], s[10:11], v[20:21]
	v_add_nc_u64_e32 v[30:31], s[8:9], v[8:9]
	;; [unrolled: 1-line block ×15, first 2 shown]
	v_mov_b32_e32 v20, 0
	v_cmp_gt_i64_e64 s2, s[6:7], v[18:19]
	v_lshlrev_b64_e32 v[24:25], 2, v[18:19]
	v_mov_b32_e32 v21, v2
	s_branch .LBB63_5
.LBB63_3:                               ;   in Loop: Header=BB63_5 Depth=1
	s_wait_xcnt 0x0
	s_or_b32 exec_lo, exec_lo, s20
	s_wait_loadcnt 0x1
	ds_bpermute_b32 v3, v2, v60
	ds_bpermute_b32 v59, v2, v60 offset:4
	ds_bpermute_b32 v63, v2, v60 offset:8
	s_wait_loadcnt 0x0
	ds_bpermute_b32 v64, v2, v61
	ds_bpermute_b32 v65, v2, v60 offset:12
	ds_bpermute_b32 v66, v2, v61 offset:4
	;; [unrolled: 1-line block ×9, first 2 shown]
	s_wait_dscnt 0xc
	v_dual_mov_b32 v58, v5 :: v_dual_sub_f32 v3, v12, v3
	s_wait_dscnt 0xb
	v_dual_mov_b32 v12, v4 :: v_dual_sub_f32 v13, v13, v59
	s_wait_dscnt 0xa
	v_sub_f32_e32 v59, v14, v63
	v_dual_mul_f32 v3, v4, v3 :: v_dual_mov_b32 v4, v6
	s_delay_alu instid0(VALU_DEP_3) | instskip(SKIP_1) | instid1(VALU_DEP_2)
	v_dual_mul_f32 v5, v5, v13 :: v_dual_mov_b32 v14, v7
	s_wait_dscnt 0x9
	v_dual_mul_f32 v6, v6, v59 :: v_dual_mul_f32 v13, v3, v64
	s_wait_dscnt 0x7
	s_delay_alu instid0(VALU_DEP_2) | instskip(SKIP_1) | instid1(VALU_DEP_2)
	v_dual_sub_f32 v3, v15, v65 :: v_dual_mul_f32 v59, v5, v66
	s_wait_dscnt 0x6
	v_mul_f32_e32 v5, v6, v67
	v_pk_add_f32 v[12:13], v[20:21], v[12:13]
	ds_bpermute_b32 v20, v2, v61 offset:24
	s_wait_dscnt 0x6
	v_dual_sub_f32 v15, v16, v69 :: v_dual_mul_f32 v3, v7, v3
	v_pk_add_f32 v[6:7], v[58:59], v[12:13]
	s_wait_dscnt 0x4
	v_dual_mov_b32 v12, v8 :: v_dual_sub_f32 v13, v17, v72
	s_delay_alu instid0(VALU_DEP_3) | instskip(NEXT) | instid1(VALU_DEP_3)
	v_dual_mul_f32 v8, v8, v15 :: v_dual_mul_f32 v15, v3, v68
	v_pk_add_f32 v[4:5], v[4:5], v[6:7]
	ds_bpermute_b32 v3, v2, v61 offset:28
	s_wait_dscnt 0x3
	v_sub_f32_e32 v16, v18, v73
	v_dual_mul_f32 v17, v9, v13 :: v_dual_mul_f32 v13, v8, v70
	v_pk_add_f32 v[6:7], v[14:15], v[4:5]
	ds_bpermute_b32 v4, v2, v60 offset:28
	v_dual_mov_b32 v8, v9 :: v_dual_mul_f32 v5, v10, v16
	s_wait_dscnt 0x3
	v_mul_f32_e32 v9, v17, v71
	v_pk_add_f32 v[6:7], v[12:13], v[6:7]
	s_wait_dscnt 0x2
	v_dual_mov_b32 v12, v10 :: v_dual_mul_f32 v13, v5, v20
	s_delay_alu instid0(VALU_DEP_2) | instskip(NEXT) | instid1(VALU_DEP_1)
	v_pk_add_f32 v[6:7], v[8:9], v[6:7]
	v_pk_add_f32 v[60:61], v[12:13], v[6:7]
.LBB63_4:                               ;   in Loop: Header=BB63_5 Depth=1
	s_wait_dscnt 0x0
	v_sub_f32_e32 v5, v19, v4
	v_mov_b32_e32 v4, v11
	s_add_nc_u64 s[30:31], s[30:31], s[24:25]
	v_add_nc_u64_e32 v[26:27], s[26:27], v[26:27]
	v_cmp_lt_i64_e64 s20, s[30:31], s[4:5]
	v_mul_f32_e32 v5, v11, v5
	v_add_nc_u64_e32 v[28:29], s[26:27], v[28:29]
	v_add_nc_u64_e32 v[30:31], s[26:27], v[30:31]
	;; [unrolled: 1-line block ×4, first 2 shown]
	v_mul_f32_e32 v5, v5, v3
	v_add_nc_u64_e32 v[36:37], s[26:27], v[36:37]
	v_add_nc_u64_e32 v[38:39], s[26:27], v[38:39]
	;; [unrolled: 1-line block ×12, first 2 shown]
	v_pk_add_f32 v[20:21], v[60:61], v[4:5]
	s_and_b32 vcc_lo, exec_lo, s20
	s_add_nc_u64 s[28:29], s[28:29], s[24:25]
	s_cbranch_vccz .LBB63_49
.LBB63_5:                               ; =>This Inner Loop Header: Depth=1
	s_add_nc_u64 s[34:35], s[18:19], s[28:29]
	s_delay_alu instid0(VALU_DEP_2)
	v_add_nc_u64_e32 v[58:59], s[18:19], v[22:23]
	v_cmp_ge_i64_e64 s20, s[34:35], s[4:5]
                                        ; implicit-def: $vgpr4_vgpr5_vgpr6_vgpr7_vgpr8_vgpr9_vgpr10_vgpr11
                                        ; implicit-def: $vgpr60_vgpr61
                                        ; implicit-def: $vgpr3
                                        ; implicit-def: $vgpr12_vgpr13_vgpr14_vgpr15_vgpr16_vgpr17_vgpr18_vgpr19
                                        ; implicit-def: $vgpr4
	s_and_b32 vcc_lo, exec_lo, s20
	s_mov_b32 s20, -1
	s_cbranch_vccz .LBB63_27
; %bb.6:                                ;   in Loop: Header=BB63_5 Depth=1
	s_load_b32 s20, s[22:23], 0xc
	v_dual_mov_b32 v60, 0 :: v_dual_mov_b32 v61, 0
	s_wait_kmcnt 0x0
	s_and_b32 s20, s20, 0xffff
	s_delay_alu instid0(SALU_CYCLE_1) | instskip(SKIP_1) | instid1(VALU_DEP_1)
	v_mad_u32_u24 v3, v1, s20, v62
	s_mov_b32 s20, exec_lo
	v_and_b32_e32 v4, 31, v3
	s_delay_alu instid0(VALU_DEP_1)
	v_cmpx_gt_u32_e32 8, v4
	s_cbranch_execz .LBB63_10
; %bb.7:                                ;   in Loop: Header=BB63_5 Depth=1
	v_dual_mov_b32 v5, v2 :: v_dual_mov_b32 v60, 0
	v_mov_b32_e32 v61, 0
	s_mov_b32 s34, exec_lo
	s_delay_alu instid0(VALU_DEP_2) | instskip(NEXT) | instid1(VALU_DEP_1)
	v_add_nc_u64_e32 v[4:5], v[58:59], v[4:5]
	v_cmpx_gt_i64_e64 s[4:5], v[4:5]
	s_cbranch_execz .LBB63_9
; %bb.8:                                ;   in Loop: Header=BB63_5 Depth=1
	v_lshlrev_b64_e32 v[4:5], 2, v[4:5]
	s_delay_alu instid0(VALU_DEP_1)
	v_add_nc_u64_e32 v[6:7], s[12:13], v[4:5]
	v_add_nc_u64_e32 v[4:5], s[14:15], v[4:5]
	global_load_b32 v60, v[6:7], off
	global_load_b32 v61, v[4:5], off
.LBB63_9:                               ;   in Loop: Header=BB63_5 Depth=1
	s_wait_xcnt 0x0
	s_or_b32 exec_lo, exec_lo, s34
.LBB63_10:                              ;   in Loop: Header=BB63_5 Depth=1
	s_delay_alu instid0(SALU_CYCLE_1)
	s_or_b32 exec_lo, exec_lo, s20
	v_dual_mov_b32 v7, v2 :: v_dual_mov_b32 v8, v2
	v_dual_mov_b32 v9, v2 :: v_dual_mov_b32 v3, v2
	;; [unrolled: 1-line block ×3, first 2 shown]
	v_mov_b32_e32 v6, v2
	v_cmp_gt_i64_e32 vcc_lo, s[4:5], v[58:59]
	s_delay_alu instid0(VALU_DEP_4)
	v_mov_b64_e32 v[18:19], v[8:9]
	v_mov_b64_e32 v[12:13], v[2:3]
	;; [unrolled: 1-line block ×8, first 2 shown]
	s_and_b32 s34, s2, vcc_lo
	s_delay_alu instid0(SALU_CYCLE_1)
	s_and_saveexec_b32 s20, s34
	s_cbranch_execz .LBB63_12
; %bb.11:                               ;   in Loop: Header=BB63_5 Depth=1
	v_add_nc_u64_e32 v[6:7], v[26:27], v[24:25]
	v_add_nc_u64_e32 v[8:9], v[28:29], v[24:25]
	v_dual_mov_b32 v5, v2 :: v_dual_mov_b32 v11, v2
	v_dual_mov_b32 v13, v2 :: v_dual_mov_b32 v14, v2
	v_mov_b32_e32 v15, v2
	global_load_b32 v4, v[6:7], off
	global_load_b32 v12, v[8:9], off
	s_wait_xcnt 0x1
	v_dual_mov_b32 v6, v2 :: v_dual_mov_b32 v7, v2
	s_wait_xcnt 0x0
	v_dual_mov_b32 v8, v2 :: v_dual_mov_b32 v9, v2
	v_dual_mov_b32 v10, v2 :: v_dual_mov_b32 v16, v2
	;; [unrolled: 1-line block ×3, first 2 shown]
	v_mov_b32_e32 v19, v2
.LBB63_12:                              ;   in Loop: Header=BB63_5 Depth=1
	s_or_b32 exec_lo, exec_lo, s20
	v_add_nc_u64_e32 v[64:65], 1, v[58:59]
	s_delay_alu instid0(VALU_DEP_1) | instskip(SKIP_1) | instid1(SALU_CYCLE_1)
	v_cmp_gt_i64_e32 vcc_lo, s[4:5], v[64:65]
	s_and_b32 s34, s2, vcc_lo
	s_and_saveexec_b32 s20, s34
	s_cbranch_execz .LBB63_14
; %bb.13:                               ;   in Loop: Header=BB63_5 Depth=1
	v_add_nc_u64_e32 v[64:65], v[54:55], v[24:25]
	v_add_nc_u64_e32 v[66:67], v[56:57], v[24:25]
	global_load_b32 v5, v[64:65], off
	global_load_b32 v13, v[66:67], off
.LBB63_14:                              ;   in Loop: Header=BB63_5 Depth=1
	s_wait_xcnt 0x0
	s_or_b32 exec_lo, exec_lo, s20
	v_add_nc_u64_e32 v[64:65], 2, v[58:59]
	s_delay_alu instid0(VALU_DEP_1) | instskip(SKIP_1) | instid1(SALU_CYCLE_1)
	v_cmp_gt_i64_e32 vcc_lo, s[4:5], v[64:65]
	s_and_b32 s34, s2, vcc_lo
	s_and_saveexec_b32 s20, s34
	s_cbranch_execz .LBB63_16
; %bb.15:                               ;   in Loop: Header=BB63_5 Depth=1
	v_add_nc_u64_e32 v[64:65], v[50:51], v[24:25]
	v_add_nc_u64_e32 v[66:67], v[52:53], v[24:25]
	global_load_b32 v6, v[64:65], off
	global_load_b32 v14, v[66:67], off
.LBB63_16:                              ;   in Loop: Header=BB63_5 Depth=1
	s_wait_xcnt 0x0
	;; [unrolled: 14-line block ×7, first 2 shown]
	s_or_b32 exec_lo, exec_lo, s20
	s_wait_loadcnt 0x1
	ds_bpermute_b32 v3, v2, v60
	ds_bpermute_b32 v63, v2, v60 offset:4
	ds_bpermute_b32 v65, v2, v60 offset:8
	s_wait_loadcnt 0x0
	ds_bpermute_b32 v66, v2, v61
	ds_bpermute_b32 v67, v2, v60 offset:12
	ds_bpermute_b32 v68, v2, v61 offset:4
	;; [unrolled: 1-line block ×8, first 2 shown]
	s_mov_b32 s20, 0
	s_wait_dscnt 0xb
	v_dual_mov_b32 v64, v5 :: v_dual_sub_f32 v3, v12, v3
	s_wait_dscnt 0xa
	v_dual_mov_b32 v12, v4 :: v_dual_sub_f32 v13, v13, v63
	ds_bpermute_b32 v63, v2, v60 offset:24
	v_dual_mul_f32 v3, v4, v3 :: v_dual_mov_b32 v4, v6
	s_wait_dscnt 0xa
	v_sub_f32_e32 v65, v14, v65
	v_dual_mul_f32 v5, v5, v13 :: v_dual_mov_b32 v14, v7
	s_wait_dscnt 0x9
	v_mul_f32_e32 v13, v3, v66
	s_wait_dscnt 0x8
	v_dual_sub_f32 v3, v15, v67 :: v_dual_mul_f32 v6, v6, v65
	s_wait_dscnt 0x5
	v_dual_mul_f32 v65, v5, v68 :: v_dual_sub_f32 v15, v16, v71
	v_pk_add_f32 v[12:13], v[20:21], v[12:13]
	ds_bpermute_b32 v66, v2, v61 offset:24
	v_dual_mul_f32 v3, v7, v3 :: v_dual_mul_f32 v5, v6, v69
	v_pk_add_f32 v[6:7], v[64:65], v[12:13]
	s_wait_dscnt 0x4
	v_dual_mov_b32 v12, v8 :: v_dual_sub_f32 v13, v17, v74
	s_delay_alu instid0(VALU_DEP_3) | instskip(NEXT) | instid1(VALU_DEP_3)
	v_dual_mul_f32 v8, v8, v15 :: v_dual_mul_f32 v15, v3, v70
	v_pk_add_f32 v[4:5], v[4:5], v[6:7]
	ds_bpermute_b32 v3, v2, v61 offset:28
	s_wait_dscnt 0x2
	v_dual_sub_f32 v16, v18, v63 :: v_dual_mul_f32 v17, v9, v13
	v_dual_mul_f32 v13, v8, v72 :: v_dual_mov_b32 v8, v9
	v_pk_add_f32 v[6:7], v[14:15], v[4:5]
	ds_bpermute_b32 v4, v2, v60 offset:28
	v_dual_mul_f32 v5, v10, v16 :: v_dual_mul_f32 v9, v17, v73
	v_pk_add_f32 v[6:7], v[12:13], v[6:7]
	s_wait_dscnt 0x2
	s_delay_alu instid0(VALU_DEP_2) | instskip(NEXT) | instid1(VALU_DEP_2)
	v_dual_mov_b32 v12, v10 :: v_dual_mul_f32 v13, v5, v66
	v_pk_add_f32 v[6:7], v[8:9], v[6:7]
	s_delay_alu instid0(VALU_DEP_1)
	v_pk_add_f32 v[60:61], v[12:13], v[6:7]
.LBB63_27:                              ;   in Loop: Header=BB63_5 Depth=1
	s_and_b32 vcc_lo, exec_lo, s20
	s_cbranch_vccz .LBB63_4
; %bb.28:                               ;   in Loop: Header=BB63_5 Depth=1
	s_load_b32 s20, s[22:23], 0x0
	v_dual_mov_b32 v60, 0 :: v_dual_mov_b32 v61, 0
	s_wait_kmcnt 0x0
	s_cmp_lt_u32 s16, s20
	s_cselect_b32 s20, 12, 18
	s_delay_alu instid0(SALU_CYCLE_1)
	s_add_nc_u64 s[34:35], s[22:23], s[20:21]
	s_load_u16 s20, s[34:35], 0x0
	s_wait_dscnt 0x1
	s_wait_kmcnt 0x0
	v_mad_u32_u24 v3, v1, s20, v62
	s_mov_b32 s20, exec_lo
	s_wait_dscnt 0x0
	s_delay_alu instid0(VALU_DEP_1) | instskip(NEXT) | instid1(VALU_DEP_1)
	v_and_b32_e32 v4, 31, v3
	v_cmpx_gt_u32_e32 8, v4
	s_cbranch_execz .LBB63_32
; %bb.29:                               ;   in Loop: Header=BB63_5 Depth=1
	v_dual_mov_b32 v5, v2 :: v_dual_mov_b32 v60, 0
	v_mov_b32_e32 v61, 0
	s_mov_b32 s34, exec_lo
	s_delay_alu instid0(VALU_DEP_2) | instskip(NEXT) | instid1(VALU_DEP_1)
	v_add_nc_u64_e32 v[4:5], v[58:59], v[4:5]
	v_cmpx_gt_i64_e64 s[4:5], v[4:5]
	s_cbranch_execz .LBB63_31
; %bb.30:                               ;   in Loop: Header=BB63_5 Depth=1
	v_lshlrev_b64_e32 v[4:5], 2, v[4:5]
	s_delay_alu instid0(VALU_DEP_1)
	v_add_nc_u64_e32 v[6:7], s[12:13], v[4:5]
	v_add_nc_u64_e32 v[4:5], s[14:15], v[4:5]
	global_load_b32 v60, v[6:7], off
	global_load_b32 v61, v[4:5], off
.LBB63_31:                              ;   in Loop: Header=BB63_5 Depth=1
	s_wait_xcnt 0x0
	s_or_b32 exec_lo, exec_lo, s34
.LBB63_32:                              ;   in Loop: Header=BB63_5 Depth=1
	s_delay_alu instid0(SALU_CYCLE_1) | instskip(SKIP_4) | instid1(VALU_DEP_3)
	s_or_b32 exec_lo, exec_lo, s20
	v_dual_mov_b32 v7, v2 :: v_dual_mov_b32 v8, v2
	v_dual_mov_b32 v9, v2 :: v_dual_mov_b32 v3, v2
	;; [unrolled: 1-line block ×3, first 2 shown]
	v_mov_b32_e32 v6, v2
	v_mov_b64_e32 v[18:19], v[8:9]
	s_delay_alu instid0(VALU_DEP_4) | instskip(NEXT) | instid1(VALU_DEP_4)
	v_mov_b64_e32 v[12:13], v[2:3]
	v_mov_b64_e32 v[14:15], v[4:5]
	s_delay_alu instid0(VALU_DEP_4)
	v_mov_b64_e32 v[16:17], v[6:7]
	v_mov_b64_e32 v[10:11], v[8:9]
	;; [unrolled: 1-line block ×5, first 2 shown]
	s_and_saveexec_b32 s20, s2
	s_cbranch_execnz .LBB63_40
; %bb.33:                               ;   in Loop: Header=BB63_5 Depth=1
	s_or_b32 exec_lo, exec_lo, s20
	s_and_saveexec_b32 s20, s2
	s_cbranch_execnz .LBB63_41
.LBB63_34:                              ;   in Loop: Header=BB63_5 Depth=1
	s_or_b32 exec_lo, exec_lo, s20
	s_and_saveexec_b32 s20, s2
	s_cbranch_execnz .LBB63_42
.LBB63_35:                              ;   in Loop: Header=BB63_5 Depth=1
	s_or_b32 exec_lo, exec_lo, s20
	s_and_saveexec_b32 s20, s2
	s_cbranch_execnz .LBB63_43
.LBB63_36:                              ;   in Loop: Header=BB63_5 Depth=1
	s_or_b32 exec_lo, exec_lo, s20
	s_and_saveexec_b32 s20, s2
	s_cbranch_execnz .LBB63_44
.LBB63_37:                              ;   in Loop: Header=BB63_5 Depth=1
	s_or_b32 exec_lo, exec_lo, s20
	s_and_saveexec_b32 s20, s2
	s_cbranch_execnz .LBB63_45
.LBB63_38:                              ;   in Loop: Header=BB63_5 Depth=1
	s_or_b32 exec_lo, exec_lo, s20
	s_and_saveexec_b32 s20, s2
	s_cbranch_execnz .LBB63_46
.LBB63_39:                              ;   in Loop: Header=BB63_5 Depth=1
	s_or_b32 exec_lo, exec_lo, s20
	s_and_saveexec_b32 s20, s2
	s_cbranch_execz .LBB63_3
	s_branch .LBB63_47
.LBB63_40:                              ;   in Loop: Header=BB63_5 Depth=1
	v_add_nc_u64_e32 v[6:7], v[26:27], v[24:25]
	v_add_nc_u64_e32 v[8:9], v[28:29], v[24:25]
	v_dual_mov_b32 v5, v2 :: v_dual_mov_b32 v11, v2
	v_dual_mov_b32 v13, v2 :: v_dual_mov_b32 v14, v2
	v_mov_b32_e32 v15, v2
	global_load_b32 v4, v[6:7], off
	global_load_b32 v12, v[8:9], off
	s_wait_xcnt 0x1
	v_dual_mov_b32 v6, v2 :: v_dual_mov_b32 v7, v2
	s_wait_xcnt 0x0
	v_dual_mov_b32 v8, v2 :: v_dual_mov_b32 v9, v2
	v_dual_mov_b32 v10, v2 :: v_dual_mov_b32 v16, v2
	;; [unrolled: 1-line block ×3, first 2 shown]
	v_mov_b32_e32 v19, v2
	s_or_b32 exec_lo, exec_lo, s20
	s_and_saveexec_b32 s20, s2
	s_cbranch_execz .LBB63_34
.LBB63_41:                              ;   in Loop: Header=BB63_5 Depth=1
	v_add_nc_u64_e32 v[58:59], v[54:55], v[24:25]
	v_add_nc_u64_e32 v[64:65], v[56:57], v[24:25]
	global_load_b32 v5, v[58:59], off
	global_load_b32 v13, v[64:65], off
	s_wait_xcnt 0x0
	s_or_b32 exec_lo, exec_lo, s20
	s_and_saveexec_b32 s20, s2
	s_cbranch_execz .LBB63_35
.LBB63_42:                              ;   in Loop: Header=BB63_5 Depth=1
	v_add_nc_u64_e32 v[58:59], v[50:51], v[24:25]
	v_add_nc_u64_e32 v[64:65], v[52:53], v[24:25]
	global_load_b32 v6, v[58:59], off
	global_load_b32 v14, v[64:65], off
	s_wait_xcnt 0x0
	s_or_b32 exec_lo, exec_lo, s20
	s_and_saveexec_b32 s20, s2
	s_cbranch_execz .LBB63_36
.LBB63_43:                              ;   in Loop: Header=BB63_5 Depth=1
	v_add_nc_u64_e32 v[58:59], v[46:47], v[24:25]
	v_add_nc_u64_e32 v[64:65], v[48:49], v[24:25]
	global_load_b32 v7, v[58:59], off
	global_load_b32 v15, v[64:65], off
	s_wait_xcnt 0x0
	s_or_b32 exec_lo, exec_lo, s20
	s_and_saveexec_b32 s20, s2
	s_cbranch_execz .LBB63_37
.LBB63_44:                              ;   in Loop: Header=BB63_5 Depth=1
	v_add_nc_u64_e32 v[58:59], v[42:43], v[24:25]
	v_add_nc_u64_e32 v[64:65], v[44:45], v[24:25]
	global_load_b32 v8, v[58:59], off
	global_load_b32 v16, v[64:65], off
	s_wait_xcnt 0x0
	s_or_b32 exec_lo, exec_lo, s20
	s_and_saveexec_b32 s20, s2
	s_cbranch_execz .LBB63_38
.LBB63_45:                              ;   in Loop: Header=BB63_5 Depth=1
	v_add_nc_u64_e32 v[58:59], v[38:39], v[24:25]
	v_add_nc_u64_e32 v[64:65], v[40:41], v[24:25]
	global_load_b32 v9, v[58:59], off
	global_load_b32 v17, v[64:65], off
	s_wait_xcnt 0x0
	s_or_b32 exec_lo, exec_lo, s20
	s_and_saveexec_b32 s20, s2
	s_cbranch_execz .LBB63_39
.LBB63_46:                              ;   in Loop: Header=BB63_5 Depth=1
	v_add_nc_u64_e32 v[58:59], v[34:35], v[24:25]
	v_add_nc_u64_e32 v[64:65], v[36:37], v[24:25]
	global_load_b32 v10, v[58:59], off
	global_load_b32 v18, v[64:65], off
	s_wait_xcnt 0x0
	s_or_b32 exec_lo, exec_lo, s20
	s_and_saveexec_b32 s20, s2
	s_cbranch_execz .LBB63_3
.LBB63_47:                              ;   in Loop: Header=BB63_5 Depth=1
	v_add_nc_u64_e32 v[58:59], v[30:31], v[24:25]
	v_add_nc_u64_e32 v[64:65], v[32:33], v[24:25]
	global_load_b32 v11, v[58:59], off
	global_load_b32 v19, v[64:65], off
	s_branch .LBB63_3
.LBB63_48:
                                        ; implicit-def: $vgpr21
	s_branch .LBB63_50
.LBB63_49:
	s_cbranch_execnz .LBB63_81
.LBB63_50:
	v_mov_b32_e32 v21, 0
	s_and_not1_b32 vcc_lo, exec_lo, s17
	s_delay_alu instid0(VALU_DEP_1)
	v_mov_b32_e32 v20, v21
	s_cbranch_vccnz .LBB63_81
; %bb.51:
	v_bfe_u32 v1, v0, 10, 10
	v_mov_b32_e32 v2, 0
	v_and_b32_e32 v88, 0x3ff, v0
	s_load_b32 s2, s[0:1], 0x44
	s_add_nc_u64 s[20:21], s[0:1], 64
	s_delay_alu instid0(VALU_DEP_2) | instskip(SKIP_1) | instid1(VALU_DEP_2)
	v_dual_mov_b32 v5, v2 :: v_dual_lshlrev_b32 v4, 5, v1
	v_dual_mov_b32 v23, v2 :: v_dual_lshlrev_b32 v22, 3, v1
	v_lshl_add_u64 v[4:5], s[18:19], 2, v[4:5]
	s_delay_alu instid0(VALU_DEP_2) | instskip(NEXT) | instid1(VALU_DEP_2)
	v_add_nc_u64_e32 v[8:9], s[18:19], v[22:23]
	v_add_nc_u64_e32 v[6:7], 4, v[4:5]
	;; [unrolled: 1-line block ×6, first 2 shown]
	v_mul_u64_e32 v[20:21], s[6:7], v[8:9]
	v_add_nc_u64_e32 v[48:49], 4, v[8:9]
	v_mad_nc_u64_u32 v[24:25], s6, v6, s[8:9]
	v_mul_lo_u32 v3, s6, v7
	v_mul_lo_u32 v44, s7, v6
	v_mad_nc_u64_u32 v[34:35], s6, v6, s[10:11]
	v_add_nc_u64_e32 v[6:7], 7, v[8:9]
	v_mad_nc_u64_u32 v[26:27], s6, v10, s[8:9]
	v_mul_lo_u32 v50, s6, v11
	v_mul_lo_u32 v51, s7, v10
	v_mad_nc_u64_u32 v[28:29], s6, v12, s[8:9]
	v_mul_lo_u32 v52, s6, v13
	v_mul_lo_u32 v53, s7, v12
	v_mad_nc_u64_u32 v[36:37], s6, v10, s[10:11]
	v_mad_nc_u64_u32 v[40:41], s6, v12, s[10:11]
	v_add_nc_u64_e32 v[10:11], 6, v[8:9]
	v_mul_u64_e32 v[6:7], s[6:7], v[6:7]
	v_add_nc_u64_e32 v[12:13], 5, v[8:9]
	v_mad_nc_u64_u32 v[30:31], s6, v14, s[8:9]
	v_mul_lo_u32 v54, s6, v15
	v_mul_lo_u32 v55, s7, v14
	v_add3_u32 v25, v44, v25, v3
	v_add3_u32 v35, v44, v35, v3
	v_mul_u64_e32 v[10:11], s[6:7], v[10:11]
	v_mad_nc_u64_u32 v[44:45], s6, v14, s[10:11]
	v_add_nc_u64_e32 v[14:15], 3, v[8:9]
	v_add_nc_u64_e32 v[8:9], 2, v[8:9]
	v_mul_u64_e32 v[12:13], s[6:7], v[12:13]
	v_mad_nc_u64_u32 v[32:33], s6, v16, s[8:9]
	v_mul_lo_u32 v56, s6, v17
	v_mul_lo_u32 v57, s7, v16
	v_mad_nc_u64_u32 v[46:47], s6, v16, s[10:11]
	v_mul_u64_e32 v[16:17], s[6:7], v[48:49]
	v_mul_u64_e32 v[14:15], s[6:7], v[14:15]
	;; [unrolled: 1-line block ×3, first 2 shown]
	v_add_nc_u64_e32 v[18:19], 24, v[4:5]
	v_add_nc_u64_e32 v[4:5], 28, v[4:5]
	v_add3_u32 v27, v51, v27, v50
	v_add3_u32 v37, v51, v37, v50
	;; [unrolled: 1-line block ×5, first 2 shown]
	v_mad_nc_u64_u32 v[38:39], s6, v18, s[8:9]
	v_mul_lo_u32 v19, s6, v19
	v_mul_lo_u32 v58, s7, v18
	v_mad_nc_u64_u32 v[42:43], s6, v4, s[8:9]
	v_mad_nc_u64_u32 v[48:49], s6, v18, s[10:11]
	v_mul_lo_u32 v3, s6, v5
	v_mul_lo_u32 v18, s7, v4
	v_mad_nc_u64_u32 v[50:51], s6, v4, s[10:11]
	v_lshlrev_b64_e32 v[6:7], 2, v[6:7]
	v_dual_mov_b32 v5, v2 :: v_dual_add_nc_u32 v4, s3, v88
	s_mov_b32 s3, 0
	v_add3_u32 v33, v57, v33, v56
	v_add3_u32 v39, v58, v39, v19
	;; [unrolled: 1-line block ×4, first 2 shown]
	v_add_nc_u64_e32 v[58:59], s[8:9], v[6:7]
	v_add3_u32 v43, v18, v43, v3
	v_add3_u32 v51, v18, v51, v3
	v_lshlrev_b64_e32 v[18:19], 2, v[20:21]
	v_add_nc_u64_e32 v[60:61], s[10:11], v[6:7]
	v_lshlrev_b64_e32 v[6:7], 2, v[12:13]
	v_add_nc_u64_e32 v[12:13], s[6:7], v[20:21]
	v_mov_b32_e32 v20, 0
	v_lshlrev_b64_e32 v[52:53], 2, v[4:5]
	v_lshlrev_b64_e32 v[4:5], 2, v[10:11]
	;; [unrolled: 1-line block ×4, first 2 shown]
	v_add_nc_u64_e32 v[66:67], s[8:9], v[6:7]
	v_add_nc_u64_e32 v[68:69], s[10:11], v[6:7]
	v_lshlrev_b64_e32 v[6:7], 2, v[12:13]
	v_add3_u32 v47, v57, v47, v56
	v_add_nc_u64_e32 v[62:63], s[8:9], v[4:5]
	v_add_nc_u64_e32 v[64:65], s[10:11], v[4:5]
	v_lshlrev_b64_e32 v[4:5], 2, v[14:15]
	v_add_nc_u64_e32 v[54:55], s[8:9], v[18:19]
	v_add_nc_u64_e32 v[56:57], s[10:11], v[18:19]
	;; [unrolled: 1-line block ×10, first 2 shown]
	s_wait_kmcnt 0x0
	s_lshl_b32 s22, s2, 3
	s_mov_b32 s23, s3
	v_mov_b32_e32 v21, v2
	s_mul_u64 s[24:25], s[6:7], s[22:23]
	s_mov_b64 s[10:11], 7
	s_lshl_b64 s[8:9], s[24:25], 2
	s_mov_b64 s[24:25], s[18:19]
	s_branch .LBB63_55
.LBB63_52:                              ;   in Loop: Header=BB63_55 Depth=1
	s_wait_xcnt 0x0
	s_or_b32 exec_lo, exec_lo, s17
.LBB63_53:                              ;   in Loop: Header=BB63_55 Depth=1
	s_delay_alu instid0(SALU_CYCLE_1)
	s_or_b32 exec_lo, exec_lo, s2
	v_add_nc_u64_e32 v[4:5], v[56:57], v[52:53]
	v_add_nc_u64_e32 v[8:9], v[34:35], v[52:53]
	v_add_nc_u64_e32 v[10:11], v[54:55], v[52:53]
	v_add_nc_u64_e32 v[12:13], v[24:25], v[52:53]
	v_add_nc_u64_e32 v[14:15], v[40:41], v[52:53]
	v_add_nc_u64_e32 v[92:93], v[42:43], v[52:53]
	s_wait_loadcnt 0x0
	ds_bpermute_b32 v91, v2, v3
	global_load_b32 v7, v[4:5], off
	s_wait_xcnt 0x0
	v_add_nc_u64_e32 v[4:5], v[36:37], v[52:53]
	global_load_b32 v17, v[8:9], off
	global_load_b32 v16, v[10:11], off
	s_wait_xcnt 0x1
	v_add_nc_u64_e32 v[8:9], v[26:27], v[52:53]
	ds_bpermute_b32 v94, v2, v6 offset:16
	ds_bpermute_b32 v95, v2, v3 offset:8
	;; [unrolled: 1-line block ×3, first 2 shown]
	global_load_b32 v11, v[4:5], off
	global_load_b32 v10, v[12:13], off
	s_wait_xcnt 0x1
	v_add_nc_u64_e32 v[4:5], v[44:45], v[52:53]
	s_wait_xcnt 0x0
	v_add_nc_u64_e32 v[12:13], v[28:29], v[52:53]
	global_load_b32 v19, v[14:15], off
	global_load_b32 v18, v[8:9], off
	s_wait_xcnt 0x0
	v_add_nc_u64_e32 v[8:9], v[46:47], v[52:53]
	v_add_nc_u64_e32 v[14:15], v[30:31], v[52:53]
	global_load_b32 v87, v[4:5], off
	global_load_b32 v86, v[12:13], off
	s_wait_xcnt 0x1
	v_add_nc_u64_e32 v[4:5], v[48:49], v[52:53]
	s_wait_xcnt 0x0
	v_add_nc_u64_e32 v[12:13], v[32:33], v[52:53]
	global_load_b32 v89, v[8:9], off
	global_load_b32 v90, v[14:15], off
	s_wait_xcnt 0x1
	v_add_nc_u64_e32 v[8:9], v[38:39], v[52:53]
	global_load_b32 v15, v[4:5], off
	global_load_b32 v14, v[12:13], off
	s_wait_xcnt 0x0
	v_add_nc_u64_e32 v[12:13], v[50:51], v[52:53]
	ds_bpermute_b32 v97, v2, v3 offset:16
	global_load_b32 v8, v[8:9], off
	global_load_b32 v5, v[12:13], off
	;; [unrolled: 1-line block ×3, first 2 shown]
	s_wait_xcnt 0x2
	ds_bpermute_b32 v9, v2, v6
	s_wait_xcnt 0x1
	ds_bpermute_b32 v12, v2, v6 offset:4
	ds_bpermute_b32 v13, v2, v6 offset:8
	s_wait_xcnt 0x0
	ds_bpermute_b32 v92, v2, v6 offset:12
	ds_bpermute_b32 v93, v2, v3 offset:4
	;; [unrolled: 1-line block ×5, first 2 shown]
	s_wait_loadcnt_dscnt 0xe06
	v_dual_sub_f32 v7, v7, v9 :: v_dual_sub_f32 v12, v17, v12
	ds_bpermute_b32 v9, v2, v3 offset:12
	ds_bpermute_b32 v3, v2, v3 offset:28
	s_wait_loadcnt_dscnt 0xc07
	v_dual_mul_f32 v7, v16, v7 :: v_dual_sub_f32 v11, v11, v13
	s_wait_loadcnt 0xb
	s_delay_alu instid0(VALU_DEP_1) | instskip(SKIP_1) | instid1(VALU_DEP_2)
	v_dual_mul_f32 v12, v10, v12 :: v_dual_mul_f32 v17, v7, v91
	s_wait_loadcnt_dscnt 0x906
	v_dual_sub_f32 v7, v19, v92 :: v_dual_mul_f32 v19, v18, v11
	s_wait_dscnt 0x5
	s_delay_alu instid0(VALU_DEP_2)
	v_mul_f32_e32 v11, v12, v93
	v_pk_add_f32 v[12:13], v[20:21], v[16:17]
	ds_bpermute_b32 v16, v2, v6 offset:28
	s_wait_loadcnt 0x7
	v_dual_sub_f32 v17, v87, v94 :: v_dual_mul_f32 v20, v86, v7
	v_mul_f32_e32 v19, v19, v95
	v_pk_add_f32 v[6:7], v[12:13], v[10:11]
	s_wait_loadcnt 0x5
	s_delay_alu instid0(VALU_DEP_3)
	v_dual_sub_f32 v10, v89, v96 :: v_dual_mul_f32 v11, v90, v17
	s_wait_loadcnt_dscnt 0x402
	v_dual_mul_f32 v87, v20, v9 :: v_dual_sub_f32 v9, v15, v99
	v_pk_add_f32 v[6:7], v[6:7], v[18:19]
	s_wait_loadcnt 0x3
	v_dual_mul_f32 v10, v14, v10 :: v_dual_mul_f32 v91, v11, v97
	s_wait_loadcnt 0x2
	v_mul_f32_e32 v9, v8, v9
	v_pk_add_f32 v[6:7], v[6:7], v[86:87]
	s_delay_alu instid0(VALU_DEP_3) | instskip(NEXT) | instid1(VALU_DEP_2)
	v_mul_f32_e32 v15, v10, v98
	v_pk_add_f32 v[6:7], v[6:7], v[90:91]
	s_wait_loadcnt_dscnt 0x100
	v_sub_f32_e32 v5, v5, v16
	v_mul_f32_e32 v9, v9, v100
	s_delay_alu instid0(VALU_DEP_3) | instskip(SKIP_1) | instid1(VALU_DEP_3)
	v_pk_add_f32 v[6:7], v[6:7], v[14:15]
	s_wait_loadcnt 0x0
	v_mul_f32_e32 v5, v4, v5
	s_delay_alu instid0(VALU_DEP_2) | instskip(NEXT) | instid1(VALU_DEP_2)
	v_pk_add_f32 v[6:7], v[6:7], v[8:9]
	v_mul_f32_e32 v5, v5, v3
.LBB63_54:                              ;   in Loop: Header=BB63_55 Depth=1
	s_add_nc_u64 s[24:25], s[24:25], s[22:23]
	v_add_nc_u64_e32 v[54:55], s[8:9], v[54:55]
	v_cmp_ge_i64_e64 s2, s[24:25], s[4:5]
	v_add_nc_u64_e32 v[56:57], s[8:9], v[56:57]
	v_add_nc_u64_e32 v[22:23], s[22:23], v[22:23]
	;; [unrolled: 1-line block ×30, first 2 shown]
	v_pk_add_f32 v[20:21], v[6:7], v[4:5]
	s_and_b32 vcc_lo, exec_lo, s2
	s_add_nc_u64 s[10:11], s[10:11], s[22:23]
	s_cbranch_vccnz .LBB63_81
.LBB63_55:                              ; =>This Inner Loop Header: Depth=1
	s_add_nc_u64 s[26:27], s[18:19], s[10:11]
	v_add_nc_u64_e32 v[86:87], s[18:19], v[22:23]
	v_cmp_ge_i64_e64 s2, s[26:27], s[4:5]
                                        ; implicit-def: $vgpr6_vgpr7
                                        ; implicit-def: $vgpr4_vgpr5
	s_and_b32 vcc_lo, exec_lo, s2
	s_mov_b32 s2, -1
	s_cbranch_vccz .LBB63_77
; %bb.56:                               ;   in Loop: Header=BB63_55 Depth=1
	s_load_b32 s2, s[20:21], 0xc
	v_dual_mov_b32 v90, 0 :: v_dual_mov_b32 v89, 0
	s_wait_kmcnt 0x0
	s_and_b32 s2, s2, 0xffff
	s_delay_alu instid0(SALU_CYCLE_1) | instskip(SKIP_1) | instid1(VALU_DEP_1)
	v_mad_u32_u24 v3, v1, s2, v88
	s_mov_b32 s2, exec_lo
	v_and_b32_e32 v4, 31, v3
	s_delay_alu instid0(VALU_DEP_1)
	v_cmpx_gt_u32_e32 8, v4
	s_cbranch_execz .LBB63_60
; %bb.57:                               ;   in Loop: Header=BB63_55 Depth=1
	v_dual_mov_b32 v5, v2 :: v_dual_mov_b32 v90, 0
	v_mov_b32_e32 v89, 0
	s_mov_b32 s17, exec_lo
	s_delay_alu instid0(VALU_DEP_2) | instskip(NEXT) | instid1(VALU_DEP_1)
	v_add_nc_u64_e32 v[4:5], v[86:87], v[4:5]
	v_cmpx_gt_i64_e64 s[4:5], v[4:5]
	s_cbranch_execz .LBB63_59
; %bb.58:                               ;   in Loop: Header=BB63_55 Depth=1
	v_lshlrev_b64_e32 v[4:5], 2, v[4:5]
	s_delay_alu instid0(VALU_DEP_1)
	v_add_nc_u64_e32 v[6:7], s[12:13], v[4:5]
	v_add_nc_u64_e32 v[4:5], s[14:15], v[4:5]
	global_load_b32 v90, v[6:7], off
	global_load_b32 v89, v[4:5], off
.LBB63_59:                              ;   in Loop: Header=BB63_55 Depth=1
	s_wait_xcnt 0x0
	s_or_b32 exec_lo, exec_lo, s17
.LBB63_60:                              ;   in Loop: Header=BB63_55 Depth=1
	s_delay_alu instid0(SALU_CYCLE_1) | instskip(SKIP_4) | instid1(VALU_DEP_3)
	s_or_b32 exec_lo, exec_lo, s2
	v_dual_mov_b32 v7, v2 :: v_dual_mov_b32 v8, v2
	v_dual_mov_b32 v9, v2 :: v_dual_mov_b32 v3, v2
	;; [unrolled: 1-line block ×3, first 2 shown]
	v_mov_b32_e32 v6, v2
	v_mov_b64_e32 v[18:19], v[8:9]
	s_delay_alu instid0(VALU_DEP_4)
	v_mov_b64_e32 v[12:13], v[2:3]
	s_mov_b32 s2, exec_lo
	v_mov_b64_e32 v[14:15], v[4:5]
	v_mov_b64_e32 v[16:17], v[6:7]
	;; [unrolled: 1-line block ×6, first 2 shown]
	v_cmpx_gt_i64_e64 s[4:5], v[86:87]
	s_cbranch_execz .LBB63_62
; %bb.61:                               ;   in Loop: Header=BB63_55 Depth=1
	v_add_nc_u64_e32 v[6:7], v[54:55], v[52:53]
	v_add_nc_u64_e32 v[8:9], v[56:57], v[52:53]
	v_dual_mov_b32 v5, v2 :: v_dual_mov_b32 v11, v2
	v_dual_mov_b32 v13, v2 :: v_dual_mov_b32 v14, v2
	v_mov_b32_e32 v15, v2
	global_load_b32 v4, v[6:7], off
	global_load_b32 v12, v[8:9], off
	s_wait_xcnt 0x1
	v_dual_mov_b32 v6, v2 :: v_dual_mov_b32 v7, v2
	s_wait_xcnt 0x0
	v_dual_mov_b32 v8, v2 :: v_dual_mov_b32 v9, v2
	v_dual_mov_b32 v10, v2 :: v_dual_mov_b32 v16, v2
	;; [unrolled: 1-line block ×3, first 2 shown]
	v_mov_b32_e32 v19, v2
.LBB63_62:                              ;   in Loop: Header=BB63_55 Depth=1
	s_or_b32 exec_lo, exec_lo, s2
	v_add_nc_u64_e32 v[92:93], 1, v[86:87]
	s_mov_b32 s2, exec_lo
	s_delay_alu instid0(VALU_DEP_1)
	v_cmpx_gt_i64_e64 s[4:5], v[92:93]
	s_cbranch_execz .LBB63_64
; %bb.63:                               ;   in Loop: Header=BB63_55 Depth=1
	v_add_nc_u64_e32 v[92:93], v[82:83], v[52:53]
	v_add_nc_u64_e32 v[94:95], v[84:85], v[52:53]
	global_load_b32 v5, v[92:93], off
	global_load_b32 v13, v[94:95], off
.LBB63_64:                              ;   in Loop: Header=BB63_55 Depth=1
	s_wait_xcnt 0x0
	s_or_b32 exec_lo, exec_lo, s2
	v_add_nc_u64_e32 v[92:93], 2, v[86:87]
	s_mov_b32 s2, exec_lo
	s_delay_alu instid0(VALU_DEP_1)
	v_cmpx_gt_i64_e64 s[4:5], v[92:93]
	s_cbranch_execz .LBB63_66
; %bb.65:                               ;   in Loop: Header=BB63_55 Depth=1
	v_add_nc_u64_e32 v[92:93], v[78:79], v[52:53]
	v_add_nc_u64_e32 v[94:95], v[80:81], v[52:53]
	global_load_b32 v6, v[92:93], off
	global_load_b32 v14, v[94:95], off
.LBB63_66:                              ;   in Loop: Header=BB63_55 Depth=1
	s_wait_xcnt 0x0
	;; [unrolled: 13-line block ×7, first 2 shown]
	s_or_b32 exec_lo, exec_lo, s2
	s_wait_loadcnt 0x1
	ds_bpermute_b32 v3, v2, v90
	ds_bpermute_b32 v91, v2, v90 offset:4
	ds_bpermute_b32 v93, v2, v90 offset:8
	s_wait_loadcnt 0x0
	ds_bpermute_b32 v95, v2, v89
	ds_bpermute_b32 v96, v2, v90 offset:12
	ds_bpermute_b32 v97, v2, v89 offset:4
	ds_bpermute_b32 v98, v2, v89 offset:8
	ds_bpermute_b32 v101, v2, v90 offset:16
	ds_bpermute_b32 v99, v2, v89 offset:12
	ds_bpermute_b32 v103, v2, v90 offset:20
	ds_bpermute_b32 v100, v2, v89 offset:16
	ds_bpermute_b32 v102, v2, v89 offset:20
	s_mov_b32 s2, 0
	v_dual_mov_b32 v92, v5 :: v_dual_mov_b32 v94, v6
	s_wait_dscnt 0xb
	v_sub_f32_e32 v3, v12, v3
	s_wait_dscnt 0xa
	v_dual_sub_f32 v13, v13, v91 :: v_dual_mov_b32 v12, v4
	ds_bpermute_b32 v91, v2, v90 offset:24
	s_wait_dscnt 0xa
	v_dual_sub_f32 v14, v14, v93 :: v_dual_mul_f32 v3, v4, v3
	v_dual_mov_b32 v4, v7 :: v_dual_mul_f32 v5, v5, v13
	s_wait_dscnt 0x8
	s_delay_alu instid0(VALU_DEP_2) | instskip(NEXT) | instid1(VALU_DEP_3)
	v_dual_sub_f32 v15, v15, v96 :: v_dual_mul_f32 v6, v6, v14
	v_mul_f32_e32 v13, v3, v95
	ds_bpermute_b32 v3, v2, v90 offset:28
	s_wait_dscnt 0x8
	v_dual_mul_f32 v93, v5, v97 :: v_dual_mul_f32 v15, v7, v15
	ds_bpermute_b32 v14, v2, v89 offset:24
	v_pk_add_f32 v[12:13], v[20:21], v[12:13]
	s_wait_dscnt 0x7
	v_dual_sub_f32 v5, v16, v101 :: v_dual_mul_f32 v95, v6, v98
	ds_bpermute_b32 v16, v2, v89 offset:28
	v_pk_add_f32 v[6:7], v[92:93], v[12:13]
	s_wait_dscnt 0x6
	v_dual_sub_f32 v13, v17, v103 :: v_dual_mul_f32 v17, v8, v5
	v_dual_mul_f32 v5, v15, v99 :: v_dual_mov_b32 v12, v8
	s_delay_alu instid0(VALU_DEP_3) | instskip(SKIP_1) | instid1(VALU_DEP_3)
	v_pk_add_f32 v[6:7], v[94:95], v[6:7]
	s_wait_dscnt 0x3
	v_dual_sub_f32 v8, v18, v91 :: v_dual_mul_f32 v15, v9, v13
	v_mul_f32_e32 v13, v17, v100
	s_delay_alu instid0(VALU_DEP_3) | instskip(NEXT) | instid1(VALU_DEP_3)
	v_pk_add_f32 v[4:5], v[4:5], v[6:7]
	v_dual_mov_b32 v6, v9 :: v_dual_mul_f32 v9, v10, v8
	s_wait_dscnt 0x2
	v_sub_f32_e32 v3, v19, v3
	v_dual_mul_f32 v7, v15, v102 :: v_dual_mov_b32 v8, v10
	v_pk_add_f32 v[4:5], v[12:13], v[4:5]
	s_wait_dscnt 0x1
	s_delay_alu instid0(VALU_DEP_3) | instskip(NEXT) | instid1(VALU_DEP_2)
	v_dual_mul_f32 v9, v9, v14 :: v_dual_mul_f32 v3, v11, v3
	v_pk_add_f32 v[6:7], v[6:7], v[4:5]
	v_mov_b32_e32 v4, v11
	s_wait_dscnt 0x0
	s_delay_alu instid0(VALU_DEP_3) | instskip(NEXT) | instid1(VALU_DEP_3)
	v_mul_f32_e32 v5, v3, v16
	v_pk_add_f32 v[6:7], v[8:9], v[6:7]
.LBB63_77:                              ;   in Loop: Header=BB63_55 Depth=1
	s_and_b32 vcc_lo, exec_lo, s2
	s_cbranch_vccz .LBB63_54
; %bb.78:                               ;   in Loop: Header=BB63_55 Depth=1
	s_load_b32 s2, s[20:21], 0x0
	v_mov_b32_e32 v6, 0
	s_wait_kmcnt 0x0
	s_cmp_lt_u32 s16, s2
	s_cselect_b32 s2, 12, 18
	s_delay_alu instid0(SALU_CYCLE_1) | instskip(SKIP_4) | instid1(VALU_DEP_1)
	s_add_nc_u64 s[26:27], s[20:21], s[2:3]
	s_load_u16 s2, s[26:27], 0x0
	s_wait_kmcnt 0x0
	v_mad_u32_u24 v3, v1, s2, v88
	s_mov_b32 s2, exec_lo
	v_dual_mov_b32 v3, 0 :: v_dual_bitop2_b32 v4, 31, v3 bitop3:0x40
	s_delay_alu instid0(VALU_DEP_1)
	v_cmpx_gt_u32_e32 8, v4
	s_cbranch_execz .LBB63_53
; %bb.79:                               ;   in Loop: Header=BB63_55 Depth=1
	v_dual_mov_b32 v5, v2 :: v_dual_mov_b32 v6, 0
	v_mov_b32_e32 v3, 0
	s_mov_b32 s17, exec_lo
	s_delay_alu instid0(VALU_DEP_2) | instskip(NEXT) | instid1(VALU_DEP_1)
	v_add_nc_u64_e32 v[4:5], v[86:87], v[4:5]
	v_cmpx_gt_i64_e64 s[4:5], v[4:5]
	s_cbranch_execz .LBB63_52
; %bb.80:                               ;   in Loop: Header=BB63_55 Depth=1
	v_lshlrev_b64_e32 v[4:5], 2, v[4:5]
	s_delay_alu instid0(VALU_DEP_1)
	v_add_nc_u64_e32 v[8:9], s[12:13], v[4:5]
	v_add_nc_u64_e32 v[4:5], s[14:15], v[4:5]
	global_load_b32 v6, v[8:9], off
	global_load_b32 v3, v[4:5], off
	s_branch .LBB63_52
.LBB63_81:
	s_mov_b32 s17, 0
	s_delay_alu instid0(SALU_CYCLE_1) | instskip(NEXT) | instid1(SALU_CYCLE_1)
	s_lshl_b64 s[2:3], s[16:17], 5
	v_and_or_b32 v2, 0x3ff, v0, s2
	v_mov_b32_e32 v3, s3
	s_mov_b32 s2, exec_lo
	s_delay_alu instid0(VALU_DEP_1)
	v_cmpx_gt_i64_e64 s[6:7], v[2:3]
	s_cbranch_execz .LBB63_86
; %bb.82:
	s_load_u16 s2, s[0:1], 0x4e
	v_bfe_u32 v0, v0, 10, 10
	v_mov_b32_e32 v1, 0
	s_wait_kmcnt 0x0
	s_delay_alu instid0(VALU_DEP_1) | instskip(SKIP_1) | instid1(VALU_DEP_1)
	v_mad_nc_u64_u32 v[0:1], s2, s33, v[0:1]
	s_load_b128 s[0:3], s[0:1], 0x30
	v_mul_u64_e32 v[0:1], s[6:7], v[0:1]
	s_wait_kmcnt 0x0
	s_cmp_eq_u64 s[0:1], 0
	s_cbranch_scc1 .LBB63_84
; %bb.83:
	s_delay_alu instid0(VALU_DEP_1) | instskip(NEXT) | instid1(VALU_DEP_1)
	v_lshl_add_u64 v[4:5], v[0:1], 2, s[0:1]
	v_lshl_add_u64 v[4:5], v[2:3], 2, v[4:5]
	global_store_b32 v[4:5], v21, off
.LBB63_84:
	s_cmp_eq_u64 s[2:3], 0
	s_cbranch_scc1 .LBB63_86
; %bb.85:
	s_delay_alu instid0(VALU_DEP_1) | instskip(NEXT) | instid1(VALU_DEP_1)
	v_lshl_add_u64 v[0:1], v[0:1], 2, s[2:3]
	v_lshl_add_u64 v[0:1], v[2:3], 2, v[0:1]
	global_store_b32 v[0:1], v20, off
.LBB63_86:
	s_sendmsg sendmsg(MSG_DEALLOC_VGPRS)
	s_endpgm
	.section	.rodata,"a",@progbits
	.p2align	6, 0x0
	.amdhsa_kernel _ZN2at6native12_GLOBAL__N_135GammaBetaBackwardCUDAKernelTemplateIffLj32ELj1ELj8ELb1ELb0ELb0EEEvllPKT_S5_PKT0_S8_PS3_S9_
		.amdhsa_group_segment_fixed_size 0
		.amdhsa_private_segment_fixed_size 0
		.amdhsa_kernarg_size 320
		.amdhsa_user_sgpr_count 2
		.amdhsa_user_sgpr_dispatch_ptr 0
		.amdhsa_user_sgpr_queue_ptr 0
		.amdhsa_user_sgpr_kernarg_segment_ptr 1
		.amdhsa_user_sgpr_dispatch_id 0
		.amdhsa_user_sgpr_kernarg_preload_length 0
		.amdhsa_user_sgpr_kernarg_preload_offset 0
		.amdhsa_user_sgpr_private_segment_size 0
		.amdhsa_wavefront_size32 1
		.amdhsa_uses_dynamic_stack 0
		.amdhsa_enable_private_segment 0
		.amdhsa_system_sgpr_workgroup_id_x 1
		.amdhsa_system_sgpr_workgroup_id_y 1
		.amdhsa_system_sgpr_workgroup_id_z 0
		.amdhsa_system_sgpr_workgroup_info 0
		.amdhsa_system_vgpr_workitem_id 1
		.amdhsa_next_free_vgpr 104
		.amdhsa_next_free_sgpr 36
		.amdhsa_named_barrier_count 0
		.amdhsa_reserve_vcc 1
		.amdhsa_float_round_mode_32 0
		.amdhsa_float_round_mode_16_64 0
		.amdhsa_float_denorm_mode_32 3
		.amdhsa_float_denorm_mode_16_64 3
		.amdhsa_fp16_overflow 0
		.amdhsa_memory_ordered 1
		.amdhsa_forward_progress 1
		.amdhsa_inst_pref_size 48
		.amdhsa_round_robin_scheduling 0
		.amdhsa_exception_fp_ieee_invalid_op 0
		.amdhsa_exception_fp_denorm_src 0
		.amdhsa_exception_fp_ieee_div_zero 0
		.amdhsa_exception_fp_ieee_overflow 0
		.amdhsa_exception_fp_ieee_underflow 0
		.amdhsa_exception_fp_ieee_inexact 0
		.amdhsa_exception_int_div_zero 0
	.end_amdhsa_kernel
	.section	.text._ZN2at6native12_GLOBAL__N_135GammaBetaBackwardCUDAKernelTemplateIffLj32ELj1ELj8ELb1ELb0ELb0EEEvllPKT_S5_PKT0_S8_PS3_S9_,"axG",@progbits,_ZN2at6native12_GLOBAL__N_135GammaBetaBackwardCUDAKernelTemplateIffLj32ELj1ELj8ELb1ELb0ELb0EEEvllPKT_S5_PKT0_S8_PS3_S9_,comdat
.Lfunc_end63:
	.size	_ZN2at6native12_GLOBAL__N_135GammaBetaBackwardCUDAKernelTemplateIffLj32ELj1ELj8ELb1ELb0ELb0EEEvllPKT_S5_PKT0_S8_PS3_S9_, .Lfunc_end63-_ZN2at6native12_GLOBAL__N_135GammaBetaBackwardCUDAKernelTemplateIffLj32ELj1ELj8ELb1ELb0ELb0EEEvllPKT_S5_PKT0_S8_PS3_S9_
                                        ; -- End function
	.set _ZN2at6native12_GLOBAL__N_135GammaBetaBackwardCUDAKernelTemplateIffLj32ELj1ELj8ELb1ELb0ELb0EEEvllPKT_S5_PKT0_S8_PS3_S9_.num_vgpr, 104
	.set _ZN2at6native12_GLOBAL__N_135GammaBetaBackwardCUDAKernelTemplateIffLj32ELj1ELj8ELb1ELb0ELb0EEEvllPKT_S5_PKT0_S8_PS3_S9_.num_agpr, 0
	.set _ZN2at6native12_GLOBAL__N_135GammaBetaBackwardCUDAKernelTemplateIffLj32ELj1ELj8ELb1ELb0ELb0EEEvllPKT_S5_PKT0_S8_PS3_S9_.numbered_sgpr, 36
	.set _ZN2at6native12_GLOBAL__N_135GammaBetaBackwardCUDAKernelTemplateIffLj32ELj1ELj8ELb1ELb0ELb0EEEvllPKT_S5_PKT0_S8_PS3_S9_.num_named_barrier, 0
	.set _ZN2at6native12_GLOBAL__N_135GammaBetaBackwardCUDAKernelTemplateIffLj32ELj1ELj8ELb1ELb0ELb0EEEvllPKT_S5_PKT0_S8_PS3_S9_.private_seg_size, 0
	.set _ZN2at6native12_GLOBAL__N_135GammaBetaBackwardCUDAKernelTemplateIffLj32ELj1ELj8ELb1ELb0ELb0EEEvllPKT_S5_PKT0_S8_PS3_S9_.uses_vcc, 1
	.set _ZN2at6native12_GLOBAL__N_135GammaBetaBackwardCUDAKernelTemplateIffLj32ELj1ELj8ELb1ELb0ELb0EEEvllPKT_S5_PKT0_S8_PS3_S9_.uses_flat_scratch, 0
	.set _ZN2at6native12_GLOBAL__N_135GammaBetaBackwardCUDAKernelTemplateIffLj32ELj1ELj8ELb1ELb0ELb0EEEvllPKT_S5_PKT0_S8_PS3_S9_.has_dyn_sized_stack, 0
	.set _ZN2at6native12_GLOBAL__N_135GammaBetaBackwardCUDAKernelTemplateIffLj32ELj1ELj8ELb1ELb0ELb0EEEvllPKT_S5_PKT0_S8_PS3_S9_.has_recursion, 0
	.set _ZN2at6native12_GLOBAL__N_135GammaBetaBackwardCUDAKernelTemplateIffLj32ELj1ELj8ELb1ELb0ELb0EEEvllPKT_S5_PKT0_S8_PS3_S9_.has_indirect_call, 0
	.section	.AMDGPU.csdata,"",@progbits
; Kernel info:
; codeLenInByte = 6028
; TotalNumSgprs: 38
; NumVgprs: 104
; ScratchSize: 0
; MemoryBound: 0
; FloatMode: 240
; IeeeMode: 1
; LDSByteSize: 0 bytes/workgroup (compile time only)
; SGPRBlocks: 0
; VGPRBlocks: 6
; NumSGPRsForWavesPerEU: 38
; NumVGPRsForWavesPerEU: 104
; NamedBarCnt: 0
; Occupancy: 9
; WaveLimiterHint : 0
; COMPUTE_PGM_RSRC2:SCRATCH_EN: 0
; COMPUTE_PGM_RSRC2:USER_SGPR: 2
; COMPUTE_PGM_RSRC2:TRAP_HANDLER: 0
; COMPUTE_PGM_RSRC2:TGID_X_EN: 1
; COMPUTE_PGM_RSRC2:TGID_Y_EN: 1
; COMPUTE_PGM_RSRC2:TGID_Z_EN: 0
; COMPUTE_PGM_RSRC2:TIDIG_COMP_CNT: 1
	.section	.text._ZN2at6native12_GLOBAL__N_135GammaBetaBackwardCUDAKernelTemplateIffLj32ELj8ELj64ELb0ELb1ELb0EEEvllPKT_S5_PKT0_S8_PS3_S9_,"axG",@progbits,_ZN2at6native12_GLOBAL__N_135GammaBetaBackwardCUDAKernelTemplateIffLj32ELj8ELj64ELb0ELb1ELb0EEEvllPKT_S5_PKT0_S8_PS3_S9_,comdat
	.globl	_ZN2at6native12_GLOBAL__N_135GammaBetaBackwardCUDAKernelTemplateIffLj32ELj8ELj64ELb0ELb1ELb0EEEvllPKT_S5_PKT0_S8_PS3_S9_ ; -- Begin function _ZN2at6native12_GLOBAL__N_135GammaBetaBackwardCUDAKernelTemplateIffLj32ELj8ELj64ELb0ELb1ELb0EEEvllPKT_S5_PKT0_S8_PS3_S9_
	.p2align	8
	.type	_ZN2at6native12_GLOBAL__N_135GammaBetaBackwardCUDAKernelTemplateIffLj32ELj8ELj64ELb0ELb1ELb0EEEvllPKT_S5_PKT0_S8_PS3_S9_,@function
_ZN2at6native12_GLOBAL__N_135GammaBetaBackwardCUDAKernelTemplateIffLj32ELj8ELj64ELb0ELb1ELb0EEEvllPKT_S5_PKT0_S8_PS3_S9_: ; @_ZN2at6native12_GLOBAL__N_135GammaBetaBackwardCUDAKernelTemplateIffLj32ELj8ELj64ELb0ELb1ELb0EEEvllPKT_S5_PKT0_S8_PS3_S9_
; %bb.0:
	s_load_b128 s[12:15], s[0:1], 0x0
	s_bfe_u32 s2, ttmp6, 0x40010
	s_bfe_u32 s4, ttmp6, 0x40004
	s_add_co_i32 s2, s2, 1
	s_getreg_b32 s3, hwreg(HW_REG_IB_STS2, 6, 4)
	s_mul_i32 s2, ttmp7, s2
	s_mov_b32 s17, 0
	s_add_co_i32 s4, s4, s2
	s_cmp_eq_u32 s3, 0
	v_bfe_u32 v11, v0, 10, 10
	s_cselect_b32 s2, ttmp7, s4
	s_delay_alu instid0(SALU_CYCLE_1)
	s_lshl_b32 s16, s2, 6
	s_wait_kmcnt 0x0
	v_cmp_gt_i64_e64 s2, s[12:13], s[16:17]
	s_and_b32 vcc_lo, exec_lo, s2
	s_cbranch_vccnz .LBB64_2
; %bb.1:
	v_bfe_u32 v1, v0, 10, 10
	s_mov_b32 s2, s17
	s_branch .LBB64_3
.LBB64_2:
	s_mov_b32 s2, -1
                                        ; implicit-def: $vgpr1
.LBB64_3:
	v_mov_b32_e32 v9, 0
	v_and_b32_e32 v10, 0x3ff, v0
	s_and_not1_b32 vcc_lo, exec_lo, s2
	s_delay_alu instid0(VALU_DEP_2)
	v_mov_b32_e32 v8, v9
	s_cbranch_vccnz .LBB64_11
; %bb.4:
	v_dual_mov_b32 v1, 0 :: v_dual_lshlrev_b32 v0, 3, v11
	s_load_b32 s2, s[0:1], 0x4c
	s_bfe_u32 s21, ttmp6, 0x4000c
	s_clause 0x1
	s_load_b32 s18, s[0:1], 0x44
	s_load_b256 s[4:11], s[0:1], 0x10
	s_add_co_i32 s21, s21, 1
	v_add_nc_u64_e32 v[2:3], s[16:17], v[0:1]
	s_and_b32 s20, ttmp6, 15
	s_mul_i32 s21, ttmp9, s21
	v_dual_mov_b32 v13, 12 :: v_dual_mov_b32 v5, v1
	s_add_co_i32 s20, s20, s21
	s_mov_b32 s19, 0
	s_delay_alu instid0(VALU_DEP_2)
	v_mul_u64_e32 v[6:7], s[14:15], v[2:3]
	v_dual_mov_b32 v0, 8 :: v_dual_mov_b32 v12, 4
	v_dual_mov_b32 v14, 16 :: v_dual_mov_b32 v15, 20
	;; [unrolled: 1-line block ×3, first 2 shown]
	s_wait_kmcnt 0x0
	s_and_b32 s2, s2, 0xffff
	s_cmp_eq_u32 s3, 0
	v_mad_u32_u24 v4, v11, s2, v10
	v_mov_b32_e32 v9, v1
	s_cselect_b32 s2, ttmp9, s20
	s_lshl_b32 s18, s18, 6
	v_lshl_add_u32 v8, s2, 5, v10
	v_and_b32_e32 v4, 31, v4
	s_mul_u64 s[22:23], s[14:15], s[18:19]
	s_lshl_b64 s[20:21], s[18:19], 2
	s_lshl_b64 s[22:23], s[22:23], 2
	v_lshlrev_b64_e32 v[18:19], 2, v[8:9]
	v_add_nc_u64_e32 v[2:3], v[2:3], v[4:5]
	v_cmp_gt_u32_e64 s2, 8, v4
	v_mov_b32_e32 v8, 0
	s_lshl_b64 s[14:15], s[14:15], 2
	v_lshlrev_b64_e32 v[4:5], 2, v[2:3]
	v_lshl_add_u64 v[6:7], v[6:7], 2, v[18:19]
	s_branch .LBB64_7
.LBB64_5:                               ;   in Loop: Header=BB64_7 Depth=1
	s_wait_xcnt 0x0
	s_or_b32 exec_lo, exec_lo, s25
.LBB64_6:                               ;   in Loop: Header=BB64_7 Depth=1
	s_delay_alu instid0(SALU_CYCLE_1)
	s_or_b32 exec_lo, exec_lo, s24
	v_add_nc_u64_e32 v[20:21], s[6:7], v[6:7]
	v_add_nc_u64_e32 v[22:23], s[4:5], v[6:7]
	s_wait_loadcnt 0x0
	ds_bpermute_b32 v42, v0, v18
	ds_bpermute_b32 v43, v14, v19
	;; [unrolled: 1-line block ×4, first 2 shown]
	s_add_nc_u64 s[16:17], s[16:17], s[18:19]
	v_add_nc_u64_e32 v[24:25], s[14:15], v[20:21]
	v_add_nc_u64_e32 v[26:27], s[14:15], v[22:23]
	global_load_b32 v30, v[20:21], off
	global_load_b32 v31, v[22:23], off
	v_cmp_lt_i64_e64 s24, s[16:17], s[12:13]
	v_add_nc_u64_e32 v[4:5], s[20:21], v[4:5]
	v_add_nc_u64_e32 v[2:3], s[18:19], v[2:3]
	;; [unrolled: 1-line block ×4, first 2 shown]
	s_wait_xcnt 0x1
	v_add_nc_u64_e32 v[20:21], s[14:15], v[26:27]
	global_load_b32 v24, v[24:25], off
	s_and_b32 vcc_lo, exec_lo, s24
	global_load_b32 v25, v[26:27], off
	global_load_b32 v32, v[28:29], off
	v_add_nc_u64_e32 v[22:23], s[14:15], v[28:29]
	s_wait_xcnt 0x1
	v_add_nc_u64_e32 v[26:27], s[14:15], v[20:21]
	global_load_b32 v33, v[20:21], off
	global_load_b32 v34, v[22:23], off
	s_wait_xcnt 0x2
	v_add_nc_u64_e32 v[28:29], s[14:15], v[22:23]
	s_wait_xcnt 0x1
	v_add_nc_u64_e32 v[20:21], s[14:15], v[26:27]
	global_load_b32 v35, v[26:27], off
	global_load_b32 v36, v[28:29], off
	s_wait_xcnt 0x2
	;; [unrolled: 6-line block ×3, first 2 shown]
	v_add_nc_u64_e32 v[28:29], s[14:15], v[22:23]
	s_wait_xcnt 0x1
	v_add_nc_u64_e32 v[20:21], s[14:15], v[26:27]
	global_load_b32 v23, v[26:27], off
	s_wait_xcnt 0x0
	v_add_nc_u64_e32 v[26:27], s[14:15], v[28:29]
	global_load_b32 v22, v[28:29], off
	;; [unrolled: 3-line block ×3, first 2 shown]
	global_load_b32 v40, v[26:27], off
	global_load_b32 v41, v[28:29], off
	s_wait_xcnt 0x2
	ds_bpermute_b32 v20, v1, v19
	ds_bpermute_b32 v21, v12, v19
	s_wait_xcnt 0x1
	ds_bpermute_b32 v26, v1, v18
	ds_bpermute_b32 v27, v0, v19
	;; [unrolled: 3-line block ×3, first 2 shown]
	s_wait_loadcnt_dscnt 0xd04
	v_dual_sub_f32 v20, v30, v20 :: v_dual_sub_f32 v21, v24, v21
	s_delay_alu instid0(VALU_DEP_1) | instskip(SKIP_1) | instid1(VALU_DEP_1)
	v_mul_f32_e32 v20, v31, v20
	s_wait_loadcnt_dscnt 0xc03
	v_dual_mul_f32 v30, v20, v26 :: v_dual_mul_f32 v20, v25, v21
	s_wait_loadcnt_dscnt 0xb02
	v_sub_f32_e32 v21, v32, v27
	ds_bpermute_b32 v26, v14, v18
	ds_bpermute_b32 v27, v16, v19
	v_pk_add_f32 v[8:9], v[8:9], v[30:31]
	s_wait_loadcnt_dscnt 0xa03
	v_dual_mul_f32 v24, v20, v28 :: v_dual_mul_f32 v20, v33, v21
	s_wait_loadcnt_dscnt 0x902
	v_sub_f32_e32 v21, v34, v29
	ds_bpermute_b32 v28, v15, v18
	ds_bpermute_b32 v19, v17, v19
	v_pk_add_f32 v[8:9], v[8:9], v[24:25]
	s_wait_loadcnt 0x8
	v_dual_mul_f32 v32, v20, v42 :: v_dual_mul_f32 v20, v35, v21
	s_wait_loadcnt 0x7
	v_sub_f32_e32 v21, v36, v43
	ds_bpermute_b32 v24, v16, v18
	ds_bpermute_b32 v18, v17, v18
	v_pk_add_f32 v[8:9], v[8:9], v[32:33]
	s_wait_loadcnt 0x6
	v_dual_mul_f32 v34, v20, v44 :: v_dual_mul_f32 v20, v37, v21
	s_wait_loadcnt 0x5
	v_sub_f32_e32 v21, v38, v45
	s_delay_alu instid0(VALU_DEP_2) | instskip(SKIP_1) | instid1(VALU_DEP_2)
	v_pk_add_f32 v[8:9], v[8:9], v[34:35]
	s_wait_loadcnt_dscnt 0x405
	v_dual_mul_f32 v36, v20, v26 :: v_dual_mul_f32 v20, v23, v21
	s_wait_loadcnt_dscnt 0x304
	v_sub_f32_e32 v21, v22, v27
	s_delay_alu instid0(VALU_DEP_2) | instskip(SKIP_1) | instid1(VALU_DEP_2)
	v_pk_add_f32 v[8:9], v[8:9], v[36:37]
	s_wait_loadcnt_dscnt 0x203
	v_dual_mul_f32 v22, v20, v28 :: v_dual_mul_f32 v20, v39, v21
	s_wait_loadcnt_dscnt 0x102
	v_sub_f32_e32 v19, v40, v19
	s_delay_alu instid0(VALU_DEP_2) | instskip(SKIP_1) | instid1(VALU_DEP_2)
	v_pk_add_f32 v[8:9], v[8:9], v[22:23]
	s_wait_loadcnt_dscnt 0x1
	v_dual_mul_f32 v38, v20, v24 :: v_dual_mul_f32 v19, v41, v19
	s_delay_alu instid0(VALU_DEP_1) | instskip(SKIP_1) | instid1(VALU_DEP_2)
	v_pk_add_f32 v[8:9], v[8:9], v[38:39]
	s_wait_dscnt 0x0
	v_mul_f32_e32 v40, v19, v18
	s_delay_alu instid0(VALU_DEP_1)
	v_pk_add_f32 v[8:9], v[8:9], v[40:41]
	s_cbranch_vccz .LBB64_10
.LBB64_7:                               ; =>This Inner Loop Header: Depth=1
	v_dual_mov_b32 v18, 0 :: v_dual_mov_b32 v19, 0
	s_and_saveexec_b32 s24, s2
	s_cbranch_execz .LBB64_6
; %bb.8:                                ;   in Loop: Header=BB64_7 Depth=1
	v_dual_mov_b32 v19, 0 :: v_dual_mov_b32 v18, 0
	s_mov_b32 s25, exec_lo
	v_cmpx_gt_i64_e64 s[12:13], v[2:3]
	s_cbranch_execz .LBB64_5
; %bb.9:                                ;   in Loop: Header=BB64_7 Depth=1
	v_add_nc_u64_e32 v[20:21], s[8:9], v[4:5]
	v_add_nc_u64_e32 v[22:23], s[10:11], v[4:5]
	global_load_b32 v19, v[20:21], off
	global_load_b32 v18, v[22:23], off
	s_branch .LBB64_5
.LBB64_10:
	v_mov_b32_e32 v1, v11
.LBB64_11:
	s_load_b128 s[4:7], s[0:1], 0x30
	s_delay_alu instid0(VALU_DEP_1) | instskip(SKIP_3) | instid1(VALU_DEP_2)
	v_mad_u32_u24 v0, v1, 33, v10
	v_lshrrev_b32_e32 v2, 5, v10
	s_wait_xcnt 0x0
	s_mov_b32 s0, exec_lo
	v_lshl_add_u32 v3, v0, 2, 0
	s_delay_alu instid0(VALU_DEP_2)
	v_add_nc_u32_e32 v0, v2, v1
	ds_store_b32 v3, v8
	ds_store_b32 v3, v9 offset:1056
	s_wait_dscnt 0x0
	s_barrier_signal -1
	s_barrier_wait -1
	v_cmpx_gt_u32_e32 32, v0
	s_cbranch_execz .LBB64_43
; %bb.12:
	v_and_b32_e32 v1, 31, v10
                                        ; implicit-def: $vgpr2
	s_delay_alu instid0(VALU_DEP_1)
	v_cmp_lt_u32_e64 s2, 7, v1
	v_cmp_gt_u32_e64 s0, 8, v1
	v_mul_u32_u24_e32 v6, 33, v1
	s_and_saveexec_b32 s1, s0
	s_cbranch_execz .LBB64_14
; %bb.13:
	s_delay_alu instid0(VALU_DEP_1) | instskip(NEXT) | instid1(VALU_DEP_1)
	v_add_nc_u32_e32 v1, v0, v6
	v_lshl_add_u32 v1, v1, 2, 0
	ds_load_b32 v3, v1
	ds_load_b32 v2, v1 offset:1056
.LBB64_14:
	s_or_b32 exec_lo, exec_lo, s1
	v_mbcnt_lo_u32_b32 v1, -1, 0
	s_bfe_u32 s1, ttmp6, 0x4000c
	s_and_b32 s8, ttmp6, 15
	s_add_co_i32 s1, s1, 1
	s_mov_b32 s9, 0
	v_xor_b32_e32 v8, 2, v1
	v_xor_b32_e32 v4, 4, v1
	s_mul_i32 s1, ttmp9, s1
	v_xor_b32_e32 v9, 1, v1
	s_add_co_i32 s8, s8, s1
	s_cmp_eq_u32 s3, 0
	v_cmp_gt_i32_e32 vcc_lo, 32, v4
	s_cselect_b32 s8, ttmp9, s8
	v_cmp_eq_u32_e64 s1, 0, v10
	s_lshl_b64 s[8:9], s[8:9], 5
	s_wait_kmcnt 0x0
	s_cmp_lg_u64 s[4:5], 0
	v_cndmask_b32_e32 v4, v1, v4, vcc_lo
	v_cmp_gt_i32_e32 vcc_lo, 32, v8
	s_cselect_b32 s10, -1, 0
	s_cmp_lg_u64 s[6:7], 0
	s_cselect_b32 s3, -1, 0
	v_cndmask_b32_e32 v8, v1, v8, vcc_lo
	v_cmp_gt_i32_e32 vcc_lo, 32, v9
	v_lshlrev_b32_e32 v7, 2, v4
	s_delay_alu instid0(VALU_DEP_3)
	v_dual_cndmask_b32 v1, v1, v9 :: v_dual_lshlrev_b32 v8, 2, v8
	s_wait_dscnt 0x1
	ds_bpermute_b32 v5, v7, v3
	s_wait_dscnt 0x1
	ds_bpermute_b32 v4, v7, v2
	v_dual_lshlrev_b32 v9, 2, v1 :: v_dual_mov_b32 v1, 0
	s_wait_dscnt 0x0
	v_pk_add_f32 v[2:3], v[2:3], v[4:5]
	ds_bpermute_b32 v5, v8, v3
	ds_bpermute_b32 v4, v8, v2
	s_wait_dscnt 0x0
	v_pk_add_f32 v[2:3], v[2:3], v[4:5]
	ds_bpermute_b32 v5, v9, v3
	ds_bpermute_b32 v4, v9, v2
	s_wait_dscnt 0x0
	v_pk_add_f32 v[2:3], v[2:3], v[4:5]
	s_and_saveexec_b32 s11, s1
	s_cbranch_execz .LBB64_19
; %bb.15:
	v_dual_mov_b32 v5, s9 :: v_dual_bitop2_b32 v4, s8, v0 bitop3:0x54
	s_and_not1_b32 vcc_lo, exec_lo, s10
	s_cbranch_vccnz .LBB64_17
; %bb.16:
	s_delay_alu instid0(VALU_DEP_1)
	v_lshl_add_u64 v[10:11], v[4:5], 2, s[4:5]
	global_store_b32 v[10:11], v3, off
.LBB64_17:
	s_and_not1_b32 vcc_lo, exec_lo, s3
	s_cbranch_vccnz .LBB64_19
; %bb.18:
	v_lshl_add_u64 v[4:5], v[4:5], 2, s[6:7]
	global_store_b32 v[4:5], v2, off
.LBB64_19:
	s_wait_xcnt 0x0
	s_or_b32 exec_lo, exec_lo, s11
	v_cmp_gt_u32_e32 vcc_lo, 24, v0
	s_and_b32 exec_lo, exec_lo, vcc_lo
	s_cbranch_execz .LBB64_43
; %bb.20:
	s_and_saveexec_b32 s11, s2
	s_delay_alu instid0(SALU_CYCLE_1) | instskip(NEXT) | instid1(SALU_CYCLE_1)
	s_xor_b32 s11, exec_lo, s11
	s_and_not1_saveexec_b32 s11, s11
	s_cbranch_execz .LBB64_22
; %bb.21:
	v_add_nc_u32_e32 v2, v0, v6
	s_delay_alu instid0(VALU_DEP_1)
	v_lshl_add_u32 v2, v2, 2, 0
	ds_load_b32 v3, v2 offset:32
	ds_load_b32 v2, v2 offset:1088
.LBB64_22:
	s_or_b32 exec_lo, exec_lo, s11
	s_wait_dscnt 0x1
	ds_bpermute_b32 v5, v7, v3
	s_wait_dscnt 0x1
	ds_bpermute_b32 v4, v7, v2
	s_wait_dscnt 0x0
	v_pk_add_f32 v[2:3], v[2:3], v[4:5]
	ds_bpermute_b32 v5, v8, v3
	ds_bpermute_b32 v4, v8, v2
	s_wait_dscnt 0x0
	v_pk_add_f32 v[2:3], v[2:3], v[4:5]
	ds_bpermute_b32 v5, v9, v3
	ds_bpermute_b32 v4, v9, v2
	s_wait_dscnt 0x0
	v_pk_add_f32 v[2:3], v[2:3], v[4:5]
	s_and_saveexec_b32 s11, s1
	s_cbranch_execz .LBB64_27
; %bb.23:
	s_and_not1_b32 vcc_lo, exec_lo, s10
	s_cbranch_vccnz .LBB64_25
; %bb.24:
	v_add_nc_u64_e32 v[4:5], s[8:9], v[0:1]
	s_delay_alu instid0(VALU_DEP_1)
	v_lshl_add_u64 v[4:5], v[4:5], 2, s[4:5]
	global_store_b32 v[4:5], v3, off offset:32
.LBB64_25:
	s_and_not1_b32 vcc_lo, exec_lo, s3
	s_cbranch_vccnz .LBB64_27
; %bb.26:
	s_wait_xcnt 0x0
	v_add_nc_u64_e32 v[4:5], s[8:9], v[0:1]
	s_delay_alu instid0(VALU_DEP_1)
	v_lshl_add_u64 v[4:5], v[4:5], 2, s[6:7]
	global_store_b32 v[4:5], v2, off offset:32
.LBB64_27:
	s_wait_xcnt 0x0
	s_or_b32 exec_lo, exec_lo, s11
	v_cmp_gt_u32_e32 vcc_lo, 16, v0
	s_and_b32 exec_lo, exec_lo, vcc_lo
	s_cbranch_execz .LBB64_43
; %bb.28:
	s_and_saveexec_b32 s11, s2
	s_delay_alu instid0(SALU_CYCLE_1) | instskip(NEXT) | instid1(SALU_CYCLE_1)
	s_xor_b32 s2, exec_lo, s11
	s_and_not1_saveexec_b32 s2, s2
	s_cbranch_execz .LBB64_30
; %bb.29:
	v_add_nc_u32_e32 v2, v0, v6
	s_delay_alu instid0(VALU_DEP_1)
	v_lshl_add_u32 v2, v2, 2, 0
	ds_load_b32 v3, v2 offset:64
	ds_load_b32 v2, v2 offset:1120
.LBB64_30:
	s_or_b32 exec_lo, exec_lo, s2
	s_wait_dscnt 0x1
	ds_bpermute_b32 v5, v7, v3
	s_wait_dscnt 0x1
	ds_bpermute_b32 v4, v7, v2
	s_wait_dscnt 0x0
	v_pk_add_f32 v[2:3], v[2:3], v[4:5]
	ds_bpermute_b32 v5, v8, v3
	ds_bpermute_b32 v4, v8, v2
	s_wait_dscnt 0x0
	v_pk_add_f32 v[2:3], v[2:3], v[4:5]
	ds_bpermute_b32 v5, v9, v3
	ds_bpermute_b32 v4, v9, v2
	s_wait_dscnt 0x0
	v_pk_add_f32 v[2:3], v[2:3], v[4:5]
	s_and_saveexec_b32 s2, s1
	s_cbranch_execz .LBB64_35
; %bb.31:
	s_and_not1_b32 vcc_lo, exec_lo, s10
	s_cbranch_vccnz .LBB64_33
; %bb.32:
	v_add_nc_u64_e32 v[4:5], s[8:9], v[0:1]
	s_delay_alu instid0(VALU_DEP_1)
	v_lshl_add_u64 v[4:5], v[4:5], 2, s[4:5]
	global_store_b32 v[4:5], v3, off offset:64
.LBB64_33:
	s_and_not1_b32 vcc_lo, exec_lo, s3
	s_cbranch_vccnz .LBB64_35
; %bb.34:
	s_wait_xcnt 0x0
	v_add_nc_u64_e32 v[4:5], s[8:9], v[0:1]
	s_delay_alu instid0(VALU_DEP_1)
	v_lshl_add_u64 v[4:5], v[4:5], 2, s[6:7]
	global_store_b32 v[4:5], v2, off offset:64
.LBB64_35:
	s_wait_xcnt 0x0
	s_or_b32 exec_lo, exec_lo, s2
	v_cmp_gt_u32_e32 vcc_lo, 8, v0
	s_and_b32 exec_lo, exec_lo, vcc_lo
	s_cbranch_execz .LBB64_43
; %bb.36:
	s_and_saveexec_b32 s2, s0
	s_cbranch_execz .LBB64_38
; %bb.37:
	v_add_nc_u32_e32 v2, v0, v6
	s_delay_alu instid0(VALU_DEP_1)
	v_lshl_add_u32 v2, v2, 2, 0
	ds_load_b32 v3, v2 offset:96
	ds_load_b32 v2, v2 offset:1152
.LBB64_38:
	s_or_b32 exec_lo, exec_lo, s2
	s_wait_dscnt 0x1
	ds_bpermute_b32 v4, v7, v3
	s_wait_dscnt 0x1
	ds_bpermute_b32 v5, v7, v2
	s_wait_dscnt 0x0
	v_dual_add_f32 v3, v3, v4 :: v_dual_add_f32 v2, v2, v5
	ds_bpermute_b32 v4, v8, v3
	ds_bpermute_b32 v5, v8, v2
	s_wait_dscnt 0x0
	v_dual_add_f32 v4, v3, v4 :: v_dual_add_f32 v2, v2, v5
	ds_bpermute_b32 v5, v9, v4
	ds_bpermute_b32 v3, v9, v2
	s_and_b32 exec_lo, exec_lo, s1
	s_cbranch_execz .LBB64_43
; %bb.39:
	v_add_nc_u64_e32 v[0:1], s[8:9], v[0:1]
	s_and_not1_b32 vcc_lo, exec_lo, s10
	s_cbranch_vccnz .LBB64_41
; %bb.40:
	s_wait_dscnt 0x1
	v_add_f32_e32 v6, v4, v5
	s_delay_alu instid0(VALU_DEP_2)
	v_lshl_add_u64 v[4:5], v[0:1], 2, s[4:5]
	global_store_b32 v[4:5], v6, off offset:96
.LBB64_41:
	s_and_not1_b32 vcc_lo, exec_lo, s3
	s_cbranch_vccnz .LBB64_43
; %bb.42:
	s_wait_dscnt 0x0
	v_add_f32_e32 v2, v2, v3
	v_lshl_add_u64 v[0:1], v[0:1], 2, s[6:7]
	global_store_b32 v[0:1], v2, off offset:96
.LBB64_43:
	s_endpgm
	.section	.rodata,"a",@progbits
	.p2align	6, 0x0
	.amdhsa_kernel _ZN2at6native12_GLOBAL__N_135GammaBetaBackwardCUDAKernelTemplateIffLj32ELj8ELj64ELb0ELb1ELb0EEEvllPKT_S5_PKT0_S8_PS3_S9_
		.amdhsa_group_segment_fixed_size 0
		.amdhsa_private_segment_fixed_size 0
		.amdhsa_kernarg_size 320
		.amdhsa_user_sgpr_count 2
		.amdhsa_user_sgpr_dispatch_ptr 0
		.amdhsa_user_sgpr_queue_ptr 0
		.amdhsa_user_sgpr_kernarg_segment_ptr 1
		.amdhsa_user_sgpr_dispatch_id 0
		.amdhsa_user_sgpr_kernarg_preload_length 0
		.amdhsa_user_sgpr_kernarg_preload_offset 0
		.amdhsa_user_sgpr_private_segment_size 0
		.amdhsa_wavefront_size32 1
		.amdhsa_uses_dynamic_stack 0
		.amdhsa_enable_private_segment 0
		.amdhsa_system_sgpr_workgroup_id_x 1
		.amdhsa_system_sgpr_workgroup_id_y 1
		.amdhsa_system_sgpr_workgroup_id_z 0
		.amdhsa_system_sgpr_workgroup_info 0
		.amdhsa_system_vgpr_workitem_id 1
		.amdhsa_next_free_vgpr 46
		.amdhsa_next_free_sgpr 26
		.amdhsa_named_barrier_count 0
		.amdhsa_reserve_vcc 1
		.amdhsa_float_round_mode_32 0
		.amdhsa_float_round_mode_16_64 0
		.amdhsa_float_denorm_mode_32 3
		.amdhsa_float_denorm_mode_16_64 3
		.amdhsa_fp16_overflow 0
		.amdhsa_memory_ordered 1
		.amdhsa_forward_progress 1
		.amdhsa_inst_pref_size 19
		.amdhsa_round_robin_scheduling 0
		.amdhsa_exception_fp_ieee_invalid_op 0
		.amdhsa_exception_fp_denorm_src 0
		.amdhsa_exception_fp_ieee_div_zero 0
		.amdhsa_exception_fp_ieee_overflow 0
		.amdhsa_exception_fp_ieee_underflow 0
		.amdhsa_exception_fp_ieee_inexact 0
		.amdhsa_exception_int_div_zero 0
	.end_amdhsa_kernel
	.section	.text._ZN2at6native12_GLOBAL__N_135GammaBetaBackwardCUDAKernelTemplateIffLj32ELj8ELj64ELb0ELb1ELb0EEEvllPKT_S5_PKT0_S8_PS3_S9_,"axG",@progbits,_ZN2at6native12_GLOBAL__N_135GammaBetaBackwardCUDAKernelTemplateIffLj32ELj8ELj64ELb0ELb1ELb0EEEvllPKT_S5_PKT0_S8_PS3_S9_,comdat
.Lfunc_end64:
	.size	_ZN2at6native12_GLOBAL__N_135GammaBetaBackwardCUDAKernelTemplateIffLj32ELj8ELj64ELb0ELb1ELb0EEEvllPKT_S5_PKT0_S8_PS3_S9_, .Lfunc_end64-_ZN2at6native12_GLOBAL__N_135GammaBetaBackwardCUDAKernelTemplateIffLj32ELj8ELj64ELb0ELb1ELb0EEEvllPKT_S5_PKT0_S8_PS3_S9_
                                        ; -- End function
	.set _ZN2at6native12_GLOBAL__N_135GammaBetaBackwardCUDAKernelTemplateIffLj32ELj8ELj64ELb0ELb1ELb0EEEvllPKT_S5_PKT0_S8_PS3_S9_.num_vgpr, 46
	.set _ZN2at6native12_GLOBAL__N_135GammaBetaBackwardCUDAKernelTemplateIffLj32ELj8ELj64ELb0ELb1ELb0EEEvllPKT_S5_PKT0_S8_PS3_S9_.num_agpr, 0
	.set _ZN2at6native12_GLOBAL__N_135GammaBetaBackwardCUDAKernelTemplateIffLj32ELj8ELj64ELb0ELb1ELb0EEEvllPKT_S5_PKT0_S8_PS3_S9_.numbered_sgpr, 26
	.set _ZN2at6native12_GLOBAL__N_135GammaBetaBackwardCUDAKernelTemplateIffLj32ELj8ELj64ELb0ELb1ELb0EEEvllPKT_S5_PKT0_S8_PS3_S9_.num_named_barrier, 0
	.set _ZN2at6native12_GLOBAL__N_135GammaBetaBackwardCUDAKernelTemplateIffLj32ELj8ELj64ELb0ELb1ELb0EEEvllPKT_S5_PKT0_S8_PS3_S9_.private_seg_size, 0
	.set _ZN2at6native12_GLOBAL__N_135GammaBetaBackwardCUDAKernelTemplateIffLj32ELj8ELj64ELb0ELb1ELb0EEEvllPKT_S5_PKT0_S8_PS3_S9_.uses_vcc, 1
	.set _ZN2at6native12_GLOBAL__N_135GammaBetaBackwardCUDAKernelTemplateIffLj32ELj8ELj64ELb0ELb1ELb0EEEvllPKT_S5_PKT0_S8_PS3_S9_.uses_flat_scratch, 0
	.set _ZN2at6native12_GLOBAL__N_135GammaBetaBackwardCUDAKernelTemplateIffLj32ELj8ELj64ELb0ELb1ELb0EEEvllPKT_S5_PKT0_S8_PS3_S9_.has_dyn_sized_stack, 0
	.set _ZN2at6native12_GLOBAL__N_135GammaBetaBackwardCUDAKernelTemplateIffLj32ELj8ELj64ELb0ELb1ELb0EEEvllPKT_S5_PKT0_S8_PS3_S9_.has_recursion, 0
	.set _ZN2at6native12_GLOBAL__N_135GammaBetaBackwardCUDAKernelTemplateIffLj32ELj8ELj64ELb0ELb1ELb0EEEvllPKT_S5_PKT0_S8_PS3_S9_.has_indirect_call, 0
	.section	.AMDGPU.csdata,"",@progbits
; Kernel info:
; codeLenInByte = 2396
; TotalNumSgprs: 28
; NumVgprs: 46
; ScratchSize: 0
; MemoryBound: 0
; FloatMode: 240
; IeeeMode: 1
; LDSByteSize: 0 bytes/workgroup (compile time only)
; SGPRBlocks: 0
; VGPRBlocks: 2
; NumSGPRsForWavesPerEU: 28
; NumVGPRsForWavesPerEU: 46
; NamedBarCnt: 0
; Occupancy: 16
; WaveLimiterHint : 0
; COMPUTE_PGM_RSRC2:SCRATCH_EN: 0
; COMPUTE_PGM_RSRC2:USER_SGPR: 2
; COMPUTE_PGM_RSRC2:TRAP_HANDLER: 0
; COMPUTE_PGM_RSRC2:TGID_X_EN: 1
; COMPUTE_PGM_RSRC2:TGID_Y_EN: 1
; COMPUTE_PGM_RSRC2:TGID_Z_EN: 0
; COMPUTE_PGM_RSRC2:TIDIG_COMP_CNT: 1
	.section	.text._ZN2at6native12_GLOBAL__N_135GammaBetaBackwardCUDAKernelTemplateIffLj32ELj8ELj64ELb0ELb0ELb0EEEvllPKT_S5_PKT0_S8_PS3_S9_,"axG",@progbits,_ZN2at6native12_GLOBAL__N_135GammaBetaBackwardCUDAKernelTemplateIffLj32ELj8ELj64ELb0ELb0ELb0EEEvllPKT_S5_PKT0_S8_PS3_S9_,comdat
	.globl	_ZN2at6native12_GLOBAL__N_135GammaBetaBackwardCUDAKernelTemplateIffLj32ELj8ELj64ELb0ELb0ELb0EEEvllPKT_S5_PKT0_S8_PS3_S9_ ; -- Begin function _ZN2at6native12_GLOBAL__N_135GammaBetaBackwardCUDAKernelTemplateIffLj32ELj8ELj64ELb0ELb0ELb0EEEvllPKT_S5_PKT0_S8_PS3_S9_
	.p2align	8
	.type	_ZN2at6native12_GLOBAL__N_135GammaBetaBackwardCUDAKernelTemplateIffLj32ELj8ELj64ELb0ELb0ELb0EEEvllPKT_S5_PKT0_S8_PS3_S9_,@function
_ZN2at6native12_GLOBAL__N_135GammaBetaBackwardCUDAKernelTemplateIffLj32ELj8ELj64ELb0ELb0ELb0EEEvllPKT_S5_PKT0_S8_PS3_S9_: ; @_ZN2at6native12_GLOBAL__N_135GammaBetaBackwardCUDAKernelTemplateIffLj32ELj8ELj64ELb0ELb0ELb0EEEvllPKT_S5_PKT0_S8_PS3_S9_
; %bb.0:
	s_load_b256 s[4:11], s[0:1], 0x0
	s_bfe_u32 s3, ttmp6, 0x4000c
	s_bfe_u32 s12, ttmp6, 0x40010
	s_add_co_i32 s3, s3, 1
	s_add_co_i32 s12, s12, 1
	s_and_b32 s2, ttmp6, 15
	s_bfe_u32 s13, ttmp6, 0x40004
	s_mul_i32 s3, ttmp9, s3
	s_mul_i32 s12, ttmp7, s12
	s_getreg_b32 s14, hwreg(HW_REG_IB_STS2, 6, 4)
	s_add_co_i32 s2, s2, s3
	s_add_co_i32 s3, s13, s12
	s_cmp_eq_u32 s14, 0
	s_mov_b32 s19, 0
	s_cselect_b32 s16, ttmp9, s2
	s_cselect_b32 s2, ttmp7, s3
	s_lshl_b32 s3, s16, 5
	s_load_b128 s[12:15], s[0:1], 0x20
	s_or_b32 s18, s3, 31
	s_wait_kmcnt 0x0
	v_cmp_le_i64_e64 s20, s[6:7], s[18:19]
	s_lshl_b32 s18, s2, 6
	s_delay_alu instid0(SALU_CYCLE_1) | instskip(SKIP_2) | instid1(VALU_DEP_1)
	v_cmp_gt_i64_e64 s17, s[4:5], s[18:19]
	s_and_b32 vcc_lo, exec_lo, s20
	v_cndmask_b32_e64 v1, 0, 1, s17
	v_cmp_ne_u32_e64 s2, 1, v1
	s_cbranch_vccz .LBB65_48
; %bb.1:
	v_mov_b32_e32 v21, 0
	s_and_b32 vcc_lo, exec_lo, s2
	s_delay_alu instid0(VALU_DEP_1)
	v_mov_b32_e32 v20, v21
	s_cbranch_vccnz .LBB65_49
; %bb.2:
	v_bfe_u32 v1, v0, 10, 10
	v_mov_b32_e32 v2, 0
	v_and_b32_e32 v62, 0x3ff, v0
	s_load_b32 s20, s[0:1], 0x44
	s_mov_b32 s21, 0
	s_delay_alu instid0(VALU_DEP_2) | instskip(NEXT) | instid1(VALU_DEP_2)
	v_dual_mov_b32 v23, v2 :: v_dual_lshlrev_b32 v22, 3, v1
	v_dual_mov_b32 v19, v2 :: v_dual_add_nc_u32 v18, s3, v62
	s_mov_b32 s37, s21
	s_add_nc_u64 s[22:23], s[0:1], 64
	s_delay_alu instid0(VALU_DEP_2)
	v_add_nc_u64_e32 v[4:5], s[18:19], v[22:23]
	s_mov_b64 s[24:25], 0xffffffffffffffc1
	s_mov_b64 s[26:27], 0xffffffffffffffc2
	;; [unrolled: 1-line block ×6, first 2 shown]
	v_mul_u64_e32 v[6:7], s[6:7], v[4:5]
	v_add_nc_u64_e32 v[8:9], 7, v[4:5]
	v_add_nc_u64_e32 v[10:11], 6, v[4:5]
	v_add_nc_u64_e32 v[12:13], 5, v[4:5]
	v_add_nc_u64_e32 v[14:15], 4, v[4:5]
	v_add_nc_u64_e32 v[16:17], 3, v[4:5]
	v_add_nc_u64_e32 v[4:5], 2, v[4:5]
	s_wait_kmcnt 0x0
	s_lshl_b32 s36, s20, 6
	v_mul_u64_e32 v[8:9], s[6:7], v[8:9]
	v_mul_u64_e32 v[10:11], s[6:7], v[10:11]
	;; [unrolled: 1-line block ×6, first 2 shown]
	s_mul_u64 s[44:45], s[6:7], s[36:37]
	s_mov_b64 s[40:41], 0xffffffffffffffc7
	s_mov_b64 s[42:43], 0xffffffffffffffc8
	s_lshl_b64 s[44:45], s[44:45], 2
	s_add_nc_u64 s[46:47], s[18:19], 63
	s_mov_b64 s[48:49], s[18:19]
	v_lshlrev_b64_e32 v[20:21], 2, v[6:7]
	v_add_nc_u64_e32 v[6:7], s[6:7], v[6:7]
	s_delay_alu instid0(VALU_DEP_2)
	v_add_nc_u64_e32 v[26:27], s[8:9], v[20:21]
	v_lshlrev_b64_e32 v[8:9], 2, v[8:9]
	v_lshlrev_b64_e32 v[10:11], 2, v[10:11]
	;; [unrolled: 1-line block ×7, first 2 shown]
	v_add_nc_u64_e32 v[28:29], s[10:11], v[20:21]
	v_add_nc_u64_e32 v[30:31], s[8:9], v[8:9]
	;; [unrolled: 1-line block ×15, first 2 shown]
	v_mov_b32_e32 v20, 0
	v_cmp_gt_i64_e64 s2, s[6:7], v[18:19]
	v_lshlrev_b64_e32 v[24:25], 2, v[18:19]
	v_mov_b32_e32 v21, v2
	s_branch .LBB65_5
.LBB65_3:                               ;   in Loop: Header=BB65_5 Depth=1
	s_wait_xcnt 0x0
	s_or_b32 exec_lo, exec_lo, s20
	s_wait_loadcnt 0x1
	ds_bpermute_b32 v3, v2, v60
	ds_bpermute_b32 v58, v2, v60 offset:4
	ds_bpermute_b32 v63, v2, v60 offset:8
	s_wait_loadcnt 0x0
	ds_bpermute_b32 v64, v2, v61
	ds_bpermute_b32 v66, v2, v60 offset:12
	ds_bpermute_b32 v67, v2, v61 offset:4
	;; [unrolled: 1-line block ×6, first 2 shown]
	v_mov_b32_e32 v59, v4
	ds_bpermute_b32 v71, v2, v61 offset:16
	ds_bpermute_b32 v74, v2, v60 offset:24
	;; [unrolled: 1-line block ×3, first 2 shown]
	s_wait_dscnt 0xc
	v_dual_mov_b32 v65, v5 :: v_dual_sub_f32 v3, v12, v3
	s_wait_dscnt 0xb
	v_dual_sub_f32 v12, v13, v58 :: v_dual_mov_b32 v13, v6
	s_delay_alu instid0(VALU_DEP_2) | instskip(SKIP_1) | instid1(VALU_DEP_2)
	v_mul_f32_e32 v3, v4, v3
	s_wait_dscnt 0xa
	v_dual_sub_f32 v4, v14, v63 :: v_dual_mul_f32 v12, v5, v12
	v_mov_b32_e32 v5, v7
	s_wait_dscnt 0x9
	v_mul_f32_e32 v58, v3, v64
	s_wait_dscnt 0x8
	v_dual_mul_f32 v4, v6, v4 :: v_dual_sub_f32 v3, v15, v66
	s_wait_dscnt 0x7
	v_mul_f32_e32 v64, v12, v67
	v_pk_add_f32 v[14:15], v[20:21], v[58:59]
	ds_bpermute_b32 v20, v2, v61 offset:24
	s_wait_dscnt 0x7
	v_mul_f32_e32 v12, v4, v68
	s_wait_dscnt 0x6
	v_dual_sub_f32 v16, v16, v70 :: v_dual_mul_f32 v3, v7, v3
	v_pk_add_f32 v[6:7], v[64:65], v[14:15]
	s_wait_dscnt 0x4
	v_dual_mov_b32 v15, v8 :: v_dual_sub_f32 v14, v17, v73
	s_delay_alu instid0(VALU_DEP_3) | instskip(NEXT) | instid1(VALU_DEP_3)
	v_dual_mul_f32 v8, v8, v16 :: v_dual_mul_f32 v4, v3, v69
	v_pk_add_f32 v[6:7], v[12:13], v[6:7]
	ds_bpermute_b32 v3, v2, v61 offset:28
	s_wait_dscnt 0x3
	v_sub_f32_e32 v12, v18, v74
	v_dual_mul_f32 v13, v9, v14 :: v_dual_mul_f32 v14, v8, v71
	v_pk_add_f32 v[6:7], v[4:5], v[6:7]
	ds_bpermute_b32 v4, v2, v60 offset:28
	v_mul_f32_e32 v5, v10, v12
	s_wait_dscnt 0x3
	v_dual_mul_f32 v8, v13, v72 :: v_dual_mov_b32 v13, v10
	v_pk_add_f32 v[6:7], v[14:15], v[6:7]
	s_wait_dscnt 0x2
	v_mul_f32_e32 v12, v5, v20
	s_delay_alu instid0(VALU_DEP_2) | instskip(NEXT) | instid1(VALU_DEP_1)
	v_pk_add_f32 v[6:7], v[8:9], v[6:7]
	v_pk_add_f32 v[60:61], v[12:13], v[6:7]
.LBB65_4:                               ;   in Loop: Header=BB65_5 Depth=1
	s_wait_dscnt 0x0
	v_sub_f32_e32 v4, v19, v4
	s_add_nc_u64 s[48:49], s[48:49], s[36:37]
	v_add_nc_u64_e32 v[26:27], s[44:45], v[26:27]
	v_cmp_lt_i64_e64 s20, s[48:49], s[4:5]
	v_add_nc_u64_e32 v[28:29], s[44:45], v[28:29]
	v_mul_f32_e32 v4, v11, v4
	v_add_nc_u64_e32 v[30:31], s[44:45], v[30:31]
	v_add_nc_u64_e32 v[32:33], s[44:45], v[32:33]
	;; [unrolled: 1-line block ×4, first 2 shown]
	v_mul_f32_e32 v10, v4, v3
	v_add_nc_u64_e32 v[38:39], s[44:45], v[38:39]
	v_add_nc_u64_e32 v[40:41], s[44:45], v[40:41]
	;; [unrolled: 1-line block ×10, first 2 shown]
	v_pk_add_f32 v[20:21], v[60:61], v[10:11]
	s_and_b32 vcc_lo, exec_lo, s20
	s_add_nc_u64 s[46:47], s[46:47], s[36:37]
	s_cbranch_vccz .LBB65_49
.LBB65_5:                               ; =>This Inner Loop Header: Depth=1
	v_cmp_ge_i64_e64 s20, s[46:47], s[4:5]
	v_add_nc_u64_e32 v[58:59], s[46:47], v[22:23]
                                        ; implicit-def: $vgpr4_vgpr5_vgpr6_vgpr7_vgpr8_vgpr9_vgpr10_vgpr11
                                        ; implicit-def: $vgpr60_vgpr61
                                        ; implicit-def: $vgpr3
                                        ; implicit-def: $vgpr12_vgpr13_vgpr14_vgpr15_vgpr16_vgpr17_vgpr18_vgpr19
                                        ; implicit-def: $vgpr4
	s_and_b32 vcc_lo, exec_lo, s20
	s_mov_b32 s20, -1
	s_cbranch_vccz .LBB65_27
; %bb.6:                                ;   in Loop: Header=BB65_5 Depth=1
	s_load_b32 s20, s[22:23], 0xc
	v_dual_mov_b32 v60, 0 :: v_dual_mov_b32 v61, 0
	s_wait_kmcnt 0x0
	s_and_b32 s20, s20, 0xffff
	s_delay_alu instid0(SALU_CYCLE_1) | instskip(SKIP_1) | instid1(VALU_DEP_1)
	v_mad_u32_u24 v3, v1, s20, v62
	s_mov_b32 s20, exec_lo
	v_and_b32_e32 v4, 31, v3
	s_delay_alu instid0(VALU_DEP_1)
	v_cmpx_gt_u32_e32 8, v4
	s_cbranch_execz .LBB65_10
; %bb.7:                                ;   in Loop: Header=BB65_5 Depth=1
	v_dual_mov_b32 v5, v2 :: v_dual_mov_b32 v60, 0
	v_mov_b32_e32 v61, 0
	s_mov_b32 s33, exec_lo
	s_delay_alu instid0(VALU_DEP_2) | instskip(NEXT) | instid1(VALU_DEP_1)
	v_add_nc_u64_e32 v[4:5], v[58:59], v[4:5]
	v_add_nc_u64_e32 v[4:5], s[24:25], v[4:5]
	s_delay_alu instid0(VALU_DEP_1)
	v_cmpx_gt_i64_e64 s[4:5], v[4:5]
	s_cbranch_execz .LBB65_9
; %bb.8:                                ;   in Loop: Header=BB65_5 Depth=1
	v_lshlrev_b64_e32 v[4:5], 2, v[4:5]
	s_delay_alu instid0(VALU_DEP_1)
	v_add_nc_u64_e32 v[6:7], s[12:13], v[4:5]
	v_add_nc_u64_e32 v[4:5], s[14:15], v[4:5]
	global_load_b32 v60, v[6:7], off
	global_load_b32 v61, v[4:5], off
.LBB65_9:                               ;   in Loop: Header=BB65_5 Depth=1
	s_wait_xcnt 0x0
	s_or_b32 exec_lo, exec_lo, s33
.LBB65_10:                              ;   in Loop: Header=BB65_5 Depth=1
	s_delay_alu instid0(SALU_CYCLE_1)
	s_or_b32 exec_lo, exec_lo, s20
	v_add_nc_u64_e32 v[10:11], s[24:25], v[58:59]
	v_dual_mov_b32 v7, v2 :: v_dual_mov_b32 v8, v2
	v_dual_mov_b32 v9, v2 :: v_dual_mov_b32 v3, v2
	v_dual_mov_b32 v4, v2 :: v_dual_mov_b32 v5, v2
	v_mov_b32_e32 v6, v2
	v_cmp_gt_i64_e32 vcc_lo, s[4:5], v[10:11]
	s_delay_alu instid0(VALU_DEP_4)
	v_mov_b64_e32 v[18:19], v[8:9]
	v_mov_b64_e32 v[12:13], v[2:3]
	;; [unrolled: 1-line block ×8, first 2 shown]
	s_and_b32 s33, s2, vcc_lo
	s_delay_alu instid0(SALU_CYCLE_1)
	s_and_saveexec_b32 s20, s33
	s_cbranch_execz .LBB65_12
; %bb.11:                               ;   in Loop: Header=BB65_5 Depth=1
	v_add_nc_u64_e32 v[6:7], v[26:27], v[24:25]
	v_add_nc_u64_e32 v[8:9], v[28:29], v[24:25]
	v_dual_mov_b32 v5, v2 :: v_dual_mov_b32 v11, v2
	v_dual_mov_b32 v13, v2 :: v_dual_mov_b32 v14, v2
	v_mov_b32_e32 v15, v2
	global_load_b32 v4, v[6:7], off
	global_load_b32 v12, v[8:9], off
	s_wait_xcnt 0x1
	v_dual_mov_b32 v6, v2 :: v_dual_mov_b32 v7, v2
	s_wait_xcnt 0x0
	v_dual_mov_b32 v8, v2 :: v_dual_mov_b32 v9, v2
	v_dual_mov_b32 v10, v2 :: v_dual_mov_b32 v16, v2
	;; [unrolled: 1-line block ×3, first 2 shown]
	v_mov_b32_e32 v19, v2
.LBB65_12:                              ;   in Loop: Header=BB65_5 Depth=1
	s_or_b32 exec_lo, exec_lo, s20
	v_add_nc_u64_e32 v[64:65], s[26:27], v[58:59]
	s_delay_alu instid0(VALU_DEP_1) | instskip(SKIP_1) | instid1(SALU_CYCLE_1)
	v_cmp_gt_i64_e32 vcc_lo, s[4:5], v[64:65]
	s_and_b32 s33, s2, vcc_lo
	s_and_saveexec_b32 s20, s33
	s_cbranch_execz .LBB65_14
; %bb.13:                               ;   in Loop: Header=BB65_5 Depth=1
	v_add_nc_u64_e32 v[64:65], v[54:55], v[24:25]
	v_add_nc_u64_e32 v[66:67], v[56:57], v[24:25]
	global_load_b32 v5, v[64:65], off
	global_load_b32 v13, v[66:67], off
.LBB65_14:                              ;   in Loop: Header=BB65_5 Depth=1
	s_wait_xcnt 0x0
	s_or_b32 exec_lo, exec_lo, s20
	v_add_nc_u64_e32 v[64:65], s[28:29], v[58:59]
	s_delay_alu instid0(VALU_DEP_1) | instskip(SKIP_1) | instid1(SALU_CYCLE_1)
	v_cmp_gt_i64_e32 vcc_lo, s[4:5], v[64:65]
	s_and_b32 s33, s2, vcc_lo
	s_and_saveexec_b32 s20, s33
	s_cbranch_execz .LBB65_16
; %bb.15:                               ;   in Loop: Header=BB65_5 Depth=1
	v_add_nc_u64_e32 v[64:65], v[50:51], v[24:25]
	v_add_nc_u64_e32 v[66:67], v[52:53], v[24:25]
	global_load_b32 v6, v[64:65], off
	global_load_b32 v14, v[66:67], off
.LBB65_16:                              ;   in Loop: Header=BB65_5 Depth=1
	s_wait_xcnt 0x0
	;; [unrolled: 14-line block ×7, first 2 shown]
	s_or_b32 exec_lo, exec_lo, s20
	s_wait_loadcnt 0x1
	ds_bpermute_b32 v3, v2, v60
	ds_bpermute_b32 v63, v2, v60 offset:4
	ds_bpermute_b32 v64, v2, v60 offset:8
	s_wait_loadcnt 0x0
	ds_bpermute_b32 v66, v2, v61
	ds_bpermute_b32 v68, v2, v60 offset:12
	ds_bpermute_b32 v69, v2, v61 offset:4
	;; [unrolled: 1-line block ×6, first 2 shown]
	v_mov_b32_e32 v65, v4
	ds_bpermute_b32 v73, v2, v61 offset:16
	ds_bpermute_b32 v74, v2, v61 offset:20
	s_mov_b32 s20, 0
	s_wait_dscnt 0xb
	v_dual_mov_b32 v67, v5 :: v_dual_sub_f32 v3, v12, v3
	s_wait_dscnt 0xa
	v_sub_f32_e32 v12, v13, v63
	ds_bpermute_b32 v63, v2, v60 offset:24
	v_dual_mov_b32 v13, v6 :: v_dual_mul_f32 v3, v4, v3
	s_wait_dscnt 0xa
	v_sub_f32_e32 v4, v14, v64
	v_dual_mul_f32 v12, v5, v12 :: v_dual_mov_b32 v5, v7
	s_wait_dscnt 0x5
	v_dual_sub_f32 v16, v16, v72 :: v_dual_mul_f32 v64, v3, v66
	s_delay_alu instid0(VALU_DEP_2) | instskip(SKIP_1) | instid1(VALU_DEP_3)
	v_dual_sub_f32 v3, v15, v68 :: v_dual_mul_f32 v66, v12, v69
	v_mul_f32_e32 v4, v6, v4
	v_pk_add_f32 v[14:15], v[20:21], v[64:65]
	ds_bpermute_b32 v64, v2, v61 offset:24
	v_dual_mul_f32 v3, v7, v3 :: v_dual_mul_f32 v12, v4, v70
	v_pk_add_f32 v[6:7], v[66:67], v[14:15]
	s_wait_dscnt 0x4
	v_dual_sub_f32 v14, v17, v75 :: v_dual_mov_b32 v15, v8
	s_delay_alu instid0(VALU_DEP_3) | instskip(NEXT) | instid1(VALU_DEP_3)
	v_dual_mul_f32 v8, v8, v16 :: v_dual_mul_f32 v4, v3, v71
	v_pk_add_f32 v[6:7], v[12:13], v[6:7]
	ds_bpermute_b32 v3, v2, v61 offset:28
	s_wait_dscnt 0x2
	v_dual_sub_f32 v12, v18, v63 :: v_dual_mul_f32 v13, v9, v14
	v_mul_f32_e32 v14, v8, v73
	v_pk_add_f32 v[6:7], v[4:5], v[6:7]
	ds_bpermute_b32 v4, v2, v60 offset:28
	v_dual_mul_f32 v5, v10, v12 :: v_dual_mul_f32 v8, v13, v74
	v_mov_b32_e32 v13, v10
	v_pk_add_f32 v[6:7], v[14:15], v[6:7]
	s_wait_dscnt 0x2
	s_delay_alu instid0(VALU_DEP_3) | instskip(NEXT) | instid1(VALU_DEP_2)
	v_mul_f32_e32 v12, v5, v64
	v_pk_add_f32 v[6:7], v[8:9], v[6:7]
	s_delay_alu instid0(VALU_DEP_1)
	v_pk_add_f32 v[60:61], v[12:13], v[6:7]
.LBB65_27:                              ;   in Loop: Header=BB65_5 Depth=1
	s_and_b32 vcc_lo, exec_lo, s20
	s_cbranch_vccz .LBB65_4
; %bb.28:                               ;   in Loop: Header=BB65_5 Depth=1
	s_load_b32 s20, s[22:23], 0x0
	v_dual_mov_b32 v60, 0 :: v_dual_mov_b32 v61, 0
	s_wait_kmcnt 0x0
	s_cmp_lt_u32 s16, s20
	s_cselect_b32 s20, 12, 18
	s_delay_alu instid0(SALU_CYCLE_1)
	s_add_nc_u64 s[50:51], s[22:23], s[20:21]
	s_load_u16 s20, s[50:51], 0x0
	s_wait_dscnt 0x1
	s_wait_kmcnt 0x0
	v_mad_u32_u24 v3, v1, s20, v62
	s_mov_b32 s20, exec_lo
	s_wait_dscnt 0x0
	s_delay_alu instid0(VALU_DEP_1) | instskip(NEXT) | instid1(VALU_DEP_1)
	v_and_b32_e32 v4, 31, v3
	v_cmpx_gt_u32_e32 8, v4
	s_cbranch_execz .LBB65_32
; %bb.29:                               ;   in Loop: Header=BB65_5 Depth=1
	v_dual_mov_b32 v5, v2 :: v_dual_mov_b32 v60, 0
	v_mov_b32_e32 v61, 0
	s_mov_b32 s33, exec_lo
	s_delay_alu instid0(VALU_DEP_2) | instskip(NEXT) | instid1(VALU_DEP_1)
	v_add_nc_u64_e32 v[4:5], v[58:59], v[4:5]
	v_add_nc_u64_e32 v[4:5], s[24:25], v[4:5]
	s_delay_alu instid0(VALU_DEP_1)
	v_cmpx_gt_i64_e64 s[4:5], v[4:5]
	s_cbranch_execz .LBB65_31
; %bb.30:                               ;   in Loop: Header=BB65_5 Depth=1
	v_lshlrev_b64_e32 v[4:5], 2, v[4:5]
	s_delay_alu instid0(VALU_DEP_1)
	v_add_nc_u64_e32 v[6:7], s[12:13], v[4:5]
	v_add_nc_u64_e32 v[4:5], s[14:15], v[4:5]
	global_load_b32 v60, v[6:7], off
	global_load_b32 v61, v[4:5], off
.LBB65_31:                              ;   in Loop: Header=BB65_5 Depth=1
	s_wait_xcnt 0x0
	s_or_b32 exec_lo, exec_lo, s33
.LBB65_32:                              ;   in Loop: Header=BB65_5 Depth=1
	s_delay_alu instid0(SALU_CYCLE_1) | instskip(SKIP_4) | instid1(VALU_DEP_3)
	s_or_b32 exec_lo, exec_lo, s20
	v_dual_mov_b32 v7, v2 :: v_dual_mov_b32 v8, v2
	v_dual_mov_b32 v9, v2 :: v_dual_mov_b32 v3, v2
	;; [unrolled: 1-line block ×3, first 2 shown]
	v_mov_b32_e32 v6, v2
	v_mov_b64_e32 v[18:19], v[8:9]
	s_delay_alu instid0(VALU_DEP_4) | instskip(NEXT) | instid1(VALU_DEP_4)
	v_mov_b64_e32 v[12:13], v[2:3]
	v_mov_b64_e32 v[14:15], v[4:5]
	s_delay_alu instid0(VALU_DEP_4)
	v_mov_b64_e32 v[16:17], v[6:7]
	v_mov_b64_e32 v[10:11], v[8:9]
	;; [unrolled: 1-line block ×5, first 2 shown]
	s_and_saveexec_b32 s20, s2
	s_cbranch_execnz .LBB65_40
; %bb.33:                               ;   in Loop: Header=BB65_5 Depth=1
	s_or_b32 exec_lo, exec_lo, s20
	s_and_saveexec_b32 s20, s2
	s_cbranch_execnz .LBB65_41
.LBB65_34:                              ;   in Loop: Header=BB65_5 Depth=1
	s_or_b32 exec_lo, exec_lo, s20
	s_and_saveexec_b32 s20, s2
	s_cbranch_execnz .LBB65_42
.LBB65_35:                              ;   in Loop: Header=BB65_5 Depth=1
	s_or_b32 exec_lo, exec_lo, s20
	s_and_saveexec_b32 s20, s2
	s_cbranch_execnz .LBB65_43
.LBB65_36:                              ;   in Loop: Header=BB65_5 Depth=1
	s_or_b32 exec_lo, exec_lo, s20
	s_and_saveexec_b32 s20, s2
	s_cbranch_execnz .LBB65_44
.LBB65_37:                              ;   in Loop: Header=BB65_5 Depth=1
	s_or_b32 exec_lo, exec_lo, s20
	s_and_saveexec_b32 s20, s2
	s_cbranch_execnz .LBB65_45
.LBB65_38:                              ;   in Loop: Header=BB65_5 Depth=1
	s_or_b32 exec_lo, exec_lo, s20
	s_and_saveexec_b32 s20, s2
	s_cbranch_execnz .LBB65_46
.LBB65_39:                              ;   in Loop: Header=BB65_5 Depth=1
	s_or_b32 exec_lo, exec_lo, s20
	s_and_saveexec_b32 s20, s2
	s_cbranch_execz .LBB65_3
	s_branch .LBB65_47
.LBB65_40:                              ;   in Loop: Header=BB65_5 Depth=1
	v_add_nc_u64_e32 v[6:7], v[26:27], v[24:25]
	v_add_nc_u64_e32 v[8:9], v[28:29], v[24:25]
	v_dual_mov_b32 v5, v2 :: v_dual_mov_b32 v11, v2
	v_dual_mov_b32 v13, v2 :: v_dual_mov_b32 v14, v2
	v_mov_b32_e32 v15, v2
	global_load_b32 v4, v[6:7], off
	global_load_b32 v12, v[8:9], off
	s_wait_xcnt 0x1
	v_dual_mov_b32 v6, v2 :: v_dual_mov_b32 v7, v2
	s_wait_xcnt 0x0
	v_dual_mov_b32 v8, v2 :: v_dual_mov_b32 v9, v2
	v_dual_mov_b32 v10, v2 :: v_dual_mov_b32 v16, v2
	;; [unrolled: 1-line block ×3, first 2 shown]
	v_mov_b32_e32 v19, v2
	s_or_b32 exec_lo, exec_lo, s20
	s_and_saveexec_b32 s20, s2
	s_cbranch_execz .LBB65_34
.LBB65_41:                              ;   in Loop: Header=BB65_5 Depth=1
	v_add_nc_u64_e32 v[58:59], v[54:55], v[24:25]
	v_add_nc_u64_e32 v[64:65], v[56:57], v[24:25]
	global_load_b32 v5, v[58:59], off
	global_load_b32 v13, v[64:65], off
	s_wait_xcnt 0x0
	s_or_b32 exec_lo, exec_lo, s20
	s_and_saveexec_b32 s20, s2
	s_cbranch_execz .LBB65_35
.LBB65_42:                              ;   in Loop: Header=BB65_5 Depth=1
	v_add_nc_u64_e32 v[58:59], v[50:51], v[24:25]
	v_add_nc_u64_e32 v[64:65], v[52:53], v[24:25]
	global_load_b32 v6, v[58:59], off
	global_load_b32 v14, v[64:65], off
	s_wait_xcnt 0x0
	s_or_b32 exec_lo, exec_lo, s20
	s_and_saveexec_b32 s20, s2
	s_cbranch_execz .LBB65_36
.LBB65_43:                              ;   in Loop: Header=BB65_5 Depth=1
	v_add_nc_u64_e32 v[58:59], v[46:47], v[24:25]
	v_add_nc_u64_e32 v[64:65], v[48:49], v[24:25]
	global_load_b32 v7, v[58:59], off
	global_load_b32 v15, v[64:65], off
	s_wait_xcnt 0x0
	s_or_b32 exec_lo, exec_lo, s20
	s_and_saveexec_b32 s20, s2
	s_cbranch_execz .LBB65_37
.LBB65_44:                              ;   in Loop: Header=BB65_5 Depth=1
	v_add_nc_u64_e32 v[58:59], v[42:43], v[24:25]
	v_add_nc_u64_e32 v[64:65], v[44:45], v[24:25]
	global_load_b32 v8, v[58:59], off
	global_load_b32 v16, v[64:65], off
	s_wait_xcnt 0x0
	s_or_b32 exec_lo, exec_lo, s20
	s_and_saveexec_b32 s20, s2
	s_cbranch_execz .LBB65_38
.LBB65_45:                              ;   in Loop: Header=BB65_5 Depth=1
	v_add_nc_u64_e32 v[58:59], v[38:39], v[24:25]
	v_add_nc_u64_e32 v[64:65], v[40:41], v[24:25]
	global_load_b32 v9, v[58:59], off
	global_load_b32 v17, v[64:65], off
	s_wait_xcnt 0x0
	s_or_b32 exec_lo, exec_lo, s20
	s_and_saveexec_b32 s20, s2
	s_cbranch_execz .LBB65_39
.LBB65_46:                              ;   in Loop: Header=BB65_5 Depth=1
	v_add_nc_u64_e32 v[58:59], v[34:35], v[24:25]
	v_add_nc_u64_e32 v[64:65], v[36:37], v[24:25]
	global_load_b32 v10, v[58:59], off
	global_load_b32 v18, v[64:65], off
	s_wait_xcnt 0x0
	s_or_b32 exec_lo, exec_lo, s20
	s_and_saveexec_b32 s20, s2
	s_cbranch_execz .LBB65_3
.LBB65_47:                              ;   in Loop: Header=BB65_5 Depth=1
	v_add_nc_u64_e32 v[58:59], v[30:31], v[24:25]
	v_add_nc_u64_e32 v[64:65], v[32:33], v[24:25]
	global_load_b32 v11, v[58:59], off
	global_load_b32 v19, v[64:65], off
	s_branch .LBB65_3
.LBB65_48:
                                        ; implicit-def: $vgpr21
	s_branch .LBB65_50
.LBB65_49:
	s_cbranch_execnz .LBB65_81
.LBB65_50:
	v_mov_b32_e32 v21, 0
	s_and_not1_b32 vcc_lo, exec_lo, s17
	s_delay_alu instid0(VALU_DEP_1)
	v_mov_b32_e32 v20, v21
	s_cbranch_vccnz .LBB65_81
; %bb.51:
	v_bfe_u32 v1, v0, 10, 10
	v_mov_b32_e32 v2, 0
	v_and_b32_e32 v88, 0x3ff, v0
	s_load_b32 s2, s[0:1], 0x44
	s_mov_b64 s[22:23], 0xffffffffffffffc3
	s_delay_alu instid0(VALU_DEP_2) | instskip(SKIP_3) | instid1(VALU_DEP_2)
	v_dual_mov_b32 v5, v2 :: v_dual_lshlrev_b32 v4, 5, v1
	v_dual_mov_b32 v23, v2 :: v_dual_lshlrev_b32 v22, 3, v1
	s_mov_b64 s[24:25], 0xffffffffffffffc4
	s_mov_b64 s[26:27], 0xffffffffffffffc5
	v_lshl_add_u64 v[4:5], s[18:19], 2, v[4:5]
	s_mov_b64 s[28:29], 0xffffffffffffffc6
	v_add_nc_u64_e32 v[8:9], s[18:19], v[22:23]
	s_mov_b64 s[30:31], 0xffffffffffffffc7
	s_mov_b64 s[34:35], 0xffffffffffffffc8
	v_add_nc_u64_e32 v[6:7], 4, v[4:5]
	v_add_nc_u64_e32 v[10:11], 8, v[4:5]
	;; [unrolled: 1-line block ×4, first 2 shown]
	v_mul_u64_e32 v[20:21], s[6:7], v[8:9]
	v_add_nc_u64_e32 v[44:45], 4, v[8:9]
	v_add_nc_u64_e32 v[16:17], 20, v[4:5]
	v_mad_nc_u64_u32 v[24:25], s6, v6, s[8:9]
	v_mul_lo_u32 v3, s6, v7
	v_mul_lo_u32 v42, s7, v6
	v_mad_nc_u64_u32 v[34:35], s6, v6, s[10:11]
	v_add_nc_u64_e32 v[6:7], 7, v[8:9]
	v_mad_nc_u64_u32 v[26:27], s6, v10, s[8:9]
	v_mul_lo_u32 v43, s6, v11
	v_mul_lo_u32 v46, s7, v10
	v_mad_nc_u64_u32 v[36:37], s6, v10, s[10:11]
	v_mad_nc_u64_u32 v[28:29], s6, v12, s[8:9]
	v_mul_lo_u32 v52, s6, v13
	v_mul_lo_u32 v53, s7, v12
	v_mad_nc_u64_u32 v[40:41], s6, v12, s[10:11]
	v_add_nc_u64_e32 v[10:11], 6, v[8:9]
	v_mul_u64_e32 v[6:7], s[6:7], v[6:7]
	v_add_nc_u64_e32 v[12:13], 5, v[8:9]
	v_mad_nc_u64_u32 v[30:31], s6, v14, s[8:9]
	v_mul_lo_u32 v54, s6, v15
	v_mul_lo_u32 v55, s7, v14
	v_add3_u32 v25, v42, v25, v3
	v_add3_u32 v27, v46, v27, v43
	;; [unrolled: 1-line block ×3, first 2 shown]
	v_mul_u64_e32 v[10:11], s[6:7], v[10:11]
	v_add3_u32 v37, v46, v37, v43
	v_mad_nc_u64_u32 v[42:43], s6, v14, s[10:11]
	v_add_nc_u64_e32 v[14:15], 3, v[8:9]
	v_add_nc_u64_e32 v[8:9], 2, v[8:9]
	v_mul_u64_e32 v[12:13], s[6:7], v[12:13]
	v_mul_u64_e32 v[62:63], s[6:7], v[44:45]
	v_add_nc_u64_e32 v[18:19], 24, v[4:5]
	v_add_nc_u64_e32 v[4:5], 28, v[4:5]
	v_mad_nc_u64_u32 v[32:33], s6, v16, s[8:9]
	v_mul_u64_e32 v[14:15], s[6:7], v[14:15]
	v_mul_u64_e32 v[8:9], s[6:7], v[8:9]
	v_mul_lo_u32 v17, s6, v17
	v_mul_lo_u32 v56, s7, v16
	v_mad_nc_u64_u32 v[44:45], s6, v16, s[10:11]
	v_mad_nc_u64_u32 v[46:47], s6, v4, s[8:9]
	v_mul_lo_u32 v3, s6, v5
	v_mul_lo_u32 v16, s7, v4
	v_mad_nc_u64_u32 v[50:51], s6, v4, s[10:11]
	v_dual_mov_b32 v5, v2 :: v_dual_add_nc_u32 v4, s3, v88
	v_add3_u32 v29, v53, v29, v52
	v_add3_u32 v41, v53, v41, v52
	v_mad_nc_u64_u32 v[38:39], s6, v18, s[8:9]
	v_lshlrev_b64_e32 v[6:7], 2, v[6:7]
	v_add3_u32 v33, v56, v33, v17
	v_add3_u32 v45, v56, v45, v17
	v_mul_lo_u32 v19, s6, v19
	v_add3_u32 v47, v16, v47, v3
	v_add3_u32 v51, v16, v51, v3
	v_lshlrev_b64_e32 v[16:17], 2, v[20:21]
	v_add_nc_u64_e32 v[58:59], s[8:9], v[6:7]
	v_add_nc_u64_e32 v[60:61], s[10:11], v[6:7]
	v_mul_lo_u32 v57, s7, v18
	v_mad_nc_u64_u32 v[48:49], s6, v18, s[10:11]
	s_mov_b32 s3, 0
	v_add3_u32 v31, v55, v31, v54
	v_lshlrev_b64_e32 v[6:7], 2, v[12:13]
	v_add_nc_u64_e32 v[12:13], s[6:7], v[20:21]
	v_mov_b32_e32 v20, 0
	v_lshlrev_b64_e32 v[52:53], 2, v[4:5]
	v_lshlrev_b64_e32 v[4:5], 2, v[10:11]
	;; [unrolled: 1-line block ×4, first 2 shown]
	v_add_nc_u64_e32 v[66:67], s[8:9], v[6:7]
	v_add_nc_u64_e32 v[68:69], s[10:11], v[6:7]
	v_lshlrev_b64_e32 v[6:7], 2, v[12:13]
	v_add3_u32 v43, v55, v43, v54
	v_add_nc_u64_e32 v[62:63], s[8:9], v[4:5]
	v_add_nc_u64_e32 v[64:65], s[10:11], v[4:5]
	v_lshlrev_b64_e32 v[4:5], 2, v[14:15]
	v_add3_u32 v39, v57, v39, v19
	v_add3_u32 v49, v57, v49, v19
	v_add_nc_u64_e32 v[54:55], s[8:9], v[16:17]
	v_add_nc_u64_e32 v[56:57], s[10:11], v[16:17]
	;; [unrolled: 1-line block ×10, first 2 shown]
	s_wait_kmcnt 0x0
	s_lshl_b32 s20, s2, 6
	s_mov_b32 s21, s3
	v_mov_b32_e32 v21, v2
	s_mul_u64 s[38:39], s[6:7], s[20:21]
	s_mov_b64 s[8:9], 0xffffffffffffffc1
	s_mov_b64 s[10:11], 0xffffffffffffffc2
	s_add_nc_u64 s[36:37], s[0:1], 64
	s_lshl_b64 s[38:39], s[38:39], 2
	s_add_nc_u64 s[40:41], s[18:19], 63
	s_branch .LBB65_55
.LBB65_52:                              ;   in Loop: Header=BB65_55 Depth=1
	s_wait_xcnt 0x0
	s_or_b32 exec_lo, exec_lo, s17
.LBB65_53:                              ;   in Loop: Header=BB65_55 Depth=1
	s_delay_alu instid0(SALU_CYCLE_1)
	s_or_b32 exec_lo, exec_lo, s2
	v_add_nc_u64_e32 v[4:5], v[56:57], v[52:53]
	v_add_nc_u64_e32 v[8:9], v[34:35], v[52:53]
	;; [unrolled: 1-line block ×6, first 2 shown]
	s_wait_loadcnt 0x0
	ds_bpermute_b32 v93, v2, v3 offset:4
	global_load_b32 v16, v[4:5], off
	s_wait_xcnt 0x0
	v_add_nc_u64_e32 v[4:5], v[36:37], v[52:53]
	global_load_b32 v18, v[8:9], off
	global_load_b32 v17, v[10:11], off
	s_wait_xcnt 0x1
	v_add_nc_u64_e32 v[8:9], v[26:27], v[52:53]
	s_wait_xcnt 0x0
	v_add_nc_u64_e32 v[10:11], v[28:29], v[52:53]
	ds_bpermute_b32 v94, v2, v6 offset:16
	ds_bpermute_b32 v95, v2, v3 offset:8
	global_load_b32 v86, v[4:5], off
	global_load_b32 v7, v[12:13], off
	s_wait_xcnt 0x1
	v_add_nc_u64_e32 v[4:5], v[42:43], v[52:53]
	global_load_b32 v12, v[14:15], off
	global_load_b32 v13, v[8:9], off
	s_wait_xcnt 0x0
	v_add_nc_u64_e32 v[8:9], v[44:45], v[52:53]
	v_add_nc_u64_e32 v[14:15], v[30:31], v[52:53]
	ds_bpermute_b32 v96, v2, v6 offset:20
	global_load_b32 v89, v[4:5], off
	global_load_b32 v19, v[10:11], off
	s_wait_xcnt 0x1
	v_add_nc_u64_e32 v[4:5], v[48:49], v[52:53]
	s_wait_xcnt 0x0
	v_add_nc_u64_e32 v[10:11], v[32:33], v[52:53]
	global_load_b32 v92, v[8:9], off
	global_load_b32 v87, v[14:15], off
	s_wait_xcnt 0x1
	v_add_nc_u64_e32 v[8:9], v[38:39], v[52:53]
	global_load_b32 v14, v[4:5], off
	global_load_b32 v15, v[10:11], off
	s_wait_xcnt 0x1
	v_add_nc_u64_e32 v[4:5], v[50:51], v[52:53]
	s_wait_xcnt 0x0
	ds_bpermute_b32 v10, v2, v6 offset:8
	global_load_b32 v9, v[8:9], off
	global_load_b32 v8, v[4:5], off
	;; [unrolled: 1-line block ×3, first 2 shown]
	s_wait_xcnt 0x1
	ds_bpermute_b32 v4, v2, v6
	ds_bpermute_b32 v5, v2, v6 offset:4
	s_wait_xcnt 0x0
	ds_bpermute_b32 v90, v2, v3
	ds_bpermute_b32 v91, v2, v6 offset:12
	ds_bpermute_b32 v97, v2, v3 offset:12
	;; [unrolled: 1-line block ×5, first 2 shown]
	s_wait_loadcnt_dscnt 0xe06
	v_dual_sub_f32 v4, v16, v4 :: v_dual_sub_f32 v5, v18, v5
	s_wait_loadcnt 0xc
	s_delay_alu instid0(VALU_DEP_1) | instskip(SKIP_1) | instid1(VALU_DEP_2)
	v_dual_mul_f32 v4, v17, v4 :: v_dual_sub_f32 v10, v86, v10
	s_wait_loadcnt_dscnt 0xa04
	v_dual_mul_f32 v5, v7, v5 :: v_dual_sub_f32 v12, v12, v91
	s_delay_alu instid0(VALU_DEP_2)
	v_mul_f32_e32 v16, v4, v90
	ds_bpermute_b32 v90, v2, v6 offset:28
	s_wait_loadcnt 0x9
	v_mul_f32_e32 v10, v13, v10
	v_mul_f32_e32 v6, v5, v93
	v_pk_add_f32 v[4:5], v[20:21], v[16:17]
	ds_bpermute_b32 v16, v2, v3 offset:24
	s_wait_loadcnt 0x7
	v_dual_sub_f32 v17, v89, v94 :: v_dual_mul_f32 v18, v19, v12
	v_mul_f32_e32 v12, v10, v95
	v_pk_add_f32 v[4:5], v[4:5], v[6:7]
	s_wait_loadcnt 0x5
	s_delay_alu instid0(VALU_DEP_3)
	v_dual_sub_f32 v6, v92, v96 :: v_dual_mul_f32 v7, v87, v17
	s_wait_dscnt 0x5
	v_mul_f32_e32 v18, v18, v97
	ds_bpermute_b32 v3, v2, v3 offset:28
	v_pk_add_f32 v[4:5], v[4:5], v[12:13]
	s_wait_loadcnt_dscnt 0x404
	v_dual_sub_f32 v10, v14, v98 :: v_dual_mul_f32 v86, v7, v99
	s_wait_loadcnt 0x3
	v_mul_f32_e32 v6, v15, v6
	v_pk_add_f32 v[4:5], v[4:5], v[18:19]
	s_wait_loadcnt_dscnt 0x203
	s_delay_alu instid0(VALU_DEP_2)
	v_dual_mul_f32 v7, v9, v10 :: v_dual_mul_f32 v14, v6, v100
	s_wait_loadcnt_dscnt 0x102
	v_sub_f32_e32 v6, v8, v90
	v_pk_add_f32 v[4:5], v[4:5], v[86:87]
	s_wait_dscnt 0x1
	v_mul_f32_e32 v8, v7, v16
	s_wait_loadcnt 0x0
	v_mul_f32_e32 v6, v11, v6
	v_pk_add_f32 v[4:5], v[4:5], v[14:15]
	s_wait_dscnt 0x0
	s_delay_alu instid0(VALU_DEP_2) | instskip(NEXT) | instid1(VALU_DEP_2)
	v_mul_f32_e32 v10, v6, v3
	v_pk_add_f32 v[4:5], v[4:5], v[8:9]
.LBB65_54:                              ;   in Loop: Header=BB65_55 Depth=1
	s_add_nc_u64 s[18:19], s[18:19], s[20:21]
	v_add_nc_u64_e32 v[54:55], s[38:39], v[54:55]
	v_cmp_ge_i64_e64 s2, s[18:19], s[4:5]
	v_add_nc_u64_e32 v[56:57], s[38:39], v[56:57]
	v_add_nc_u64_e32 v[24:25], s[38:39], v[24:25]
	;; [unrolled: 1-line block ×29, first 2 shown]
	v_pk_add_f32 v[20:21], v[4:5], v[10:11]
	s_and_b32 vcc_lo, exec_lo, s2
	s_add_nc_u64 s[40:41], s[40:41], s[20:21]
	s_cbranch_vccnz .LBB65_81
.LBB65_55:                              ; =>This Inner Loop Header: Depth=1
	v_cmp_ge_i64_e64 s2, s[40:41], s[4:5]
	v_add_nc_u64_e32 v[86:87], s[40:41], v[22:23]
                                        ; implicit-def: $vgpr4_vgpr5
                                        ; implicit-def: $vgpr10_vgpr11
	s_and_b32 vcc_lo, exec_lo, s2
	s_mov_b32 s2, -1
	s_cbranch_vccz .LBB65_77
; %bb.56:                               ;   in Loop: Header=BB65_55 Depth=1
	s_load_b32 s2, s[36:37], 0xc
	v_dual_mov_b32 v90, 0 :: v_dual_mov_b32 v89, 0
	s_wait_kmcnt 0x0
	s_and_b32 s2, s2, 0xffff
	s_delay_alu instid0(SALU_CYCLE_1) | instskip(SKIP_1) | instid1(VALU_DEP_1)
	v_mad_u32_u24 v3, v1, s2, v88
	s_mov_b32 s2, exec_lo
	v_and_b32_e32 v4, 31, v3
	s_delay_alu instid0(VALU_DEP_1)
	v_cmpx_gt_u32_e32 8, v4
	s_cbranch_execz .LBB65_60
; %bb.57:                               ;   in Loop: Header=BB65_55 Depth=1
	v_dual_mov_b32 v5, v2 :: v_dual_mov_b32 v90, 0
	v_mov_b32_e32 v89, 0
	s_mov_b32 s17, exec_lo
	s_delay_alu instid0(VALU_DEP_2) | instskip(NEXT) | instid1(VALU_DEP_1)
	v_add_nc_u64_e32 v[4:5], v[86:87], v[4:5]
	v_add_nc_u64_e32 v[4:5], s[8:9], v[4:5]
	s_delay_alu instid0(VALU_DEP_1)
	v_cmpx_gt_i64_e64 s[4:5], v[4:5]
	s_cbranch_execz .LBB65_59
; %bb.58:                               ;   in Loop: Header=BB65_55 Depth=1
	v_lshlrev_b64_e32 v[4:5], 2, v[4:5]
	s_delay_alu instid0(VALU_DEP_1)
	v_add_nc_u64_e32 v[6:7], s[12:13], v[4:5]
	v_add_nc_u64_e32 v[4:5], s[14:15], v[4:5]
	global_load_b32 v90, v[6:7], off
	global_load_b32 v89, v[4:5], off
.LBB65_59:                              ;   in Loop: Header=BB65_55 Depth=1
	s_wait_xcnt 0x0
	s_or_b32 exec_lo, exec_lo, s17
.LBB65_60:                              ;   in Loop: Header=BB65_55 Depth=1
	s_delay_alu instid0(SALU_CYCLE_1)
	s_or_b32 exec_lo, exec_lo, s2
	v_add_nc_u64_e32 v[10:11], s[8:9], v[86:87]
	v_dual_mov_b32 v7, v2 :: v_dual_mov_b32 v8, v2
	v_dual_mov_b32 v9, v2 :: v_dual_mov_b32 v3, v2
	;; [unrolled: 1-line block ×3, first 2 shown]
	v_mov_b32_e32 v6, v2
	s_delay_alu instid0(VALU_DEP_3)
	v_mov_b64_e32 v[18:19], v[8:9]
	v_cmp_gt_i64_e32 vcc_lo, s[4:5], v[10:11]
	v_mov_b64_e32 v[12:13], v[2:3]
	v_mov_b64_e32 v[14:15], v[4:5]
	;; [unrolled: 1-line block ×7, first 2 shown]
	s_and_saveexec_b32 s2, vcc_lo
	s_cbranch_execz .LBB65_62
; %bb.61:                               ;   in Loop: Header=BB65_55 Depth=1
	v_add_nc_u64_e32 v[6:7], v[54:55], v[52:53]
	v_add_nc_u64_e32 v[8:9], v[56:57], v[52:53]
	v_dual_mov_b32 v5, v2 :: v_dual_mov_b32 v11, v2
	v_dual_mov_b32 v13, v2 :: v_dual_mov_b32 v14, v2
	v_mov_b32_e32 v15, v2
	global_load_b32 v4, v[6:7], off
	global_load_b32 v12, v[8:9], off
	s_wait_xcnt 0x1
	v_dual_mov_b32 v6, v2 :: v_dual_mov_b32 v7, v2
	s_wait_xcnt 0x0
	v_dual_mov_b32 v8, v2 :: v_dual_mov_b32 v9, v2
	v_dual_mov_b32 v10, v2 :: v_dual_mov_b32 v16, v2
	;; [unrolled: 1-line block ×3, first 2 shown]
	v_mov_b32_e32 v19, v2
.LBB65_62:                              ;   in Loop: Header=BB65_55 Depth=1
	s_or_b32 exec_lo, exec_lo, s2
	v_add_nc_u64_e32 v[92:93], s[10:11], v[86:87]
	s_mov_b32 s2, exec_lo
	s_delay_alu instid0(VALU_DEP_1)
	v_cmpx_gt_i64_e64 s[4:5], v[92:93]
	s_cbranch_execz .LBB65_64
; %bb.63:                               ;   in Loop: Header=BB65_55 Depth=1
	v_add_nc_u64_e32 v[92:93], v[82:83], v[52:53]
	v_add_nc_u64_e32 v[94:95], v[84:85], v[52:53]
	global_load_b32 v5, v[92:93], off
	global_load_b32 v13, v[94:95], off
.LBB65_64:                              ;   in Loop: Header=BB65_55 Depth=1
	s_wait_xcnt 0x0
	s_or_b32 exec_lo, exec_lo, s2
	v_add_nc_u64_e32 v[92:93], s[22:23], v[86:87]
	s_mov_b32 s2, exec_lo
	s_delay_alu instid0(VALU_DEP_1)
	v_cmpx_gt_i64_e64 s[4:5], v[92:93]
	s_cbranch_execz .LBB65_66
; %bb.65:                               ;   in Loop: Header=BB65_55 Depth=1
	v_add_nc_u64_e32 v[92:93], v[78:79], v[52:53]
	v_add_nc_u64_e32 v[94:95], v[80:81], v[52:53]
	global_load_b32 v6, v[92:93], off
	global_load_b32 v14, v[94:95], off
.LBB65_66:                              ;   in Loop: Header=BB65_55 Depth=1
	s_wait_xcnt 0x0
	;; [unrolled: 13-line block ×7, first 2 shown]
	s_or_b32 exec_lo, exec_lo, s2
	s_wait_loadcnt 0x1
	ds_bpermute_b32 v3, v2, v90
	ds_bpermute_b32 v92, v2, v90 offset:4
	ds_bpermute_b32 v94, v2, v90 offset:8
	s_wait_loadcnt 0x0
	ds_bpermute_b32 v96, v2, v89
	ds_bpermute_b32 v97, v2, v90 offset:12
	ds_bpermute_b32 v98, v2, v89 offset:4
	;; [unrolled: 1-line block ×7, first 2 shown]
	v_dual_mov_b32 v93, v4 :: v_dual_mov_b32 v91, v6
	ds_bpermute_b32 v105, v2, v90 offset:24
	ds_bpermute_b32 v103, v2, v89 offset:20
	s_mov_b32 s2, 0
	s_wait_dscnt 0xc
	v_dual_mov_b32 v95, v5 :: v_dual_sub_f32 v3, v12, v3
	s_wait_dscnt 0xb
	v_dual_sub_f32 v12, v13, v92 :: v_dual_mov_b32 v13, v7
	s_wait_dscnt 0xa
	s_delay_alu instid0(VALU_DEP_2) | instskip(SKIP_1) | instid1(VALU_DEP_2)
	v_dual_mul_f32 v3, v4, v3 :: v_dual_sub_f32 v4, v14, v94
	s_wait_dscnt 0x8
	v_dual_mul_f32 v5, v5, v12 :: v_dual_sub_f32 v12, v15, v97
	ds_bpermute_b32 v14, v2, v90 offset:28
	v_mul_f32_e32 v92, v3, v96
	s_wait_dscnt 0x6
	v_dual_mul_f32 v6, v6, v4 :: v_dual_sub_f32 v15, v16, v102
	v_mul_f32_e32 v94, v5, v98
	ds_bpermute_b32 v3, v2, v89 offset:24
	v_pk_add_f32 v[4:5], v[20:21], v[92:93]
	v_dual_mul_f32 v12, v7, v12 :: v_dual_mul_f32 v90, v6, v99
	s_wait_dscnt 0x5
	v_dual_mov_b32 v7, v8 :: v_dual_sub_f32 v6, v17, v104
	s_delay_alu instid0(VALU_DEP_3) | instskip(SKIP_2) | instid1(VALU_DEP_3)
	v_pk_add_f32 v[4:5], v[94:95], v[4:5]
	s_wait_dscnt 0x3
	v_dual_mul_f32 v8, v8, v15 :: v_dual_sub_f32 v16, v18, v105
	v_dual_mul_f32 v12, v12, v100 :: v_dual_mul_f32 v17, v9, v6
	s_delay_alu instid0(VALU_DEP_3)
	v_pk_add_f32 v[4:5], v[90:91], v[4:5]
	ds_bpermute_b32 v15, v2, v89 offset:28
	s_wait_dscnt 0x3
	v_dual_mul_f32 v6, v8, v101 :: v_dual_mul_f32 v8, v17, v103
	v_pk_add_f32 v[4:5], v[12:13], v[4:5]
	s_wait_dscnt 0x2
	v_dual_mul_f32 v12, v10, v16 :: v_dual_sub_f32 v13, v19, v14
	s_delay_alu instid0(VALU_DEP_2) | instskip(SKIP_1) | instid1(VALU_DEP_2)
	v_pk_add_f32 v[4:5], v[6:7], v[4:5]
	s_wait_dscnt 0x1
	v_dual_mov_b32 v7, v10 :: v_dual_mul_f32 v6, v12, v3
	s_delay_alu instid0(VALU_DEP_3) | instskip(NEXT) | instid1(VALU_DEP_3)
	v_mul_f32_e32 v3, v11, v13
	v_pk_add_f32 v[4:5], v[8:9], v[4:5]
	s_delay_alu instid0(VALU_DEP_1) | instskip(SKIP_1) | instid1(VALU_DEP_3)
	v_pk_add_f32 v[4:5], v[6:7], v[4:5]
	s_wait_dscnt 0x0
	v_mul_f32_e32 v10, v3, v15
.LBB65_77:                              ;   in Loop: Header=BB65_55 Depth=1
	s_and_b32 vcc_lo, exec_lo, s2
	s_cbranch_vccz .LBB65_54
; %bb.78:                               ;   in Loop: Header=BB65_55 Depth=1
	s_load_b32 s2, s[36:37], 0x0
	v_mov_b32_e32 v6, 0
	s_wait_kmcnt 0x0
	s_cmp_lt_u32 s16, s2
	s_cselect_b32 s2, 12, 18
	s_delay_alu instid0(SALU_CYCLE_1) | instskip(SKIP_4) | instid1(VALU_DEP_1)
	s_add_nc_u64 s[42:43], s[36:37], s[2:3]
	s_load_u16 s2, s[42:43], 0x0
	s_wait_kmcnt 0x0
	v_mad_u32_u24 v3, v1, s2, v88
	s_mov_b32 s2, exec_lo
	v_dual_mov_b32 v3, 0 :: v_dual_bitop2_b32 v4, 31, v3 bitop3:0x40
	s_delay_alu instid0(VALU_DEP_1)
	v_cmpx_gt_u32_e32 8, v4
	s_cbranch_execz .LBB65_53
; %bb.79:                               ;   in Loop: Header=BB65_55 Depth=1
	v_dual_mov_b32 v5, v2 :: v_dual_mov_b32 v6, 0
	v_mov_b32_e32 v3, 0
	s_mov_b32 s17, exec_lo
	s_delay_alu instid0(VALU_DEP_2) | instskip(NEXT) | instid1(VALU_DEP_1)
	v_add_nc_u64_e32 v[4:5], v[86:87], v[4:5]
	v_add_nc_u64_e32 v[4:5], s[8:9], v[4:5]
	s_delay_alu instid0(VALU_DEP_1)
	v_cmpx_gt_i64_e64 s[4:5], v[4:5]
	s_cbranch_execz .LBB65_52
; %bb.80:                               ;   in Loop: Header=BB65_55 Depth=1
	v_lshlrev_b64_e32 v[4:5], 2, v[4:5]
	s_delay_alu instid0(VALU_DEP_1)
	v_add_nc_u64_e32 v[8:9], s[12:13], v[4:5]
	v_add_nc_u64_e32 v[4:5], s[14:15], v[4:5]
	global_load_b32 v6, v[8:9], off
	global_load_b32 v3, v[4:5], off
	s_branch .LBB65_52
.LBB65_81:
	v_and_b32_e32 v1, 0x3ff, v0
	v_bfe_u32 v2, v0, 10, 10
	v_bfe_u32 v0, v0, 5, 5
	s_mov_b32 s2, exec_lo
	s_delay_alu instid0(VALU_DEP_2) | instskip(NEXT) | instid1(VALU_DEP_2)
	v_mad_u32_u24 v3, v2, 33, v1
	v_add_nc_u32_e32 v0, v0, v2
	s_delay_alu instid0(VALU_DEP_2)
	v_lshl_add_u32 v2, v3, 2, 0
	ds_store_b32 v2, v20
	ds_store_b32 v2, v21 offset:1056
	s_wait_dscnt 0x0
	s_barrier_signal -1
	s_barrier_wait -1
	v_cmpx_gt_u32_e32 32, v0
	s_cbranch_execz .LBB65_113
; %bb.82:
	s_load_b128 s[8:11], s[0:1], 0x30
	v_and_b32_e32 v2, 31, v1
	s_delay_alu instid0(VALU_DEP_1)
	v_cmp_lt_u32_e64 s2, 7, v2
	s_wait_xcnt 0x0
	v_cmp_gt_u32_e64 s0, 8, v2
	v_mul_u32_u24_e32 v6, 33, v2
                                        ; implicit-def: $vgpr2
	s_and_saveexec_b32 s1, s0
	s_cbranch_execz .LBB65_84
; %bb.83:
	s_delay_alu instid0(VALU_DEP_1) | instskip(NEXT) | instid1(VALU_DEP_1)
	v_add_nc_u32_e32 v2, v0, v6
	v_lshl_add_u32 v2, v2, 2, 0
	ds_load_b32 v3, v2
	ds_load_b32 v2, v2 offset:1056
.LBB65_84:
	s_or_b32 exec_lo, exec_lo, s1
	v_mbcnt_lo_u32_b32 v9, -1, 0
	s_mov_b32 s17, 0
	v_cmp_eq_u32_e64 s1, 0, v1
	s_lshl_b64 s[4:5], s[16:17], 5
	s_wait_kmcnt 0x0
	s_cmp_lg_u64 s[8:9], 0
	v_xor_b32_e32 v8, 2, v9
	v_xor_b32_e32 v4, 4, v9
	s_cselect_b32 s12, -1, 0
	s_cmp_lg_u64 s[10:11], 0
	v_xor_b32_e32 v10, 1, v9
	s_cselect_b32 s3, -1, 0
	v_cmp_gt_i32_e32 vcc_lo, 32, v4
	v_dual_mov_b32 v1, 0 :: v_dual_cndmask_b32 v4, v9, v4
	v_cmp_gt_i32_e32 vcc_lo, 32, v8
	v_cndmask_b32_e32 v8, v9, v8, vcc_lo
	v_cmp_gt_i32_e32 vcc_lo, 32, v10
	s_delay_alu instid0(VALU_DEP_4) | instskip(NEXT) | instid1(VALU_DEP_3)
	v_lshlrev_b32_e32 v7, 2, v4
	v_dual_cndmask_b32 v9, v9, v10 :: v_dual_lshlrev_b32 v8, 2, v8
	s_wait_dscnt 0x1
	ds_bpermute_b32 v5, v7, v3
	s_wait_dscnt 0x1
	ds_bpermute_b32 v4, v7, v2
	v_lshlrev_b32_e32 v9, 2, v9
	s_wait_dscnt 0x0
	v_pk_add_f32 v[2:3], v[2:3], v[4:5]
	ds_bpermute_b32 v5, v8, v3
	ds_bpermute_b32 v4, v8, v2
	s_wait_dscnt 0x0
	v_pk_add_f32 v[2:3], v[2:3], v[4:5]
	v_dual_mov_b32 v5, s5 :: v_dual_bitop2_b32 v4, s4, v0 bitop3:0x54
	ds_bpermute_b32 v11, v9, v3
	ds_bpermute_b32 v10, v9, v2
	v_cmp_gt_i64_e32 vcc_lo, s[6:7], v[4:5]
	s_and_b32 s14, s1, vcc_lo
	s_wait_dscnt 0x0
	v_pk_add_f32 v[2:3], v[2:3], v[10:11]
	s_and_saveexec_b32 s13, s14
	s_cbranch_execz .LBB65_89
; %bb.85:
	s_and_not1_b32 vcc_lo, exec_lo, s12
	s_cbranch_vccnz .LBB65_87
; %bb.86:
	v_lshl_add_u64 v[10:11], v[4:5], 2, s[8:9]
	global_store_b32 v[10:11], v3, off
.LBB65_87:
	s_and_not1_b32 vcc_lo, exec_lo, s3
	s_cbranch_vccnz .LBB65_89
; %bb.88:
	v_lshl_add_u64 v[4:5], v[4:5], 2, s[10:11]
	global_store_b32 v[4:5], v2, off
.LBB65_89:
	s_wait_xcnt 0x0
	s_or_b32 exec_lo, exec_lo, s13
	v_cmp_gt_u32_e32 vcc_lo, 24, v0
	s_and_b32 exec_lo, exec_lo, vcc_lo
	s_cbranch_execz .LBB65_113
; %bb.90:
	s_and_saveexec_b32 s13, s2
	s_delay_alu instid0(SALU_CYCLE_1) | instskip(NEXT) | instid1(SALU_CYCLE_1)
	s_xor_b32 s13, exec_lo, s13
	s_and_not1_saveexec_b32 s13, s13
	s_cbranch_execz .LBB65_92
; %bb.91:
	v_add_nc_u32_e32 v2, v0, v6
	s_delay_alu instid0(VALU_DEP_1)
	v_lshl_add_u32 v2, v2, 2, 0
	ds_load_b32 v3, v2 offset:32
	ds_load_b32 v2, v2 offset:1088
.LBB65_92:
	s_or_b32 exec_lo, exec_lo, s13
	s_wait_dscnt 0x1
	ds_bpermute_b32 v5, v7, v3
	s_wait_dscnt 0x1
	ds_bpermute_b32 v4, v7, v2
	v_dual_mov_b32 v11, 0 :: v_dual_add_nc_u32 v10, 8, v0
	s_delay_alu instid0(VALU_DEP_1) | instskip(NEXT) | instid1(VALU_DEP_1)
	v_add_nc_u64_e32 v[10:11], s[4:5], v[10:11]
	v_cmp_gt_i64_e32 vcc_lo, s[6:7], v[10:11]
	s_wait_dscnt 0x0
	v_pk_add_f32 v[2:3], v[2:3], v[4:5]
	s_and_b32 s14, s1, vcc_lo
	ds_bpermute_b32 v5, v8, v3
	ds_bpermute_b32 v4, v8, v2
	s_wait_dscnt 0x0
	v_pk_add_f32 v[2:3], v[2:3], v[4:5]
	ds_bpermute_b32 v5, v9, v3
	ds_bpermute_b32 v4, v9, v2
	s_wait_dscnt 0x0
	v_pk_add_f32 v[2:3], v[2:3], v[4:5]
	s_and_saveexec_b32 s13, s14
	s_cbranch_execz .LBB65_97
; %bb.93:
	s_and_not1_b32 vcc_lo, exec_lo, s12
	s_cbranch_vccnz .LBB65_95
; %bb.94:
	v_add_nc_u64_e32 v[4:5], s[4:5], v[0:1]
	s_delay_alu instid0(VALU_DEP_1)
	v_lshl_add_u64 v[4:5], v[4:5], 2, s[8:9]
	global_store_b32 v[4:5], v3, off offset:32
.LBB65_95:
	s_and_not1_b32 vcc_lo, exec_lo, s3
	s_cbranch_vccnz .LBB65_97
; %bb.96:
	s_wait_xcnt 0x0
	v_add_nc_u64_e32 v[4:5], s[4:5], v[0:1]
	s_delay_alu instid0(VALU_DEP_1)
	v_lshl_add_u64 v[4:5], v[4:5], 2, s[10:11]
	global_store_b32 v[4:5], v2, off offset:32
.LBB65_97:
	s_wait_xcnt 0x0
	s_or_b32 exec_lo, exec_lo, s13
	v_cmp_gt_u32_e32 vcc_lo, 16, v0
	s_and_b32 exec_lo, exec_lo, vcc_lo
	s_cbranch_execz .LBB65_113
; %bb.98:
	s_and_saveexec_b32 s13, s2
	s_delay_alu instid0(SALU_CYCLE_1) | instskip(NEXT) | instid1(SALU_CYCLE_1)
	s_xor_b32 s2, exec_lo, s13
	s_and_not1_saveexec_b32 s2, s2
	s_cbranch_execz .LBB65_100
; %bb.99:
	v_add_nc_u32_e32 v2, v0, v6
	s_delay_alu instid0(VALU_DEP_1)
	v_lshl_add_u32 v2, v2, 2, 0
	ds_load_b32 v3, v2 offset:64
	ds_load_b32 v2, v2 offset:1120
.LBB65_100:
	s_or_b32 exec_lo, exec_lo, s2
	s_wait_dscnt 0x1
	ds_bpermute_b32 v5, v7, v3
	s_wait_dscnt 0x1
	ds_bpermute_b32 v4, v7, v2
	v_dual_mov_b32 v11, s5 :: v_dual_add_nc_u32 v10, 16, v0
	s_delay_alu instid0(VALU_DEP_1) | instskip(NEXT) | instid1(VALU_DEP_1)
	v_or_b32_e32 v10, s4, v10
	v_cmp_gt_i64_e32 vcc_lo, s[6:7], v[10:11]
	s_and_b32 s13, s1, vcc_lo
	s_wait_dscnt 0x0
	v_pk_add_f32 v[2:3], v[2:3], v[4:5]
	ds_bpermute_b32 v5, v8, v3
	ds_bpermute_b32 v4, v8, v2
	s_wait_dscnt 0x0
	v_pk_add_f32 v[2:3], v[2:3], v[4:5]
	ds_bpermute_b32 v5, v9, v3
	ds_bpermute_b32 v4, v9, v2
	s_wait_dscnt 0x0
	v_pk_add_f32 v[2:3], v[2:3], v[4:5]
	s_and_saveexec_b32 s2, s13
	s_cbranch_execz .LBB65_105
; %bb.101:
	s_and_not1_b32 vcc_lo, exec_lo, s12
	s_cbranch_vccnz .LBB65_103
; %bb.102:
	v_add_nc_u64_e32 v[4:5], s[4:5], v[0:1]
	s_delay_alu instid0(VALU_DEP_1)
	v_lshl_add_u64 v[4:5], v[4:5], 2, s[8:9]
	global_store_b32 v[4:5], v3, off offset:64
.LBB65_103:
	s_and_not1_b32 vcc_lo, exec_lo, s3
	s_cbranch_vccnz .LBB65_105
; %bb.104:
	s_wait_xcnt 0x0
	v_add_nc_u64_e32 v[4:5], s[4:5], v[0:1]
	s_delay_alu instid0(VALU_DEP_1)
	v_lshl_add_u64 v[4:5], v[4:5], 2, s[10:11]
	global_store_b32 v[4:5], v2, off offset:64
.LBB65_105:
	s_wait_xcnt 0x0
	s_or_b32 exec_lo, exec_lo, s2
	v_cmp_gt_u32_e32 vcc_lo, 8, v0
	s_and_b32 exec_lo, exec_lo, vcc_lo
	s_cbranch_execz .LBB65_113
; %bb.106:
	s_and_saveexec_b32 s2, s0
	s_cbranch_execz .LBB65_108
; %bb.107:
	v_add_nc_u32_e32 v2, v0, v6
	s_delay_alu instid0(VALU_DEP_1)
	v_lshl_add_u32 v2, v2, 2, 0
	ds_load_b32 v3, v2 offset:96
	ds_load_b32 v2, v2 offset:1152
.LBB65_108:
	s_or_b32 exec_lo, exec_lo, s2
	s_wait_dscnt 0x1
	ds_bpermute_b32 v4, v7, v3
	s_wait_dscnt 0x1
	ds_bpermute_b32 v5, v7, v2
	v_dual_mov_b32 v7, s5 :: v_dual_add_nc_u32 v6, 24, v0
	s_delay_alu instid0(VALU_DEP_1) | instskip(NEXT) | instid1(VALU_DEP_1)
	v_or_b32_e32 v6, s4, v6
	v_cmp_gt_i64_e32 vcc_lo, s[6:7], v[6:7]
	s_and_b32 s0, s1, vcc_lo
	s_wait_dscnt 0x0
	v_dual_add_f32 v3, v3, v4 :: v_dual_add_f32 v2, v2, v5
	ds_bpermute_b32 v4, v8, v3
	ds_bpermute_b32 v5, v8, v2
	s_wait_dscnt 0x0
	v_dual_add_f32 v4, v3, v4 :: v_dual_add_f32 v2, v2, v5
	ds_bpermute_b32 v5, v9, v4
	ds_bpermute_b32 v3, v9, v2
	s_and_b32 exec_lo, exec_lo, s0
	s_cbranch_execz .LBB65_113
; %bb.109:
	v_add_nc_u64_e32 v[0:1], s[4:5], v[0:1]
	s_and_not1_b32 vcc_lo, exec_lo, s12
	s_cbranch_vccnz .LBB65_111
; %bb.110:
	s_wait_dscnt 0x1
	v_add_f32_e32 v6, v4, v5
	s_delay_alu instid0(VALU_DEP_2)
	v_lshl_add_u64 v[4:5], v[0:1], 2, s[8:9]
	global_store_b32 v[4:5], v6, off offset:96
.LBB65_111:
	s_and_not1_b32 vcc_lo, exec_lo, s3
	s_cbranch_vccnz .LBB65_113
; %bb.112:
	s_wait_dscnt 0x0
	v_add_f32_e32 v2, v2, v3
	v_lshl_add_u64 v[0:1], v[0:1], 2, s[10:11]
	global_store_b32 v[0:1], v2, off offset:96
.LBB65_113:
	s_sendmsg sendmsg(MSG_DEALLOC_VGPRS)
	s_endpgm
	.section	.rodata,"a",@progbits
	.p2align	6, 0x0
	.amdhsa_kernel _ZN2at6native12_GLOBAL__N_135GammaBetaBackwardCUDAKernelTemplateIffLj32ELj8ELj64ELb0ELb0ELb0EEEvllPKT_S5_PKT0_S8_PS3_S9_
		.amdhsa_group_segment_fixed_size 0
		.amdhsa_private_segment_fixed_size 0
		.amdhsa_kernarg_size 320
		.amdhsa_user_sgpr_count 2
		.amdhsa_user_sgpr_dispatch_ptr 0
		.amdhsa_user_sgpr_queue_ptr 0
		.amdhsa_user_sgpr_kernarg_segment_ptr 1
		.amdhsa_user_sgpr_dispatch_id 0
		.amdhsa_user_sgpr_kernarg_preload_length 0
		.amdhsa_user_sgpr_kernarg_preload_offset 0
		.amdhsa_user_sgpr_private_segment_size 0
		.amdhsa_wavefront_size32 1
		.amdhsa_uses_dynamic_stack 0
		.amdhsa_enable_private_segment 0
		.amdhsa_system_sgpr_workgroup_id_x 1
		.amdhsa_system_sgpr_workgroup_id_y 1
		.amdhsa_system_sgpr_workgroup_id_z 0
		.amdhsa_system_sgpr_workgroup_info 0
		.amdhsa_system_vgpr_workitem_id 1
		.amdhsa_next_free_vgpr 106
		.amdhsa_next_free_sgpr 52
		.amdhsa_named_barrier_count 0
		.amdhsa_reserve_vcc 1
		.amdhsa_float_round_mode_32 0
		.amdhsa_float_round_mode_16_64 0
		.amdhsa_float_denorm_mode_32 3
		.amdhsa_float_denorm_mode_16_64 3
		.amdhsa_fp16_overflow 0
		.amdhsa_memory_ordered 1
		.amdhsa_forward_progress 1
		.amdhsa_inst_pref_size 57
		.amdhsa_round_robin_scheduling 0
		.amdhsa_exception_fp_ieee_invalid_op 0
		.amdhsa_exception_fp_denorm_src 0
		.amdhsa_exception_fp_ieee_div_zero 0
		.amdhsa_exception_fp_ieee_overflow 0
		.amdhsa_exception_fp_ieee_underflow 0
		.amdhsa_exception_fp_ieee_inexact 0
		.amdhsa_exception_int_div_zero 0
	.end_amdhsa_kernel
	.section	.text._ZN2at6native12_GLOBAL__N_135GammaBetaBackwardCUDAKernelTemplateIffLj32ELj8ELj64ELb0ELb0ELb0EEEvllPKT_S5_PKT0_S8_PS3_S9_,"axG",@progbits,_ZN2at6native12_GLOBAL__N_135GammaBetaBackwardCUDAKernelTemplateIffLj32ELj8ELj64ELb0ELb0ELb0EEEvllPKT_S5_PKT0_S8_PS3_S9_,comdat
.Lfunc_end65:
	.size	_ZN2at6native12_GLOBAL__N_135GammaBetaBackwardCUDAKernelTemplateIffLj32ELj8ELj64ELb0ELb0ELb0EEEvllPKT_S5_PKT0_S8_PS3_S9_, .Lfunc_end65-_ZN2at6native12_GLOBAL__N_135GammaBetaBackwardCUDAKernelTemplateIffLj32ELj8ELj64ELb0ELb0ELb0EEEvllPKT_S5_PKT0_S8_PS3_S9_
                                        ; -- End function
	.set _ZN2at6native12_GLOBAL__N_135GammaBetaBackwardCUDAKernelTemplateIffLj32ELj8ELj64ELb0ELb0ELb0EEEvllPKT_S5_PKT0_S8_PS3_S9_.num_vgpr, 106
	.set _ZN2at6native12_GLOBAL__N_135GammaBetaBackwardCUDAKernelTemplateIffLj32ELj8ELj64ELb0ELb0ELb0EEEvllPKT_S5_PKT0_S8_PS3_S9_.num_agpr, 0
	.set _ZN2at6native12_GLOBAL__N_135GammaBetaBackwardCUDAKernelTemplateIffLj32ELj8ELj64ELb0ELb0ELb0EEEvllPKT_S5_PKT0_S8_PS3_S9_.numbered_sgpr, 52
	.set _ZN2at6native12_GLOBAL__N_135GammaBetaBackwardCUDAKernelTemplateIffLj32ELj8ELj64ELb0ELb0ELb0EEEvllPKT_S5_PKT0_S8_PS3_S9_.num_named_barrier, 0
	.set _ZN2at6native12_GLOBAL__N_135GammaBetaBackwardCUDAKernelTemplateIffLj32ELj8ELj64ELb0ELb0ELb0EEEvllPKT_S5_PKT0_S8_PS3_S9_.private_seg_size, 0
	.set _ZN2at6native12_GLOBAL__N_135GammaBetaBackwardCUDAKernelTemplateIffLj32ELj8ELj64ELb0ELb0ELb0EEEvllPKT_S5_PKT0_S8_PS3_S9_.uses_vcc, 1
	.set _ZN2at6native12_GLOBAL__N_135GammaBetaBackwardCUDAKernelTemplateIffLj32ELj8ELj64ELb0ELb0ELb0EEEvllPKT_S5_PKT0_S8_PS3_S9_.uses_flat_scratch, 0
	.set _ZN2at6native12_GLOBAL__N_135GammaBetaBackwardCUDAKernelTemplateIffLj32ELj8ELj64ELb0ELb0ELb0EEEvllPKT_S5_PKT0_S8_PS3_S9_.has_dyn_sized_stack, 0
	.set _ZN2at6native12_GLOBAL__N_135GammaBetaBackwardCUDAKernelTemplateIffLj32ELj8ELj64ELb0ELb0ELb0EEEvllPKT_S5_PKT0_S8_PS3_S9_.has_recursion, 0
	.set _ZN2at6native12_GLOBAL__N_135GammaBetaBackwardCUDAKernelTemplateIffLj32ELj8ELj64ELb0ELb0ELb0EEEvllPKT_S5_PKT0_S8_PS3_S9_.has_indirect_call, 0
	.section	.AMDGPU.csdata,"",@progbits
; Kernel info:
; codeLenInByte = 7232
; TotalNumSgprs: 54
; NumVgprs: 106
; ScratchSize: 0
; MemoryBound: 0
; FloatMode: 240
; IeeeMode: 1
; LDSByteSize: 0 bytes/workgroup (compile time only)
; SGPRBlocks: 0
; VGPRBlocks: 6
; NumSGPRsForWavesPerEU: 54
; NumVGPRsForWavesPerEU: 106
; NamedBarCnt: 0
; Occupancy: 9
; WaveLimiterHint : 0
; COMPUTE_PGM_RSRC2:SCRATCH_EN: 0
; COMPUTE_PGM_RSRC2:USER_SGPR: 2
; COMPUTE_PGM_RSRC2:TRAP_HANDLER: 0
; COMPUTE_PGM_RSRC2:TGID_X_EN: 1
; COMPUTE_PGM_RSRC2:TGID_Y_EN: 1
; COMPUTE_PGM_RSRC2:TGID_Z_EN: 0
; COMPUTE_PGM_RSRC2:TIDIG_COMP_CNT: 1
	.section	.text._ZN2at6native12_GLOBAL__N_135GammaBetaBackwardCUDAKernelTemplateIffLj32ELj16ELj128ELb0ELb1ELb0EEEvllPKT_S5_PKT0_S8_PS3_S9_,"axG",@progbits,_ZN2at6native12_GLOBAL__N_135GammaBetaBackwardCUDAKernelTemplateIffLj32ELj16ELj128ELb0ELb1ELb0EEEvllPKT_S5_PKT0_S8_PS3_S9_,comdat
	.globl	_ZN2at6native12_GLOBAL__N_135GammaBetaBackwardCUDAKernelTemplateIffLj32ELj16ELj128ELb0ELb1ELb0EEEvllPKT_S5_PKT0_S8_PS3_S9_ ; -- Begin function _ZN2at6native12_GLOBAL__N_135GammaBetaBackwardCUDAKernelTemplateIffLj32ELj16ELj128ELb0ELb1ELb0EEEvllPKT_S5_PKT0_S8_PS3_S9_
	.p2align	8
	.type	_ZN2at6native12_GLOBAL__N_135GammaBetaBackwardCUDAKernelTemplateIffLj32ELj16ELj128ELb0ELb1ELb0EEEvllPKT_S5_PKT0_S8_PS3_S9_,@function
_ZN2at6native12_GLOBAL__N_135GammaBetaBackwardCUDAKernelTemplateIffLj32ELj16ELj128ELb0ELb1ELb0EEEvllPKT_S5_PKT0_S8_PS3_S9_: ; @_ZN2at6native12_GLOBAL__N_135GammaBetaBackwardCUDAKernelTemplateIffLj32ELj16ELj128ELb0ELb1ELb0EEEvllPKT_S5_PKT0_S8_PS3_S9_
; %bb.0:
	s_load_b128 s[12:15], s[0:1], 0x0
	s_bfe_u32 s2, ttmp6, 0x40010
	s_bfe_u32 s4, ttmp6, 0x40004
	s_add_co_i32 s2, s2, 1
	s_getreg_b32 s3, hwreg(HW_REG_IB_STS2, 6, 4)
	s_mul_i32 s2, ttmp7, s2
	s_mov_b32 s17, 0
	s_add_co_i32 s4, s4, s2
	s_cmp_eq_u32 s3, 0
	v_bfe_u32 v11, v0, 10, 10
	s_cselect_b32 s2, ttmp7, s4
	s_delay_alu instid0(SALU_CYCLE_1)
	s_lshl_b32 s16, s2, 7
	s_wait_kmcnt 0x0
	v_cmp_gt_i64_e64 s2, s[12:13], s[16:17]
	s_and_b32 vcc_lo, exec_lo, s2
	s_cbranch_vccnz .LBB66_2
; %bb.1:
	v_bfe_u32 v1, v0, 10, 10
	s_mov_b32 s2, s17
	s_branch .LBB66_3
.LBB66_2:
	s_mov_b32 s2, -1
                                        ; implicit-def: $vgpr1
.LBB66_3:
	v_mov_b32_e32 v9, 0
	v_and_b32_e32 v10, 0x3ff, v0
	s_and_not1_b32 vcc_lo, exec_lo, s2
	s_delay_alu instid0(VALU_DEP_2)
	v_mov_b32_e32 v8, v9
	s_cbranch_vccnz .LBB66_11
; %bb.4:
	v_dual_mov_b32 v1, 0 :: v_dual_lshlrev_b32 v0, 3, v11
	s_load_b32 s2, s[0:1], 0x4c
	s_bfe_u32 s21, ttmp6, 0x4000c
	s_clause 0x1
	s_load_b32 s18, s[0:1], 0x44
	s_load_b256 s[4:11], s[0:1], 0x10
	s_add_co_i32 s21, s21, 1
	v_add_nc_u64_e32 v[2:3], s[16:17], v[0:1]
	s_and_b32 s20, ttmp6, 15
	s_mul_i32 s21, ttmp9, s21
	v_dual_mov_b32 v13, 12 :: v_dual_mov_b32 v5, v1
	s_add_co_i32 s20, s20, s21
	s_mov_b32 s19, 0
	s_delay_alu instid0(VALU_DEP_2)
	v_mul_u64_e32 v[6:7], s[14:15], v[2:3]
	v_dual_mov_b32 v0, 8 :: v_dual_mov_b32 v12, 4
	v_dual_mov_b32 v14, 16 :: v_dual_mov_b32 v15, 20
	;; [unrolled: 1-line block ×3, first 2 shown]
	s_wait_kmcnt 0x0
	s_and_b32 s2, s2, 0xffff
	s_cmp_eq_u32 s3, 0
	v_mad_u32_u24 v4, v11, s2, v10
	v_mov_b32_e32 v9, v1
	s_cselect_b32 s2, ttmp9, s20
	s_lshl_b32 s18, s18, 7
	v_lshl_add_u32 v8, s2, 5, v10
	v_and_b32_e32 v4, 31, v4
	s_mul_u64 s[22:23], s[14:15], s[18:19]
	s_lshl_b64 s[20:21], s[18:19], 2
	s_lshl_b64 s[22:23], s[22:23], 2
	v_lshlrev_b64_e32 v[18:19], 2, v[8:9]
	v_add_nc_u64_e32 v[2:3], v[2:3], v[4:5]
	v_cmp_gt_u32_e64 s2, 8, v4
	v_mov_b32_e32 v8, 0
	s_lshl_b64 s[14:15], s[14:15], 2
	v_lshlrev_b64_e32 v[4:5], 2, v[2:3]
	v_lshl_add_u64 v[6:7], v[6:7], 2, v[18:19]
	s_branch .LBB66_7
.LBB66_5:                               ;   in Loop: Header=BB66_7 Depth=1
	s_wait_xcnt 0x0
	s_or_b32 exec_lo, exec_lo, s25
.LBB66_6:                               ;   in Loop: Header=BB66_7 Depth=1
	s_delay_alu instid0(SALU_CYCLE_1)
	s_or_b32 exec_lo, exec_lo, s24
	v_add_nc_u64_e32 v[20:21], s[6:7], v[6:7]
	v_add_nc_u64_e32 v[22:23], s[4:5], v[6:7]
	s_wait_loadcnt 0x0
	ds_bpermute_b32 v42, v0, v18
	ds_bpermute_b32 v43, v14, v19
	;; [unrolled: 1-line block ×4, first 2 shown]
	s_add_nc_u64 s[16:17], s[16:17], s[18:19]
	v_add_nc_u64_e32 v[24:25], s[14:15], v[20:21]
	v_add_nc_u64_e32 v[26:27], s[14:15], v[22:23]
	global_load_b32 v30, v[20:21], off
	global_load_b32 v31, v[22:23], off
	v_cmp_lt_i64_e64 s24, s[16:17], s[12:13]
	v_add_nc_u64_e32 v[4:5], s[20:21], v[4:5]
	v_add_nc_u64_e32 v[2:3], s[18:19], v[2:3]
	;; [unrolled: 1-line block ×4, first 2 shown]
	s_wait_xcnt 0x1
	v_add_nc_u64_e32 v[20:21], s[14:15], v[26:27]
	global_load_b32 v24, v[24:25], off
	s_and_b32 vcc_lo, exec_lo, s24
	global_load_b32 v25, v[26:27], off
	global_load_b32 v32, v[28:29], off
	v_add_nc_u64_e32 v[22:23], s[14:15], v[28:29]
	s_wait_xcnt 0x1
	v_add_nc_u64_e32 v[26:27], s[14:15], v[20:21]
	global_load_b32 v33, v[20:21], off
	global_load_b32 v34, v[22:23], off
	s_wait_xcnt 0x2
	v_add_nc_u64_e32 v[28:29], s[14:15], v[22:23]
	s_wait_xcnt 0x1
	v_add_nc_u64_e32 v[20:21], s[14:15], v[26:27]
	global_load_b32 v35, v[26:27], off
	global_load_b32 v36, v[28:29], off
	s_wait_xcnt 0x2
	v_add_nc_u64_e32 v[22:23], s[14:15], v[28:29]
	s_wait_xcnt 0x1
	v_add_nc_u64_e32 v[26:27], s[14:15], v[20:21]
	global_load_b32 v37, v[20:21], off
	global_load_b32 v38, v[22:23], off
	s_wait_xcnt 0x2
	v_add_nc_u64_e32 v[28:29], s[14:15], v[22:23]
	s_wait_xcnt 0x1
	v_add_nc_u64_e32 v[20:21], s[14:15], v[26:27]
	global_load_b32 v23, v[26:27], off
	s_wait_xcnt 0x0
	v_add_nc_u64_e32 v[26:27], s[14:15], v[28:29]
	global_load_b32 v22, v[28:29], off
	;; [unrolled: 3-line block ×3, first 2 shown]
	global_load_b32 v40, v[26:27], off
	global_load_b32 v41, v[28:29], off
	s_wait_xcnt 0x2
	ds_bpermute_b32 v20, v1, v19
	ds_bpermute_b32 v21, v12, v19
	s_wait_xcnt 0x1
	ds_bpermute_b32 v26, v1, v18
	ds_bpermute_b32 v27, v0, v19
	;; [unrolled: 3-line block ×3, first 2 shown]
	s_wait_loadcnt_dscnt 0xd04
	v_dual_sub_f32 v20, v30, v20 :: v_dual_sub_f32 v21, v24, v21
	s_delay_alu instid0(VALU_DEP_1) | instskip(SKIP_1) | instid1(VALU_DEP_1)
	v_mul_f32_e32 v20, v31, v20
	s_wait_loadcnt_dscnt 0xc03
	v_dual_mul_f32 v30, v20, v26 :: v_dual_mul_f32 v20, v25, v21
	s_wait_loadcnt_dscnt 0xb02
	v_sub_f32_e32 v21, v32, v27
	ds_bpermute_b32 v26, v14, v18
	ds_bpermute_b32 v27, v16, v19
	v_pk_add_f32 v[8:9], v[8:9], v[30:31]
	s_wait_loadcnt_dscnt 0xa03
	v_dual_mul_f32 v24, v20, v28 :: v_dual_mul_f32 v20, v33, v21
	s_wait_loadcnt_dscnt 0x902
	v_sub_f32_e32 v21, v34, v29
	ds_bpermute_b32 v28, v15, v18
	ds_bpermute_b32 v19, v17, v19
	v_pk_add_f32 v[8:9], v[8:9], v[24:25]
	s_wait_loadcnt 0x8
	v_dual_mul_f32 v32, v20, v42 :: v_dual_mul_f32 v20, v35, v21
	s_wait_loadcnt 0x7
	v_sub_f32_e32 v21, v36, v43
	ds_bpermute_b32 v24, v16, v18
	ds_bpermute_b32 v18, v17, v18
	v_pk_add_f32 v[8:9], v[8:9], v[32:33]
	s_wait_loadcnt 0x6
	v_dual_mul_f32 v34, v20, v44 :: v_dual_mul_f32 v20, v37, v21
	s_wait_loadcnt 0x5
	v_sub_f32_e32 v21, v38, v45
	s_delay_alu instid0(VALU_DEP_2) | instskip(SKIP_1) | instid1(VALU_DEP_2)
	v_pk_add_f32 v[8:9], v[8:9], v[34:35]
	s_wait_loadcnt_dscnt 0x405
	v_dual_mul_f32 v36, v20, v26 :: v_dual_mul_f32 v20, v23, v21
	s_wait_loadcnt_dscnt 0x304
	v_sub_f32_e32 v21, v22, v27
	s_delay_alu instid0(VALU_DEP_2) | instskip(SKIP_1) | instid1(VALU_DEP_2)
	v_pk_add_f32 v[8:9], v[8:9], v[36:37]
	s_wait_loadcnt_dscnt 0x203
	v_dual_mul_f32 v22, v20, v28 :: v_dual_mul_f32 v20, v39, v21
	s_wait_loadcnt_dscnt 0x102
	v_sub_f32_e32 v19, v40, v19
	s_delay_alu instid0(VALU_DEP_2) | instskip(SKIP_1) | instid1(VALU_DEP_2)
	v_pk_add_f32 v[8:9], v[8:9], v[22:23]
	s_wait_loadcnt_dscnt 0x1
	v_dual_mul_f32 v38, v20, v24 :: v_dual_mul_f32 v19, v41, v19
	s_delay_alu instid0(VALU_DEP_1) | instskip(SKIP_1) | instid1(VALU_DEP_2)
	v_pk_add_f32 v[8:9], v[8:9], v[38:39]
	s_wait_dscnt 0x0
	v_mul_f32_e32 v40, v19, v18
	s_delay_alu instid0(VALU_DEP_1)
	v_pk_add_f32 v[8:9], v[8:9], v[40:41]
	s_cbranch_vccz .LBB66_10
.LBB66_7:                               ; =>This Inner Loop Header: Depth=1
	v_dual_mov_b32 v18, 0 :: v_dual_mov_b32 v19, 0
	s_and_saveexec_b32 s24, s2
	s_cbranch_execz .LBB66_6
; %bb.8:                                ;   in Loop: Header=BB66_7 Depth=1
	v_dual_mov_b32 v19, 0 :: v_dual_mov_b32 v18, 0
	s_mov_b32 s25, exec_lo
	v_cmpx_gt_i64_e64 s[12:13], v[2:3]
	s_cbranch_execz .LBB66_5
; %bb.9:                                ;   in Loop: Header=BB66_7 Depth=1
	v_add_nc_u64_e32 v[20:21], s[8:9], v[4:5]
	v_add_nc_u64_e32 v[22:23], s[10:11], v[4:5]
	global_load_b32 v19, v[20:21], off
	global_load_b32 v18, v[22:23], off
	s_branch .LBB66_5
.LBB66_10:
	v_mov_b32_e32 v1, v11
.LBB66_11:
	s_load_b128 s[4:7], s[0:1], 0x30
	s_delay_alu instid0(VALU_DEP_1) | instskip(SKIP_3) | instid1(VALU_DEP_2)
	v_mad_u32_u24 v0, v1, 33, v10
	v_lshrrev_b32_e32 v2, 5, v10
	s_wait_xcnt 0x0
	s_mov_b32 s0, exec_lo
	v_lshl_add_u32 v3, v0, 2, 0
	s_delay_alu instid0(VALU_DEP_2)
	v_add_nc_u32_e32 v0, v2, v1
	ds_store_b32 v3, v8
	ds_store_b32 v3, v9 offset:2112
	s_wait_dscnt 0x0
	s_barrier_signal -1
	s_barrier_wait -1
	v_cmpx_gt_u32_e32 32, v0
	s_cbranch_execz .LBB66_27
; %bb.12:
	v_and_b32_e32 v1, 31, v10
                                        ; implicit-def: $vgpr2
	s_delay_alu instid0(VALU_DEP_1)
	v_cmp_gt_u32_e64 s0, 16, v1
	v_mul_u32_u24_e32 v6, 33, v1
	s_and_saveexec_b32 s1, s0
	s_cbranch_execz .LBB66_14
; %bb.13:
	s_delay_alu instid0(VALU_DEP_1) | instskip(NEXT) | instid1(VALU_DEP_1)
	v_add_nc_u32_e32 v1, v0, v6
	v_lshl_add_u32 v1, v1, 2, 0
	ds_load_b32 v3, v1
	ds_load_b32 v2, v1 offset:2112
.LBB66_14:
	s_or_b32 exec_lo, exec_lo, s1
	v_mbcnt_lo_u32_b32 v1, -1, 0
	s_bfe_u32 s1, ttmp6, 0x4000c
	s_and_b32 s2, ttmp6, 15
	s_add_co_i32 s1, s1, 1
	s_delay_alu instid0(SALU_CYCLE_1)
	s_mul_i32 s1, ttmp9, s1
	v_xor_b32_e32 v11, 1, v1
	v_xor_b32_e32 v8, 4, v1
	;; [unrolled: 1-line block ×3, first 2 shown]
	s_add_co_i32 s2, s2, s1
	s_cmp_eq_u32 s3, 0
	s_mov_b32 s3, 0
	s_cselect_b32 s2, ttmp9, s2
	v_cmp_gt_i32_e32 vcc_lo, 32, v4
	s_lshl_b64 s[2:3], s[2:3], 5
	v_xor_b32_e32 v9, 2, v1
	s_wait_kmcnt 0x0
	s_cmp_lg_u64 s[4:5], 0
	v_cmp_eq_u32_e64 s1, 0, v10
	v_cndmask_b32_e32 v4, v1, v4, vcc_lo
	v_cmp_gt_i32_e32 vcc_lo, 32, v8
	s_cselect_b32 s9, -1, 0
	s_cmp_lg_u64 s[6:7], 0
	s_cselect_b32 s8, -1, 0
	v_cndmask_b32_e32 v8, v1, v8, vcc_lo
	v_cmp_gt_i32_e32 vcc_lo, 32, v9
	v_dual_lshlrev_b32 v7, 2, v4 :: v_dual_cndmask_b32 v9, v1, v9, vcc_lo
	s_wait_dscnt 0x1
	ds_bpermute_b32 v5, v7, v3
	s_wait_dscnt 0x1
	ds_bpermute_b32 v4, v7, v2
	v_lshlrev_b32_e32 v8, 2, v8
	v_cmp_gt_i32_e32 vcc_lo, 32, v11
	v_dual_lshlrev_b32 v9, 2, v9 :: v_dual_cndmask_b32 v1, v1, v11, vcc_lo
	s_delay_alu instid0(VALU_DEP_1)
	v_dual_lshlrev_b32 v11, 2, v1 :: v_dual_mov_b32 v1, 0
	s_wait_dscnt 0x0
	v_pk_add_f32 v[2:3], v[2:3], v[4:5]
	ds_bpermute_b32 v5, v8, v3
	ds_bpermute_b32 v4, v8, v2
	s_wait_dscnt 0x0
	v_pk_add_f32 v[2:3], v[2:3], v[4:5]
	ds_bpermute_b32 v5, v9, v3
	ds_bpermute_b32 v4, v9, v2
	;; [unrolled: 4-line block ×3, first 2 shown]
	s_wait_dscnt 0x0
	v_pk_add_f32 v[2:3], v[2:3], v[4:5]
	s_and_saveexec_b32 s10, s1
	s_cbranch_execz .LBB66_19
; %bb.15:
	v_dual_mov_b32 v5, s3 :: v_dual_bitop2_b32 v4, s2, v0 bitop3:0x54
	s_and_not1_b32 vcc_lo, exec_lo, s9
	s_cbranch_vccnz .LBB66_17
; %bb.16:
	s_delay_alu instid0(VALU_DEP_1)
	v_lshl_add_u64 v[12:13], v[4:5], 2, s[4:5]
	global_store_b32 v[12:13], v3, off
.LBB66_17:
	s_and_not1_b32 vcc_lo, exec_lo, s8
	s_cbranch_vccnz .LBB66_19
; %bb.18:
	v_lshl_add_u64 v[4:5], v[4:5], 2, s[6:7]
	global_store_b32 v[4:5], v2, off
.LBB66_19:
	s_wait_xcnt 0x0
	s_or_b32 exec_lo, exec_lo, s10
	v_cmp_gt_u32_e32 vcc_lo, 16, v0
	s_and_b32 exec_lo, exec_lo, vcc_lo
	s_cbranch_execz .LBB66_27
; %bb.20:
	s_and_saveexec_b32 s10, s0
	s_cbranch_execz .LBB66_22
; %bb.21:
	v_add_nc_u32_e32 v2, v0, v6
	s_delay_alu instid0(VALU_DEP_1)
	v_lshl_add_u32 v2, v2, 2, 0
	ds_load_b32 v3, v2 offset:64
	ds_load_b32 v2, v2 offset:2176
.LBB66_22:
	s_or_b32 exec_lo, exec_lo, s10
	s_wait_dscnt 0x1
	ds_bpermute_b32 v4, v7, v3
	s_wait_dscnt 0x1
	ds_bpermute_b32 v5, v7, v2
	s_wait_dscnt 0x0
	v_dual_add_f32 v3, v3, v4 :: v_dual_add_f32 v2, v2, v5
	ds_bpermute_b32 v4, v8, v3
	ds_bpermute_b32 v5, v8, v2
	s_wait_dscnt 0x0
	v_dual_add_f32 v3, v3, v4 :: v_dual_add_f32 v2, v2, v5
	ds_bpermute_b32 v4, v9, v3
	;; [unrolled: 4-line block ×3, first 2 shown]
	ds_bpermute_b32 v3, v11, v2
	s_and_b32 exec_lo, exec_lo, s1
	s_cbranch_execz .LBB66_27
; %bb.23:
	v_add_nc_u64_e32 v[0:1], s[2:3], v[0:1]
	s_and_not1_b32 vcc_lo, exec_lo, s9
	s_cbranch_vccnz .LBB66_25
; %bb.24:
	s_wait_dscnt 0x1
	v_add_f32_e32 v6, v4, v5
	s_delay_alu instid0(VALU_DEP_2)
	v_lshl_add_u64 v[4:5], v[0:1], 2, s[4:5]
	global_store_b32 v[4:5], v6, off offset:64
.LBB66_25:
	s_and_not1_b32 vcc_lo, exec_lo, s8
	s_cbranch_vccnz .LBB66_27
; %bb.26:
	s_wait_dscnt 0x0
	v_add_f32_e32 v2, v2, v3
	v_lshl_add_u64 v[0:1], v[0:1], 2, s[6:7]
	global_store_b32 v[0:1], v2, off offset:64
.LBB66_27:
	s_endpgm
	.section	.rodata,"a",@progbits
	.p2align	6, 0x0
	.amdhsa_kernel _ZN2at6native12_GLOBAL__N_135GammaBetaBackwardCUDAKernelTemplateIffLj32ELj16ELj128ELb0ELb1ELb0EEEvllPKT_S5_PKT0_S8_PS3_S9_
		.amdhsa_group_segment_fixed_size 0
		.amdhsa_private_segment_fixed_size 0
		.amdhsa_kernarg_size 320
		.amdhsa_user_sgpr_count 2
		.amdhsa_user_sgpr_dispatch_ptr 0
		.amdhsa_user_sgpr_queue_ptr 0
		.amdhsa_user_sgpr_kernarg_segment_ptr 1
		.amdhsa_user_sgpr_dispatch_id 0
		.amdhsa_user_sgpr_kernarg_preload_length 0
		.amdhsa_user_sgpr_kernarg_preload_offset 0
		.amdhsa_user_sgpr_private_segment_size 0
		.amdhsa_wavefront_size32 1
		.amdhsa_uses_dynamic_stack 0
		.amdhsa_enable_private_segment 0
		.amdhsa_system_sgpr_workgroup_id_x 1
		.amdhsa_system_sgpr_workgroup_id_y 1
		.amdhsa_system_sgpr_workgroup_id_z 0
		.amdhsa_system_sgpr_workgroup_info 0
		.amdhsa_system_vgpr_workitem_id 1
		.amdhsa_next_free_vgpr 46
		.amdhsa_next_free_sgpr 26
		.amdhsa_named_barrier_count 0
		.amdhsa_reserve_vcc 1
		.amdhsa_float_round_mode_32 0
		.amdhsa_float_round_mode_16_64 0
		.amdhsa_float_denorm_mode_32 3
		.amdhsa_float_denorm_mode_16_64 3
		.amdhsa_fp16_overflow 0
		.amdhsa_memory_ordered 1
		.amdhsa_forward_progress 1
		.amdhsa_inst_pref_size 16
		.amdhsa_round_robin_scheduling 0
		.amdhsa_exception_fp_ieee_invalid_op 0
		.amdhsa_exception_fp_denorm_src 0
		.amdhsa_exception_fp_ieee_div_zero 0
		.amdhsa_exception_fp_ieee_overflow 0
		.amdhsa_exception_fp_ieee_underflow 0
		.amdhsa_exception_fp_ieee_inexact 0
		.amdhsa_exception_int_div_zero 0
	.end_amdhsa_kernel
	.section	.text._ZN2at6native12_GLOBAL__N_135GammaBetaBackwardCUDAKernelTemplateIffLj32ELj16ELj128ELb0ELb1ELb0EEEvllPKT_S5_PKT0_S8_PS3_S9_,"axG",@progbits,_ZN2at6native12_GLOBAL__N_135GammaBetaBackwardCUDAKernelTemplateIffLj32ELj16ELj128ELb0ELb1ELb0EEEvllPKT_S5_PKT0_S8_PS3_S9_,comdat
.Lfunc_end66:
	.size	_ZN2at6native12_GLOBAL__N_135GammaBetaBackwardCUDAKernelTemplateIffLj32ELj16ELj128ELb0ELb1ELb0EEEvllPKT_S5_PKT0_S8_PS3_S9_, .Lfunc_end66-_ZN2at6native12_GLOBAL__N_135GammaBetaBackwardCUDAKernelTemplateIffLj32ELj16ELj128ELb0ELb1ELb0EEEvllPKT_S5_PKT0_S8_PS3_S9_
                                        ; -- End function
	.set _ZN2at6native12_GLOBAL__N_135GammaBetaBackwardCUDAKernelTemplateIffLj32ELj16ELj128ELb0ELb1ELb0EEEvllPKT_S5_PKT0_S8_PS3_S9_.num_vgpr, 46
	.set _ZN2at6native12_GLOBAL__N_135GammaBetaBackwardCUDAKernelTemplateIffLj32ELj16ELj128ELb0ELb1ELb0EEEvllPKT_S5_PKT0_S8_PS3_S9_.num_agpr, 0
	.set _ZN2at6native12_GLOBAL__N_135GammaBetaBackwardCUDAKernelTemplateIffLj32ELj16ELj128ELb0ELb1ELb0EEEvllPKT_S5_PKT0_S8_PS3_S9_.numbered_sgpr, 26
	.set _ZN2at6native12_GLOBAL__N_135GammaBetaBackwardCUDAKernelTemplateIffLj32ELj16ELj128ELb0ELb1ELb0EEEvllPKT_S5_PKT0_S8_PS3_S9_.num_named_barrier, 0
	.set _ZN2at6native12_GLOBAL__N_135GammaBetaBackwardCUDAKernelTemplateIffLj32ELj16ELj128ELb0ELb1ELb0EEEvllPKT_S5_PKT0_S8_PS3_S9_.private_seg_size, 0
	.set _ZN2at6native12_GLOBAL__N_135GammaBetaBackwardCUDAKernelTemplateIffLj32ELj16ELj128ELb0ELb1ELb0EEEvllPKT_S5_PKT0_S8_PS3_S9_.uses_vcc, 1
	.set _ZN2at6native12_GLOBAL__N_135GammaBetaBackwardCUDAKernelTemplateIffLj32ELj16ELj128ELb0ELb1ELb0EEEvllPKT_S5_PKT0_S8_PS3_S9_.uses_flat_scratch, 0
	.set _ZN2at6native12_GLOBAL__N_135GammaBetaBackwardCUDAKernelTemplateIffLj32ELj16ELj128ELb0ELb1ELb0EEEvllPKT_S5_PKT0_S8_PS3_S9_.has_dyn_sized_stack, 0
	.set _ZN2at6native12_GLOBAL__N_135GammaBetaBackwardCUDAKernelTemplateIffLj32ELj16ELj128ELb0ELb1ELb0EEEvllPKT_S5_PKT0_S8_PS3_S9_.has_recursion, 0
	.set _ZN2at6native12_GLOBAL__N_135GammaBetaBackwardCUDAKernelTemplateIffLj32ELj16ELj128ELb0ELb1ELb0EEEvllPKT_S5_PKT0_S8_PS3_S9_.has_indirect_call, 0
	.section	.AMDGPU.csdata,"",@progbits
; Kernel info:
; codeLenInByte = 1968
; TotalNumSgprs: 28
; NumVgprs: 46
; ScratchSize: 0
; MemoryBound: 0
; FloatMode: 240
; IeeeMode: 1
; LDSByteSize: 0 bytes/workgroup (compile time only)
; SGPRBlocks: 0
; VGPRBlocks: 2
; NumSGPRsForWavesPerEU: 28
; NumVGPRsForWavesPerEU: 46
; NamedBarCnt: 0
; Occupancy: 16
; WaveLimiterHint : 0
; COMPUTE_PGM_RSRC2:SCRATCH_EN: 0
; COMPUTE_PGM_RSRC2:USER_SGPR: 2
; COMPUTE_PGM_RSRC2:TRAP_HANDLER: 0
; COMPUTE_PGM_RSRC2:TGID_X_EN: 1
; COMPUTE_PGM_RSRC2:TGID_Y_EN: 1
; COMPUTE_PGM_RSRC2:TGID_Z_EN: 0
; COMPUTE_PGM_RSRC2:TIDIG_COMP_CNT: 1
	.section	.text._ZN2at6native12_GLOBAL__N_135GammaBetaBackwardCUDAKernelTemplateIffLj32ELj16ELj128ELb0ELb0ELb0EEEvllPKT_S5_PKT0_S8_PS3_S9_,"axG",@progbits,_ZN2at6native12_GLOBAL__N_135GammaBetaBackwardCUDAKernelTemplateIffLj32ELj16ELj128ELb0ELb0ELb0EEEvllPKT_S5_PKT0_S8_PS3_S9_,comdat
	.globl	_ZN2at6native12_GLOBAL__N_135GammaBetaBackwardCUDAKernelTemplateIffLj32ELj16ELj128ELb0ELb0ELb0EEEvllPKT_S5_PKT0_S8_PS3_S9_ ; -- Begin function _ZN2at6native12_GLOBAL__N_135GammaBetaBackwardCUDAKernelTemplateIffLj32ELj16ELj128ELb0ELb0ELb0EEEvllPKT_S5_PKT0_S8_PS3_S9_
	.p2align	8
	.type	_ZN2at6native12_GLOBAL__N_135GammaBetaBackwardCUDAKernelTemplateIffLj32ELj16ELj128ELb0ELb0ELb0EEEvllPKT_S5_PKT0_S8_PS3_S9_,@function
_ZN2at6native12_GLOBAL__N_135GammaBetaBackwardCUDAKernelTemplateIffLj32ELj16ELj128ELb0ELb0ELb0EEEvllPKT_S5_PKT0_S8_PS3_S9_: ; @_ZN2at6native12_GLOBAL__N_135GammaBetaBackwardCUDAKernelTemplateIffLj32ELj16ELj128ELb0ELb0ELb0EEEvllPKT_S5_PKT0_S8_PS3_S9_
; %bb.0:
	s_load_b256 s[4:11], s[0:1], 0x0
	s_bfe_u32 s3, ttmp6, 0x4000c
	s_bfe_u32 s12, ttmp6, 0x40010
	s_add_co_i32 s3, s3, 1
	s_add_co_i32 s12, s12, 1
	s_and_b32 s2, ttmp6, 15
	s_bfe_u32 s13, ttmp6, 0x40004
	s_mul_i32 s3, ttmp9, s3
	s_mul_i32 s12, ttmp7, s12
	s_getreg_b32 s14, hwreg(HW_REG_IB_STS2, 6, 4)
	s_add_co_i32 s2, s2, s3
	s_add_co_i32 s3, s13, s12
	s_cmp_eq_u32 s14, 0
	s_mov_b32 s19, 0
	s_cselect_b32 s16, ttmp9, s2
	s_cselect_b32 s2, ttmp7, s3
	s_lshl_b32 s3, s16, 5
	s_load_b128 s[12:15], s[0:1], 0x20
	s_or_b32 s18, s3, 31
	s_wait_kmcnt 0x0
	v_cmp_le_i64_e64 s20, s[6:7], s[18:19]
	s_lshl_b32 s18, s2, 7
	s_delay_alu instid0(SALU_CYCLE_1) | instskip(SKIP_2) | instid1(VALU_DEP_1)
	v_cmp_gt_i64_e64 s17, s[4:5], s[18:19]
	s_and_b32 vcc_lo, exec_lo, s20
	v_cndmask_b32_e64 v1, 0, 1, s17
	v_cmp_ne_u32_e64 s2, 1, v1
	s_cbranch_vccz .LBB67_48
; %bb.1:
	v_mov_b32_e32 v21, 0
	s_and_b32 vcc_lo, exec_lo, s2
	s_delay_alu instid0(VALU_DEP_1)
	v_mov_b32_e32 v20, v21
	s_cbranch_vccnz .LBB67_49
; %bb.2:
	v_bfe_u32 v1, v0, 10, 10
	v_mov_b32_e32 v2, 0
	v_and_b32_e32 v62, 0x3ff, v0
	s_load_b32 s20, s[0:1], 0x44
	s_mov_b32 s21, 0
	s_delay_alu instid0(VALU_DEP_2) | instskip(NEXT) | instid1(VALU_DEP_2)
	v_dual_mov_b32 v23, v2 :: v_dual_lshlrev_b32 v22, 3, v1
	v_dual_mov_b32 v19, v2 :: v_dual_add_nc_u32 v18, s3, v62
	s_mov_b32 s37, s21
	s_add_nc_u64 s[22:23], s[0:1], 64
	s_delay_alu instid0(VALU_DEP_2)
	v_add_nc_u64_e32 v[4:5], s[18:19], v[22:23]
	s_mov_b64 s[24:25], 0xffffffffffffff81
	s_mov_b64 s[26:27], 0xffffffffffffff82
	;; [unrolled: 1-line block ×6, first 2 shown]
	v_mul_u64_e32 v[6:7], s[6:7], v[4:5]
	v_add_nc_u64_e32 v[8:9], 7, v[4:5]
	v_add_nc_u64_e32 v[10:11], 6, v[4:5]
	;; [unrolled: 1-line block ×6, first 2 shown]
	s_wait_kmcnt 0x0
	s_lshl_b32 s36, s20, 7
	v_mul_u64_e32 v[8:9], s[6:7], v[8:9]
	v_mul_u64_e32 v[10:11], s[6:7], v[10:11]
	;; [unrolled: 1-line block ×6, first 2 shown]
	s_mul_u64 s[44:45], s[6:7], s[36:37]
	s_mov_b64 s[40:41], 0xffffffffffffff87
	s_mov_b64 s[42:43], 0xffffffffffffff88
	s_lshl_b64 s[44:45], s[44:45], 2
	s_add_nc_u64 s[46:47], s[18:19], 0x7f
	s_mov_b64 s[48:49], s[18:19]
	v_lshlrev_b64_e32 v[20:21], 2, v[6:7]
	v_add_nc_u64_e32 v[6:7], s[6:7], v[6:7]
	s_delay_alu instid0(VALU_DEP_2)
	v_add_nc_u64_e32 v[26:27], s[8:9], v[20:21]
	v_lshlrev_b64_e32 v[8:9], 2, v[8:9]
	v_lshlrev_b64_e32 v[10:11], 2, v[10:11]
	;; [unrolled: 1-line block ×7, first 2 shown]
	v_add_nc_u64_e32 v[28:29], s[10:11], v[20:21]
	v_add_nc_u64_e32 v[30:31], s[8:9], v[8:9]
	;; [unrolled: 1-line block ×15, first 2 shown]
	v_mov_b32_e32 v20, 0
	v_cmp_gt_i64_e64 s2, s[6:7], v[18:19]
	v_lshlrev_b64_e32 v[24:25], 2, v[18:19]
	v_mov_b32_e32 v21, v2
	s_branch .LBB67_5
.LBB67_3:                               ;   in Loop: Header=BB67_5 Depth=1
	s_wait_xcnt 0x0
	s_or_b32 exec_lo, exec_lo, s20
	s_wait_loadcnt 0x1
	ds_bpermute_b32 v3, v2, v60
	ds_bpermute_b32 v58, v2, v60 offset:4
	ds_bpermute_b32 v63, v2, v60 offset:8
	s_wait_loadcnt 0x0
	ds_bpermute_b32 v64, v2, v61
	ds_bpermute_b32 v66, v2, v60 offset:12
	ds_bpermute_b32 v67, v2, v61 offset:4
	;; [unrolled: 1-line block ×6, first 2 shown]
	v_mov_b32_e32 v59, v4
	ds_bpermute_b32 v71, v2, v61 offset:16
	ds_bpermute_b32 v74, v2, v60 offset:24
	ds_bpermute_b32 v72, v2, v61 offset:20
	s_wait_dscnt 0xc
	v_dual_mov_b32 v65, v5 :: v_dual_sub_f32 v3, v12, v3
	s_wait_dscnt 0xb
	v_dual_sub_f32 v12, v13, v58 :: v_dual_mov_b32 v13, v6
	s_delay_alu instid0(VALU_DEP_2) | instskip(SKIP_1) | instid1(VALU_DEP_2)
	v_mul_f32_e32 v3, v4, v3
	s_wait_dscnt 0xa
	v_dual_sub_f32 v4, v14, v63 :: v_dual_mul_f32 v12, v5, v12
	v_mov_b32_e32 v5, v7
	s_wait_dscnt 0x9
	v_mul_f32_e32 v58, v3, v64
	s_wait_dscnt 0x8
	v_dual_mul_f32 v4, v6, v4 :: v_dual_sub_f32 v3, v15, v66
	s_wait_dscnt 0x7
	v_mul_f32_e32 v64, v12, v67
	v_pk_add_f32 v[14:15], v[20:21], v[58:59]
	ds_bpermute_b32 v20, v2, v61 offset:24
	s_wait_dscnt 0x7
	v_mul_f32_e32 v12, v4, v68
	s_wait_dscnt 0x6
	v_dual_sub_f32 v16, v16, v70 :: v_dual_mul_f32 v3, v7, v3
	v_pk_add_f32 v[6:7], v[64:65], v[14:15]
	s_wait_dscnt 0x4
	v_dual_mov_b32 v15, v8 :: v_dual_sub_f32 v14, v17, v73
	s_delay_alu instid0(VALU_DEP_3) | instskip(NEXT) | instid1(VALU_DEP_3)
	v_dual_mul_f32 v8, v8, v16 :: v_dual_mul_f32 v4, v3, v69
	v_pk_add_f32 v[6:7], v[12:13], v[6:7]
	ds_bpermute_b32 v3, v2, v61 offset:28
	s_wait_dscnt 0x3
	v_sub_f32_e32 v12, v18, v74
	v_dual_mul_f32 v13, v9, v14 :: v_dual_mul_f32 v14, v8, v71
	v_pk_add_f32 v[6:7], v[4:5], v[6:7]
	ds_bpermute_b32 v4, v2, v60 offset:28
	v_mul_f32_e32 v5, v10, v12
	s_wait_dscnt 0x3
	v_dual_mul_f32 v8, v13, v72 :: v_dual_mov_b32 v13, v10
	v_pk_add_f32 v[6:7], v[14:15], v[6:7]
	s_wait_dscnt 0x2
	v_mul_f32_e32 v12, v5, v20
	s_delay_alu instid0(VALU_DEP_2) | instskip(NEXT) | instid1(VALU_DEP_1)
	v_pk_add_f32 v[6:7], v[8:9], v[6:7]
	v_pk_add_f32 v[60:61], v[12:13], v[6:7]
.LBB67_4:                               ;   in Loop: Header=BB67_5 Depth=1
	s_wait_dscnt 0x0
	v_sub_f32_e32 v4, v19, v4
	s_add_nc_u64 s[48:49], s[48:49], s[36:37]
	v_add_nc_u64_e32 v[26:27], s[44:45], v[26:27]
	v_cmp_lt_i64_e64 s20, s[48:49], s[4:5]
	v_add_nc_u64_e32 v[28:29], s[44:45], v[28:29]
	v_mul_f32_e32 v4, v11, v4
	v_add_nc_u64_e32 v[30:31], s[44:45], v[30:31]
	v_add_nc_u64_e32 v[32:33], s[44:45], v[32:33]
	;; [unrolled: 1-line block ×4, first 2 shown]
	v_mul_f32_e32 v10, v4, v3
	v_add_nc_u64_e32 v[38:39], s[44:45], v[38:39]
	v_add_nc_u64_e32 v[40:41], s[44:45], v[40:41]
	v_add_nc_u64_e32 v[42:43], s[44:45], v[42:43]
	v_add_nc_u64_e32 v[44:45], s[44:45], v[44:45]
	v_add_nc_u64_e32 v[46:47], s[44:45], v[46:47]
	v_add_nc_u64_e32 v[48:49], s[44:45], v[48:49]
	v_add_nc_u64_e32 v[50:51], s[44:45], v[50:51]
	v_add_nc_u64_e32 v[52:53], s[44:45], v[52:53]
	v_add_nc_u64_e32 v[54:55], s[44:45], v[54:55]
	v_add_nc_u64_e32 v[56:57], s[44:45], v[56:57]
	v_pk_add_f32 v[20:21], v[60:61], v[10:11]
	s_and_b32 vcc_lo, exec_lo, s20
	s_add_nc_u64 s[46:47], s[46:47], s[36:37]
	s_cbranch_vccz .LBB67_49
.LBB67_5:                               ; =>This Inner Loop Header: Depth=1
	v_cmp_ge_i64_e64 s20, s[46:47], s[4:5]
	v_add_nc_u64_e32 v[58:59], s[46:47], v[22:23]
                                        ; implicit-def: $vgpr4_vgpr5_vgpr6_vgpr7_vgpr8_vgpr9_vgpr10_vgpr11
                                        ; implicit-def: $vgpr60_vgpr61
                                        ; implicit-def: $vgpr3
                                        ; implicit-def: $vgpr12_vgpr13_vgpr14_vgpr15_vgpr16_vgpr17_vgpr18_vgpr19
                                        ; implicit-def: $vgpr4
	s_and_b32 vcc_lo, exec_lo, s20
	s_mov_b32 s20, -1
	s_cbranch_vccz .LBB67_27
; %bb.6:                                ;   in Loop: Header=BB67_5 Depth=1
	s_load_b32 s20, s[22:23], 0xc
	v_dual_mov_b32 v60, 0 :: v_dual_mov_b32 v61, 0
	s_wait_kmcnt 0x0
	s_and_b32 s20, s20, 0xffff
	s_delay_alu instid0(SALU_CYCLE_1) | instskip(SKIP_1) | instid1(VALU_DEP_1)
	v_mad_u32_u24 v3, v1, s20, v62
	s_mov_b32 s20, exec_lo
	v_and_b32_e32 v4, 31, v3
	s_delay_alu instid0(VALU_DEP_1)
	v_cmpx_gt_u32_e32 8, v4
	s_cbranch_execz .LBB67_10
; %bb.7:                                ;   in Loop: Header=BB67_5 Depth=1
	v_dual_mov_b32 v5, v2 :: v_dual_mov_b32 v60, 0
	v_mov_b32_e32 v61, 0
	s_mov_b32 s33, exec_lo
	s_delay_alu instid0(VALU_DEP_2) | instskip(NEXT) | instid1(VALU_DEP_1)
	v_add_nc_u64_e32 v[4:5], v[58:59], v[4:5]
	v_add_nc_u64_e32 v[4:5], s[24:25], v[4:5]
	s_delay_alu instid0(VALU_DEP_1)
	v_cmpx_gt_i64_e64 s[4:5], v[4:5]
	s_cbranch_execz .LBB67_9
; %bb.8:                                ;   in Loop: Header=BB67_5 Depth=1
	v_lshlrev_b64_e32 v[4:5], 2, v[4:5]
	s_delay_alu instid0(VALU_DEP_1)
	v_add_nc_u64_e32 v[6:7], s[12:13], v[4:5]
	v_add_nc_u64_e32 v[4:5], s[14:15], v[4:5]
	global_load_b32 v60, v[6:7], off
	global_load_b32 v61, v[4:5], off
.LBB67_9:                               ;   in Loop: Header=BB67_5 Depth=1
	s_wait_xcnt 0x0
	s_or_b32 exec_lo, exec_lo, s33
.LBB67_10:                              ;   in Loop: Header=BB67_5 Depth=1
	s_delay_alu instid0(SALU_CYCLE_1)
	s_or_b32 exec_lo, exec_lo, s20
	v_add_nc_u64_e32 v[10:11], s[24:25], v[58:59]
	v_dual_mov_b32 v7, v2 :: v_dual_mov_b32 v8, v2
	v_dual_mov_b32 v9, v2 :: v_dual_mov_b32 v3, v2
	;; [unrolled: 1-line block ×3, first 2 shown]
	v_mov_b32_e32 v6, v2
	v_cmp_gt_i64_e32 vcc_lo, s[4:5], v[10:11]
	s_delay_alu instid0(VALU_DEP_4)
	v_mov_b64_e32 v[18:19], v[8:9]
	v_mov_b64_e32 v[12:13], v[2:3]
	;; [unrolled: 1-line block ×8, first 2 shown]
	s_and_b32 s33, s2, vcc_lo
	s_delay_alu instid0(SALU_CYCLE_1)
	s_and_saveexec_b32 s20, s33
	s_cbranch_execz .LBB67_12
; %bb.11:                               ;   in Loop: Header=BB67_5 Depth=1
	v_add_nc_u64_e32 v[6:7], v[26:27], v[24:25]
	v_add_nc_u64_e32 v[8:9], v[28:29], v[24:25]
	v_dual_mov_b32 v5, v2 :: v_dual_mov_b32 v11, v2
	v_dual_mov_b32 v13, v2 :: v_dual_mov_b32 v14, v2
	v_mov_b32_e32 v15, v2
	global_load_b32 v4, v[6:7], off
	global_load_b32 v12, v[8:9], off
	s_wait_xcnt 0x1
	v_dual_mov_b32 v6, v2 :: v_dual_mov_b32 v7, v2
	s_wait_xcnt 0x0
	v_dual_mov_b32 v8, v2 :: v_dual_mov_b32 v9, v2
	v_dual_mov_b32 v10, v2 :: v_dual_mov_b32 v16, v2
	;; [unrolled: 1-line block ×3, first 2 shown]
	v_mov_b32_e32 v19, v2
.LBB67_12:                              ;   in Loop: Header=BB67_5 Depth=1
	s_or_b32 exec_lo, exec_lo, s20
	v_add_nc_u64_e32 v[64:65], s[26:27], v[58:59]
	s_delay_alu instid0(VALU_DEP_1) | instskip(SKIP_1) | instid1(SALU_CYCLE_1)
	v_cmp_gt_i64_e32 vcc_lo, s[4:5], v[64:65]
	s_and_b32 s33, s2, vcc_lo
	s_and_saveexec_b32 s20, s33
	s_cbranch_execz .LBB67_14
; %bb.13:                               ;   in Loop: Header=BB67_5 Depth=1
	v_add_nc_u64_e32 v[64:65], v[54:55], v[24:25]
	v_add_nc_u64_e32 v[66:67], v[56:57], v[24:25]
	global_load_b32 v5, v[64:65], off
	global_load_b32 v13, v[66:67], off
.LBB67_14:                              ;   in Loop: Header=BB67_5 Depth=1
	s_wait_xcnt 0x0
	s_or_b32 exec_lo, exec_lo, s20
	v_add_nc_u64_e32 v[64:65], s[28:29], v[58:59]
	s_delay_alu instid0(VALU_DEP_1) | instskip(SKIP_1) | instid1(SALU_CYCLE_1)
	v_cmp_gt_i64_e32 vcc_lo, s[4:5], v[64:65]
	s_and_b32 s33, s2, vcc_lo
	s_and_saveexec_b32 s20, s33
	s_cbranch_execz .LBB67_16
; %bb.15:                               ;   in Loop: Header=BB67_5 Depth=1
	v_add_nc_u64_e32 v[64:65], v[50:51], v[24:25]
	v_add_nc_u64_e32 v[66:67], v[52:53], v[24:25]
	global_load_b32 v6, v[64:65], off
	global_load_b32 v14, v[66:67], off
.LBB67_16:                              ;   in Loop: Header=BB67_5 Depth=1
	s_wait_xcnt 0x0
	;; [unrolled: 14-line block ×7, first 2 shown]
	s_or_b32 exec_lo, exec_lo, s20
	s_wait_loadcnt 0x1
	ds_bpermute_b32 v3, v2, v60
	ds_bpermute_b32 v63, v2, v60 offset:4
	ds_bpermute_b32 v64, v2, v60 offset:8
	s_wait_loadcnt 0x0
	ds_bpermute_b32 v66, v2, v61
	ds_bpermute_b32 v68, v2, v60 offset:12
	ds_bpermute_b32 v69, v2, v61 offset:4
	;; [unrolled: 1-line block ×6, first 2 shown]
	v_mov_b32_e32 v65, v4
	ds_bpermute_b32 v73, v2, v61 offset:16
	ds_bpermute_b32 v74, v2, v61 offset:20
	s_mov_b32 s20, 0
	s_wait_dscnt 0xb
	v_dual_mov_b32 v67, v5 :: v_dual_sub_f32 v3, v12, v3
	s_wait_dscnt 0xa
	v_sub_f32_e32 v12, v13, v63
	ds_bpermute_b32 v63, v2, v60 offset:24
	v_dual_mov_b32 v13, v6 :: v_dual_mul_f32 v3, v4, v3
	s_wait_dscnt 0xa
	v_sub_f32_e32 v4, v14, v64
	v_dual_mul_f32 v12, v5, v12 :: v_dual_mov_b32 v5, v7
	s_wait_dscnt 0x5
	v_dual_sub_f32 v16, v16, v72 :: v_dual_mul_f32 v64, v3, v66
	s_delay_alu instid0(VALU_DEP_2) | instskip(SKIP_1) | instid1(VALU_DEP_3)
	v_dual_sub_f32 v3, v15, v68 :: v_dual_mul_f32 v66, v12, v69
	v_mul_f32_e32 v4, v6, v4
	v_pk_add_f32 v[14:15], v[20:21], v[64:65]
	ds_bpermute_b32 v64, v2, v61 offset:24
	v_dual_mul_f32 v3, v7, v3 :: v_dual_mul_f32 v12, v4, v70
	v_pk_add_f32 v[6:7], v[66:67], v[14:15]
	s_wait_dscnt 0x4
	v_dual_sub_f32 v14, v17, v75 :: v_dual_mov_b32 v15, v8
	s_delay_alu instid0(VALU_DEP_3) | instskip(NEXT) | instid1(VALU_DEP_3)
	v_dual_mul_f32 v8, v8, v16 :: v_dual_mul_f32 v4, v3, v71
	v_pk_add_f32 v[6:7], v[12:13], v[6:7]
	ds_bpermute_b32 v3, v2, v61 offset:28
	s_wait_dscnt 0x2
	v_dual_sub_f32 v12, v18, v63 :: v_dual_mul_f32 v13, v9, v14
	v_mul_f32_e32 v14, v8, v73
	v_pk_add_f32 v[6:7], v[4:5], v[6:7]
	ds_bpermute_b32 v4, v2, v60 offset:28
	v_dual_mul_f32 v5, v10, v12 :: v_dual_mul_f32 v8, v13, v74
	v_mov_b32_e32 v13, v10
	v_pk_add_f32 v[6:7], v[14:15], v[6:7]
	s_wait_dscnt 0x2
	s_delay_alu instid0(VALU_DEP_3) | instskip(NEXT) | instid1(VALU_DEP_2)
	v_mul_f32_e32 v12, v5, v64
	v_pk_add_f32 v[6:7], v[8:9], v[6:7]
	s_delay_alu instid0(VALU_DEP_1)
	v_pk_add_f32 v[60:61], v[12:13], v[6:7]
.LBB67_27:                              ;   in Loop: Header=BB67_5 Depth=1
	s_and_b32 vcc_lo, exec_lo, s20
	s_cbranch_vccz .LBB67_4
; %bb.28:                               ;   in Loop: Header=BB67_5 Depth=1
	s_load_b32 s20, s[22:23], 0x0
	v_dual_mov_b32 v60, 0 :: v_dual_mov_b32 v61, 0
	s_wait_kmcnt 0x0
	s_cmp_lt_u32 s16, s20
	s_cselect_b32 s20, 12, 18
	s_delay_alu instid0(SALU_CYCLE_1)
	s_add_nc_u64 s[50:51], s[22:23], s[20:21]
	s_load_u16 s20, s[50:51], 0x0
	s_wait_dscnt 0x1
	s_wait_kmcnt 0x0
	v_mad_u32_u24 v3, v1, s20, v62
	s_mov_b32 s20, exec_lo
	s_wait_dscnt 0x0
	s_delay_alu instid0(VALU_DEP_1) | instskip(NEXT) | instid1(VALU_DEP_1)
	v_and_b32_e32 v4, 31, v3
	v_cmpx_gt_u32_e32 8, v4
	s_cbranch_execz .LBB67_32
; %bb.29:                               ;   in Loop: Header=BB67_5 Depth=1
	v_dual_mov_b32 v5, v2 :: v_dual_mov_b32 v60, 0
	v_mov_b32_e32 v61, 0
	s_mov_b32 s33, exec_lo
	s_delay_alu instid0(VALU_DEP_2) | instskip(NEXT) | instid1(VALU_DEP_1)
	v_add_nc_u64_e32 v[4:5], v[58:59], v[4:5]
	v_add_nc_u64_e32 v[4:5], s[24:25], v[4:5]
	s_delay_alu instid0(VALU_DEP_1)
	v_cmpx_gt_i64_e64 s[4:5], v[4:5]
	s_cbranch_execz .LBB67_31
; %bb.30:                               ;   in Loop: Header=BB67_5 Depth=1
	v_lshlrev_b64_e32 v[4:5], 2, v[4:5]
	s_delay_alu instid0(VALU_DEP_1)
	v_add_nc_u64_e32 v[6:7], s[12:13], v[4:5]
	v_add_nc_u64_e32 v[4:5], s[14:15], v[4:5]
	global_load_b32 v60, v[6:7], off
	global_load_b32 v61, v[4:5], off
.LBB67_31:                              ;   in Loop: Header=BB67_5 Depth=1
	s_wait_xcnt 0x0
	s_or_b32 exec_lo, exec_lo, s33
.LBB67_32:                              ;   in Loop: Header=BB67_5 Depth=1
	s_delay_alu instid0(SALU_CYCLE_1) | instskip(SKIP_4) | instid1(VALU_DEP_3)
	s_or_b32 exec_lo, exec_lo, s20
	v_dual_mov_b32 v7, v2 :: v_dual_mov_b32 v8, v2
	v_dual_mov_b32 v9, v2 :: v_dual_mov_b32 v3, v2
	;; [unrolled: 1-line block ×3, first 2 shown]
	v_mov_b32_e32 v6, v2
	v_mov_b64_e32 v[18:19], v[8:9]
	s_delay_alu instid0(VALU_DEP_4) | instskip(NEXT) | instid1(VALU_DEP_4)
	v_mov_b64_e32 v[12:13], v[2:3]
	v_mov_b64_e32 v[14:15], v[4:5]
	s_delay_alu instid0(VALU_DEP_4)
	v_mov_b64_e32 v[16:17], v[6:7]
	v_mov_b64_e32 v[10:11], v[8:9]
	;; [unrolled: 1-line block ×5, first 2 shown]
	s_and_saveexec_b32 s20, s2
	s_cbranch_execnz .LBB67_40
; %bb.33:                               ;   in Loop: Header=BB67_5 Depth=1
	s_or_b32 exec_lo, exec_lo, s20
	s_and_saveexec_b32 s20, s2
	s_cbranch_execnz .LBB67_41
.LBB67_34:                              ;   in Loop: Header=BB67_5 Depth=1
	s_or_b32 exec_lo, exec_lo, s20
	s_and_saveexec_b32 s20, s2
	s_cbranch_execnz .LBB67_42
.LBB67_35:                              ;   in Loop: Header=BB67_5 Depth=1
	s_or_b32 exec_lo, exec_lo, s20
	s_and_saveexec_b32 s20, s2
	s_cbranch_execnz .LBB67_43
.LBB67_36:                              ;   in Loop: Header=BB67_5 Depth=1
	s_or_b32 exec_lo, exec_lo, s20
	s_and_saveexec_b32 s20, s2
	s_cbranch_execnz .LBB67_44
.LBB67_37:                              ;   in Loop: Header=BB67_5 Depth=1
	s_or_b32 exec_lo, exec_lo, s20
	s_and_saveexec_b32 s20, s2
	s_cbranch_execnz .LBB67_45
.LBB67_38:                              ;   in Loop: Header=BB67_5 Depth=1
	s_or_b32 exec_lo, exec_lo, s20
	s_and_saveexec_b32 s20, s2
	s_cbranch_execnz .LBB67_46
.LBB67_39:                              ;   in Loop: Header=BB67_5 Depth=1
	s_or_b32 exec_lo, exec_lo, s20
	s_and_saveexec_b32 s20, s2
	s_cbranch_execz .LBB67_3
	s_branch .LBB67_47
.LBB67_40:                              ;   in Loop: Header=BB67_5 Depth=1
	v_add_nc_u64_e32 v[6:7], v[26:27], v[24:25]
	v_add_nc_u64_e32 v[8:9], v[28:29], v[24:25]
	v_dual_mov_b32 v5, v2 :: v_dual_mov_b32 v11, v2
	v_dual_mov_b32 v13, v2 :: v_dual_mov_b32 v14, v2
	v_mov_b32_e32 v15, v2
	global_load_b32 v4, v[6:7], off
	global_load_b32 v12, v[8:9], off
	s_wait_xcnt 0x1
	v_dual_mov_b32 v6, v2 :: v_dual_mov_b32 v7, v2
	s_wait_xcnt 0x0
	v_dual_mov_b32 v8, v2 :: v_dual_mov_b32 v9, v2
	v_dual_mov_b32 v10, v2 :: v_dual_mov_b32 v16, v2
	;; [unrolled: 1-line block ×3, first 2 shown]
	v_mov_b32_e32 v19, v2
	s_or_b32 exec_lo, exec_lo, s20
	s_and_saveexec_b32 s20, s2
	s_cbranch_execz .LBB67_34
.LBB67_41:                              ;   in Loop: Header=BB67_5 Depth=1
	v_add_nc_u64_e32 v[58:59], v[54:55], v[24:25]
	v_add_nc_u64_e32 v[64:65], v[56:57], v[24:25]
	global_load_b32 v5, v[58:59], off
	global_load_b32 v13, v[64:65], off
	s_wait_xcnt 0x0
	s_or_b32 exec_lo, exec_lo, s20
	s_and_saveexec_b32 s20, s2
	s_cbranch_execz .LBB67_35
.LBB67_42:                              ;   in Loop: Header=BB67_5 Depth=1
	v_add_nc_u64_e32 v[58:59], v[50:51], v[24:25]
	v_add_nc_u64_e32 v[64:65], v[52:53], v[24:25]
	global_load_b32 v6, v[58:59], off
	global_load_b32 v14, v[64:65], off
	s_wait_xcnt 0x0
	s_or_b32 exec_lo, exec_lo, s20
	s_and_saveexec_b32 s20, s2
	s_cbranch_execz .LBB67_36
.LBB67_43:                              ;   in Loop: Header=BB67_5 Depth=1
	v_add_nc_u64_e32 v[58:59], v[46:47], v[24:25]
	v_add_nc_u64_e32 v[64:65], v[48:49], v[24:25]
	global_load_b32 v7, v[58:59], off
	global_load_b32 v15, v[64:65], off
	s_wait_xcnt 0x0
	s_or_b32 exec_lo, exec_lo, s20
	s_and_saveexec_b32 s20, s2
	s_cbranch_execz .LBB67_37
.LBB67_44:                              ;   in Loop: Header=BB67_5 Depth=1
	v_add_nc_u64_e32 v[58:59], v[42:43], v[24:25]
	v_add_nc_u64_e32 v[64:65], v[44:45], v[24:25]
	global_load_b32 v8, v[58:59], off
	global_load_b32 v16, v[64:65], off
	s_wait_xcnt 0x0
	s_or_b32 exec_lo, exec_lo, s20
	s_and_saveexec_b32 s20, s2
	s_cbranch_execz .LBB67_38
.LBB67_45:                              ;   in Loop: Header=BB67_5 Depth=1
	v_add_nc_u64_e32 v[58:59], v[38:39], v[24:25]
	v_add_nc_u64_e32 v[64:65], v[40:41], v[24:25]
	global_load_b32 v9, v[58:59], off
	global_load_b32 v17, v[64:65], off
	s_wait_xcnt 0x0
	s_or_b32 exec_lo, exec_lo, s20
	s_and_saveexec_b32 s20, s2
	s_cbranch_execz .LBB67_39
.LBB67_46:                              ;   in Loop: Header=BB67_5 Depth=1
	v_add_nc_u64_e32 v[58:59], v[34:35], v[24:25]
	v_add_nc_u64_e32 v[64:65], v[36:37], v[24:25]
	global_load_b32 v10, v[58:59], off
	global_load_b32 v18, v[64:65], off
	s_wait_xcnt 0x0
	s_or_b32 exec_lo, exec_lo, s20
	s_and_saveexec_b32 s20, s2
	s_cbranch_execz .LBB67_3
.LBB67_47:                              ;   in Loop: Header=BB67_5 Depth=1
	v_add_nc_u64_e32 v[58:59], v[30:31], v[24:25]
	v_add_nc_u64_e32 v[64:65], v[32:33], v[24:25]
	global_load_b32 v11, v[58:59], off
	global_load_b32 v19, v[64:65], off
	s_branch .LBB67_3
.LBB67_48:
                                        ; implicit-def: $vgpr21
	s_branch .LBB67_50
.LBB67_49:
	s_cbranch_execnz .LBB67_81
.LBB67_50:
	v_mov_b32_e32 v21, 0
	s_and_not1_b32 vcc_lo, exec_lo, s17
	s_delay_alu instid0(VALU_DEP_1)
	v_mov_b32_e32 v20, v21
	s_cbranch_vccnz .LBB67_81
; %bb.51:
	v_bfe_u32 v1, v0, 10, 10
	v_mov_b32_e32 v2, 0
	v_and_b32_e32 v88, 0x3ff, v0
	s_load_b32 s2, s[0:1], 0x44
	s_mov_b64 s[22:23], 0xffffffffffffff83
	s_delay_alu instid0(VALU_DEP_2) | instskip(SKIP_3) | instid1(VALU_DEP_2)
	v_dual_mov_b32 v5, v2 :: v_dual_lshlrev_b32 v4, 5, v1
	v_dual_mov_b32 v23, v2 :: v_dual_lshlrev_b32 v22, 3, v1
	s_mov_b64 s[24:25], 0xffffffffffffff84
	s_mov_b64 s[26:27], 0xffffffffffffff85
	v_lshl_add_u64 v[4:5], s[18:19], 2, v[4:5]
	s_mov_b64 s[28:29], 0xffffffffffffff86
	v_add_nc_u64_e32 v[8:9], s[18:19], v[22:23]
	s_mov_b64 s[30:31], 0xffffffffffffff87
	s_mov_b64 s[34:35], 0xffffffffffffff88
	v_add_nc_u64_e32 v[6:7], 4, v[4:5]
	v_add_nc_u64_e32 v[10:11], 8, v[4:5]
	;; [unrolled: 1-line block ×4, first 2 shown]
	v_mul_u64_e32 v[20:21], s[6:7], v[8:9]
	v_add_nc_u64_e32 v[44:45], 4, v[8:9]
	v_add_nc_u64_e32 v[16:17], 20, v[4:5]
	v_mad_nc_u64_u32 v[24:25], s6, v6, s[8:9]
	v_mul_lo_u32 v3, s6, v7
	v_mul_lo_u32 v42, s7, v6
	v_mad_nc_u64_u32 v[34:35], s6, v6, s[10:11]
	v_add_nc_u64_e32 v[6:7], 7, v[8:9]
	v_mad_nc_u64_u32 v[26:27], s6, v10, s[8:9]
	v_mul_lo_u32 v43, s6, v11
	v_mul_lo_u32 v46, s7, v10
	v_mad_nc_u64_u32 v[36:37], s6, v10, s[10:11]
	v_mad_nc_u64_u32 v[28:29], s6, v12, s[8:9]
	v_mul_lo_u32 v52, s6, v13
	v_mul_lo_u32 v53, s7, v12
	v_mad_nc_u64_u32 v[40:41], s6, v12, s[10:11]
	v_add_nc_u64_e32 v[10:11], 6, v[8:9]
	v_mul_u64_e32 v[6:7], s[6:7], v[6:7]
	v_add_nc_u64_e32 v[12:13], 5, v[8:9]
	v_mad_nc_u64_u32 v[30:31], s6, v14, s[8:9]
	v_mul_lo_u32 v54, s6, v15
	v_mul_lo_u32 v55, s7, v14
	v_add3_u32 v25, v42, v25, v3
	v_add3_u32 v27, v46, v27, v43
	v_add3_u32 v35, v42, v35, v3
	v_mul_u64_e32 v[10:11], s[6:7], v[10:11]
	v_add3_u32 v37, v46, v37, v43
	v_mad_nc_u64_u32 v[42:43], s6, v14, s[10:11]
	v_add_nc_u64_e32 v[14:15], 3, v[8:9]
	v_add_nc_u64_e32 v[8:9], 2, v[8:9]
	v_mul_u64_e32 v[12:13], s[6:7], v[12:13]
	v_mul_u64_e32 v[62:63], s[6:7], v[44:45]
	v_add_nc_u64_e32 v[18:19], 24, v[4:5]
	v_add_nc_u64_e32 v[4:5], 28, v[4:5]
	v_mad_nc_u64_u32 v[32:33], s6, v16, s[8:9]
	v_mul_u64_e32 v[14:15], s[6:7], v[14:15]
	v_mul_u64_e32 v[8:9], s[6:7], v[8:9]
	v_mul_lo_u32 v17, s6, v17
	v_mul_lo_u32 v56, s7, v16
	v_mad_nc_u64_u32 v[44:45], s6, v16, s[10:11]
	v_mad_nc_u64_u32 v[46:47], s6, v4, s[8:9]
	v_mul_lo_u32 v3, s6, v5
	v_mul_lo_u32 v16, s7, v4
	v_mad_nc_u64_u32 v[50:51], s6, v4, s[10:11]
	v_dual_mov_b32 v5, v2 :: v_dual_add_nc_u32 v4, s3, v88
	v_add3_u32 v29, v53, v29, v52
	v_add3_u32 v41, v53, v41, v52
	v_mad_nc_u64_u32 v[38:39], s6, v18, s[8:9]
	v_lshlrev_b64_e32 v[6:7], 2, v[6:7]
	v_add3_u32 v33, v56, v33, v17
	v_add3_u32 v45, v56, v45, v17
	v_mul_lo_u32 v19, s6, v19
	v_add3_u32 v47, v16, v47, v3
	v_add3_u32 v51, v16, v51, v3
	v_lshlrev_b64_e32 v[16:17], 2, v[20:21]
	v_add_nc_u64_e32 v[58:59], s[8:9], v[6:7]
	v_add_nc_u64_e32 v[60:61], s[10:11], v[6:7]
	v_mul_lo_u32 v57, s7, v18
	v_mad_nc_u64_u32 v[48:49], s6, v18, s[10:11]
	s_mov_b32 s3, 0
	v_add3_u32 v31, v55, v31, v54
	v_lshlrev_b64_e32 v[6:7], 2, v[12:13]
	v_add_nc_u64_e32 v[12:13], s[6:7], v[20:21]
	v_mov_b32_e32 v20, 0
	v_lshlrev_b64_e32 v[52:53], 2, v[4:5]
	v_lshlrev_b64_e32 v[4:5], 2, v[10:11]
	;; [unrolled: 1-line block ×4, first 2 shown]
	v_add_nc_u64_e32 v[66:67], s[8:9], v[6:7]
	v_add_nc_u64_e32 v[68:69], s[10:11], v[6:7]
	v_lshlrev_b64_e32 v[6:7], 2, v[12:13]
	v_add3_u32 v43, v55, v43, v54
	v_add_nc_u64_e32 v[62:63], s[8:9], v[4:5]
	v_add_nc_u64_e32 v[64:65], s[10:11], v[4:5]
	v_lshlrev_b64_e32 v[4:5], 2, v[14:15]
	v_add3_u32 v39, v57, v39, v19
	v_add3_u32 v49, v57, v49, v19
	v_add_nc_u64_e32 v[54:55], s[8:9], v[16:17]
	v_add_nc_u64_e32 v[56:57], s[10:11], v[16:17]
	;; [unrolled: 1-line block ×10, first 2 shown]
	s_wait_kmcnt 0x0
	s_lshl_b32 s20, s2, 7
	s_mov_b32 s21, s3
	v_mov_b32_e32 v21, v2
	s_mul_u64 s[38:39], s[6:7], s[20:21]
	s_mov_b64 s[8:9], 0xffffffffffffff81
	s_mov_b64 s[10:11], 0xffffffffffffff82
	s_add_nc_u64 s[36:37], s[0:1], 64
	s_lshl_b64 s[38:39], s[38:39], 2
	s_add_nc_u64 s[40:41], s[18:19], 0x7f
	s_branch .LBB67_55
.LBB67_52:                              ;   in Loop: Header=BB67_55 Depth=1
	s_wait_xcnt 0x0
	s_or_b32 exec_lo, exec_lo, s17
.LBB67_53:                              ;   in Loop: Header=BB67_55 Depth=1
	s_delay_alu instid0(SALU_CYCLE_1)
	s_or_b32 exec_lo, exec_lo, s2
	v_add_nc_u64_e32 v[4:5], v[56:57], v[52:53]
	v_add_nc_u64_e32 v[8:9], v[34:35], v[52:53]
	;; [unrolled: 1-line block ×6, first 2 shown]
	s_wait_loadcnt 0x0
	ds_bpermute_b32 v93, v2, v3 offset:4
	global_load_b32 v16, v[4:5], off
	s_wait_xcnt 0x0
	v_add_nc_u64_e32 v[4:5], v[36:37], v[52:53]
	global_load_b32 v18, v[8:9], off
	global_load_b32 v17, v[10:11], off
	s_wait_xcnt 0x1
	v_add_nc_u64_e32 v[8:9], v[26:27], v[52:53]
	s_wait_xcnt 0x0
	v_add_nc_u64_e32 v[10:11], v[28:29], v[52:53]
	ds_bpermute_b32 v94, v2, v6 offset:16
	ds_bpermute_b32 v95, v2, v3 offset:8
	global_load_b32 v86, v[4:5], off
	global_load_b32 v7, v[12:13], off
	s_wait_xcnt 0x1
	v_add_nc_u64_e32 v[4:5], v[42:43], v[52:53]
	global_load_b32 v12, v[14:15], off
	global_load_b32 v13, v[8:9], off
	s_wait_xcnt 0x0
	v_add_nc_u64_e32 v[8:9], v[44:45], v[52:53]
	v_add_nc_u64_e32 v[14:15], v[30:31], v[52:53]
	ds_bpermute_b32 v96, v2, v6 offset:20
	global_load_b32 v89, v[4:5], off
	global_load_b32 v19, v[10:11], off
	s_wait_xcnt 0x1
	v_add_nc_u64_e32 v[4:5], v[48:49], v[52:53]
	s_wait_xcnt 0x0
	v_add_nc_u64_e32 v[10:11], v[32:33], v[52:53]
	global_load_b32 v92, v[8:9], off
	global_load_b32 v87, v[14:15], off
	s_wait_xcnt 0x1
	v_add_nc_u64_e32 v[8:9], v[38:39], v[52:53]
	global_load_b32 v14, v[4:5], off
	global_load_b32 v15, v[10:11], off
	s_wait_xcnt 0x1
	v_add_nc_u64_e32 v[4:5], v[50:51], v[52:53]
	s_wait_xcnt 0x0
	ds_bpermute_b32 v10, v2, v6 offset:8
	global_load_b32 v9, v[8:9], off
	global_load_b32 v8, v[4:5], off
	;; [unrolled: 1-line block ×3, first 2 shown]
	s_wait_xcnt 0x1
	ds_bpermute_b32 v4, v2, v6
	ds_bpermute_b32 v5, v2, v6 offset:4
	s_wait_xcnt 0x0
	ds_bpermute_b32 v90, v2, v3
	ds_bpermute_b32 v91, v2, v6 offset:12
	ds_bpermute_b32 v97, v2, v3 offset:12
	;; [unrolled: 1-line block ×5, first 2 shown]
	s_wait_loadcnt_dscnt 0xe06
	v_dual_sub_f32 v4, v16, v4 :: v_dual_sub_f32 v5, v18, v5
	s_wait_loadcnt 0xc
	s_delay_alu instid0(VALU_DEP_1) | instskip(SKIP_1) | instid1(VALU_DEP_2)
	v_dual_mul_f32 v4, v17, v4 :: v_dual_sub_f32 v10, v86, v10
	s_wait_loadcnt_dscnt 0xa04
	v_dual_mul_f32 v5, v7, v5 :: v_dual_sub_f32 v12, v12, v91
	s_delay_alu instid0(VALU_DEP_2)
	v_mul_f32_e32 v16, v4, v90
	ds_bpermute_b32 v90, v2, v6 offset:28
	s_wait_loadcnt 0x9
	v_mul_f32_e32 v10, v13, v10
	v_mul_f32_e32 v6, v5, v93
	v_pk_add_f32 v[4:5], v[20:21], v[16:17]
	ds_bpermute_b32 v16, v2, v3 offset:24
	s_wait_loadcnt 0x7
	v_dual_sub_f32 v17, v89, v94 :: v_dual_mul_f32 v18, v19, v12
	v_mul_f32_e32 v12, v10, v95
	v_pk_add_f32 v[4:5], v[4:5], v[6:7]
	s_wait_loadcnt 0x5
	s_delay_alu instid0(VALU_DEP_3)
	v_dual_sub_f32 v6, v92, v96 :: v_dual_mul_f32 v7, v87, v17
	s_wait_dscnt 0x5
	v_mul_f32_e32 v18, v18, v97
	ds_bpermute_b32 v3, v2, v3 offset:28
	v_pk_add_f32 v[4:5], v[4:5], v[12:13]
	s_wait_loadcnt_dscnt 0x404
	v_dual_sub_f32 v10, v14, v98 :: v_dual_mul_f32 v86, v7, v99
	s_wait_loadcnt 0x3
	v_mul_f32_e32 v6, v15, v6
	v_pk_add_f32 v[4:5], v[4:5], v[18:19]
	s_wait_loadcnt_dscnt 0x203
	s_delay_alu instid0(VALU_DEP_2)
	v_dual_mul_f32 v7, v9, v10 :: v_dual_mul_f32 v14, v6, v100
	s_wait_loadcnt_dscnt 0x102
	v_sub_f32_e32 v6, v8, v90
	v_pk_add_f32 v[4:5], v[4:5], v[86:87]
	s_wait_dscnt 0x1
	v_mul_f32_e32 v8, v7, v16
	s_wait_loadcnt 0x0
	v_mul_f32_e32 v6, v11, v6
	v_pk_add_f32 v[4:5], v[4:5], v[14:15]
	s_wait_dscnt 0x0
	s_delay_alu instid0(VALU_DEP_2) | instskip(NEXT) | instid1(VALU_DEP_2)
	v_mul_f32_e32 v10, v6, v3
	v_pk_add_f32 v[4:5], v[4:5], v[8:9]
.LBB67_54:                              ;   in Loop: Header=BB67_55 Depth=1
	s_add_nc_u64 s[18:19], s[18:19], s[20:21]
	v_add_nc_u64_e32 v[54:55], s[38:39], v[54:55]
	v_cmp_ge_i64_e64 s2, s[18:19], s[4:5]
	v_add_nc_u64_e32 v[56:57], s[38:39], v[56:57]
	v_add_nc_u64_e32 v[24:25], s[38:39], v[24:25]
	v_add_nc_u64_e32 v[26:27], s[38:39], v[26:27]
	v_add_nc_u64_e32 v[28:29], s[38:39], v[28:29]
	v_add_nc_u64_e32 v[30:31], s[38:39], v[30:31]
	v_add_nc_u64_e32 v[32:33], s[38:39], v[32:33]
	v_add_nc_u64_e32 v[38:39], s[38:39], v[38:39]
	v_add_nc_u64_e32 v[46:47], s[38:39], v[46:47]
	v_add_nc_u64_e32 v[34:35], s[38:39], v[34:35]
	v_add_nc_u64_e32 v[36:37], s[38:39], v[36:37]
	v_add_nc_u64_e32 v[40:41], s[38:39], v[40:41]
	v_add_nc_u64_e32 v[42:43], s[38:39], v[42:43]
	v_add_nc_u64_e32 v[44:45], s[38:39], v[44:45]
	v_add_nc_u64_e32 v[48:49], s[38:39], v[48:49]
	v_add_nc_u64_e32 v[50:51], s[38:39], v[50:51]
	v_add_nc_u64_e32 v[58:59], s[38:39], v[58:59]
	v_add_nc_u64_e32 v[60:61], s[38:39], v[60:61]
	v_add_nc_u64_e32 v[62:63], s[38:39], v[62:63]
	v_add_nc_u64_e32 v[64:65], s[38:39], v[64:65]
	v_add_nc_u64_e32 v[66:67], s[38:39], v[66:67]
	v_add_nc_u64_e32 v[68:69], s[38:39], v[68:69]
	v_add_nc_u64_e32 v[70:71], s[38:39], v[70:71]
	v_add_nc_u64_e32 v[72:73], s[38:39], v[72:73]
	v_add_nc_u64_e32 v[74:75], s[38:39], v[74:75]
	v_add_nc_u64_e32 v[76:77], s[38:39], v[76:77]
	v_add_nc_u64_e32 v[78:79], s[38:39], v[78:79]
	v_add_nc_u64_e32 v[80:81], s[38:39], v[80:81]
	v_add_nc_u64_e32 v[82:83], s[38:39], v[82:83]
	v_add_nc_u64_e32 v[84:85], s[38:39], v[84:85]
	v_pk_add_f32 v[20:21], v[4:5], v[10:11]
	s_and_b32 vcc_lo, exec_lo, s2
	s_add_nc_u64 s[40:41], s[40:41], s[20:21]
	s_cbranch_vccnz .LBB67_81
.LBB67_55:                              ; =>This Inner Loop Header: Depth=1
	v_cmp_ge_i64_e64 s2, s[40:41], s[4:5]
	v_add_nc_u64_e32 v[86:87], s[40:41], v[22:23]
                                        ; implicit-def: $vgpr4_vgpr5
                                        ; implicit-def: $vgpr10_vgpr11
	s_and_b32 vcc_lo, exec_lo, s2
	s_mov_b32 s2, -1
	s_cbranch_vccz .LBB67_77
; %bb.56:                               ;   in Loop: Header=BB67_55 Depth=1
	s_load_b32 s2, s[36:37], 0xc
	v_dual_mov_b32 v90, 0 :: v_dual_mov_b32 v89, 0
	s_wait_kmcnt 0x0
	s_and_b32 s2, s2, 0xffff
	s_delay_alu instid0(SALU_CYCLE_1) | instskip(SKIP_1) | instid1(VALU_DEP_1)
	v_mad_u32_u24 v3, v1, s2, v88
	s_mov_b32 s2, exec_lo
	v_and_b32_e32 v4, 31, v3
	s_delay_alu instid0(VALU_DEP_1)
	v_cmpx_gt_u32_e32 8, v4
	s_cbranch_execz .LBB67_60
; %bb.57:                               ;   in Loop: Header=BB67_55 Depth=1
	v_dual_mov_b32 v5, v2 :: v_dual_mov_b32 v90, 0
	v_mov_b32_e32 v89, 0
	s_mov_b32 s17, exec_lo
	s_delay_alu instid0(VALU_DEP_2) | instskip(NEXT) | instid1(VALU_DEP_1)
	v_add_nc_u64_e32 v[4:5], v[86:87], v[4:5]
	v_add_nc_u64_e32 v[4:5], s[8:9], v[4:5]
	s_delay_alu instid0(VALU_DEP_1)
	v_cmpx_gt_i64_e64 s[4:5], v[4:5]
	s_cbranch_execz .LBB67_59
; %bb.58:                               ;   in Loop: Header=BB67_55 Depth=1
	v_lshlrev_b64_e32 v[4:5], 2, v[4:5]
	s_delay_alu instid0(VALU_DEP_1)
	v_add_nc_u64_e32 v[6:7], s[12:13], v[4:5]
	v_add_nc_u64_e32 v[4:5], s[14:15], v[4:5]
	global_load_b32 v90, v[6:7], off
	global_load_b32 v89, v[4:5], off
.LBB67_59:                              ;   in Loop: Header=BB67_55 Depth=1
	s_wait_xcnt 0x0
	s_or_b32 exec_lo, exec_lo, s17
.LBB67_60:                              ;   in Loop: Header=BB67_55 Depth=1
	s_delay_alu instid0(SALU_CYCLE_1)
	s_or_b32 exec_lo, exec_lo, s2
	v_add_nc_u64_e32 v[10:11], s[8:9], v[86:87]
	v_dual_mov_b32 v7, v2 :: v_dual_mov_b32 v8, v2
	v_dual_mov_b32 v9, v2 :: v_dual_mov_b32 v3, v2
	;; [unrolled: 1-line block ×3, first 2 shown]
	v_mov_b32_e32 v6, v2
	s_delay_alu instid0(VALU_DEP_3)
	v_mov_b64_e32 v[18:19], v[8:9]
	v_cmp_gt_i64_e32 vcc_lo, s[4:5], v[10:11]
	v_mov_b64_e32 v[12:13], v[2:3]
	v_mov_b64_e32 v[14:15], v[4:5]
	;; [unrolled: 1-line block ×7, first 2 shown]
	s_and_saveexec_b32 s2, vcc_lo
	s_cbranch_execz .LBB67_62
; %bb.61:                               ;   in Loop: Header=BB67_55 Depth=1
	v_add_nc_u64_e32 v[6:7], v[54:55], v[52:53]
	v_add_nc_u64_e32 v[8:9], v[56:57], v[52:53]
	v_dual_mov_b32 v5, v2 :: v_dual_mov_b32 v11, v2
	v_dual_mov_b32 v13, v2 :: v_dual_mov_b32 v14, v2
	v_mov_b32_e32 v15, v2
	global_load_b32 v4, v[6:7], off
	global_load_b32 v12, v[8:9], off
	s_wait_xcnt 0x1
	v_dual_mov_b32 v6, v2 :: v_dual_mov_b32 v7, v2
	s_wait_xcnt 0x0
	v_dual_mov_b32 v8, v2 :: v_dual_mov_b32 v9, v2
	v_dual_mov_b32 v10, v2 :: v_dual_mov_b32 v16, v2
	;; [unrolled: 1-line block ×3, first 2 shown]
	v_mov_b32_e32 v19, v2
.LBB67_62:                              ;   in Loop: Header=BB67_55 Depth=1
	s_or_b32 exec_lo, exec_lo, s2
	v_add_nc_u64_e32 v[92:93], s[10:11], v[86:87]
	s_mov_b32 s2, exec_lo
	s_delay_alu instid0(VALU_DEP_1)
	v_cmpx_gt_i64_e64 s[4:5], v[92:93]
	s_cbranch_execz .LBB67_64
; %bb.63:                               ;   in Loop: Header=BB67_55 Depth=1
	v_add_nc_u64_e32 v[92:93], v[82:83], v[52:53]
	v_add_nc_u64_e32 v[94:95], v[84:85], v[52:53]
	global_load_b32 v5, v[92:93], off
	global_load_b32 v13, v[94:95], off
.LBB67_64:                              ;   in Loop: Header=BB67_55 Depth=1
	s_wait_xcnt 0x0
	s_or_b32 exec_lo, exec_lo, s2
	v_add_nc_u64_e32 v[92:93], s[22:23], v[86:87]
	s_mov_b32 s2, exec_lo
	s_delay_alu instid0(VALU_DEP_1)
	v_cmpx_gt_i64_e64 s[4:5], v[92:93]
	s_cbranch_execz .LBB67_66
; %bb.65:                               ;   in Loop: Header=BB67_55 Depth=1
	v_add_nc_u64_e32 v[92:93], v[78:79], v[52:53]
	v_add_nc_u64_e32 v[94:95], v[80:81], v[52:53]
	global_load_b32 v6, v[92:93], off
	global_load_b32 v14, v[94:95], off
.LBB67_66:                              ;   in Loop: Header=BB67_55 Depth=1
	s_wait_xcnt 0x0
	;; [unrolled: 13-line block ×7, first 2 shown]
	s_or_b32 exec_lo, exec_lo, s2
	s_wait_loadcnt 0x1
	ds_bpermute_b32 v3, v2, v90
	ds_bpermute_b32 v92, v2, v90 offset:4
	ds_bpermute_b32 v94, v2, v90 offset:8
	s_wait_loadcnt 0x0
	ds_bpermute_b32 v96, v2, v89
	ds_bpermute_b32 v97, v2, v90 offset:12
	ds_bpermute_b32 v98, v2, v89 offset:4
	;; [unrolled: 1-line block ×7, first 2 shown]
	v_dual_mov_b32 v93, v4 :: v_dual_mov_b32 v91, v6
	ds_bpermute_b32 v105, v2, v90 offset:24
	ds_bpermute_b32 v103, v2, v89 offset:20
	s_mov_b32 s2, 0
	s_wait_dscnt 0xc
	v_dual_mov_b32 v95, v5 :: v_dual_sub_f32 v3, v12, v3
	s_wait_dscnt 0xb
	v_dual_sub_f32 v12, v13, v92 :: v_dual_mov_b32 v13, v7
	s_wait_dscnt 0xa
	s_delay_alu instid0(VALU_DEP_2) | instskip(SKIP_1) | instid1(VALU_DEP_2)
	v_dual_mul_f32 v3, v4, v3 :: v_dual_sub_f32 v4, v14, v94
	s_wait_dscnt 0x8
	v_dual_mul_f32 v5, v5, v12 :: v_dual_sub_f32 v12, v15, v97
	ds_bpermute_b32 v14, v2, v90 offset:28
	v_mul_f32_e32 v92, v3, v96
	s_wait_dscnt 0x6
	v_dual_mul_f32 v6, v6, v4 :: v_dual_sub_f32 v15, v16, v102
	v_mul_f32_e32 v94, v5, v98
	ds_bpermute_b32 v3, v2, v89 offset:24
	v_pk_add_f32 v[4:5], v[20:21], v[92:93]
	v_dual_mul_f32 v12, v7, v12 :: v_dual_mul_f32 v90, v6, v99
	s_wait_dscnt 0x5
	v_dual_mov_b32 v7, v8 :: v_dual_sub_f32 v6, v17, v104
	s_delay_alu instid0(VALU_DEP_3) | instskip(SKIP_2) | instid1(VALU_DEP_3)
	v_pk_add_f32 v[4:5], v[94:95], v[4:5]
	s_wait_dscnt 0x3
	v_dual_mul_f32 v8, v8, v15 :: v_dual_sub_f32 v16, v18, v105
	v_dual_mul_f32 v12, v12, v100 :: v_dual_mul_f32 v17, v9, v6
	s_delay_alu instid0(VALU_DEP_3)
	v_pk_add_f32 v[4:5], v[90:91], v[4:5]
	ds_bpermute_b32 v15, v2, v89 offset:28
	s_wait_dscnt 0x3
	v_dual_mul_f32 v6, v8, v101 :: v_dual_mul_f32 v8, v17, v103
	v_pk_add_f32 v[4:5], v[12:13], v[4:5]
	s_wait_dscnt 0x2
	v_dual_mul_f32 v12, v10, v16 :: v_dual_sub_f32 v13, v19, v14
	s_delay_alu instid0(VALU_DEP_2) | instskip(SKIP_1) | instid1(VALU_DEP_2)
	v_pk_add_f32 v[4:5], v[6:7], v[4:5]
	s_wait_dscnt 0x1
	v_dual_mov_b32 v7, v10 :: v_dual_mul_f32 v6, v12, v3
	s_delay_alu instid0(VALU_DEP_3) | instskip(NEXT) | instid1(VALU_DEP_3)
	v_mul_f32_e32 v3, v11, v13
	v_pk_add_f32 v[4:5], v[8:9], v[4:5]
	s_delay_alu instid0(VALU_DEP_1) | instskip(SKIP_1) | instid1(VALU_DEP_3)
	v_pk_add_f32 v[4:5], v[6:7], v[4:5]
	s_wait_dscnt 0x0
	v_mul_f32_e32 v10, v3, v15
.LBB67_77:                              ;   in Loop: Header=BB67_55 Depth=1
	s_and_b32 vcc_lo, exec_lo, s2
	s_cbranch_vccz .LBB67_54
; %bb.78:                               ;   in Loop: Header=BB67_55 Depth=1
	s_load_b32 s2, s[36:37], 0x0
	v_mov_b32_e32 v6, 0
	s_wait_kmcnt 0x0
	s_cmp_lt_u32 s16, s2
	s_cselect_b32 s2, 12, 18
	s_delay_alu instid0(SALU_CYCLE_1) | instskip(SKIP_4) | instid1(VALU_DEP_1)
	s_add_nc_u64 s[42:43], s[36:37], s[2:3]
	s_load_u16 s2, s[42:43], 0x0
	s_wait_kmcnt 0x0
	v_mad_u32_u24 v3, v1, s2, v88
	s_mov_b32 s2, exec_lo
	v_dual_mov_b32 v3, 0 :: v_dual_bitop2_b32 v4, 31, v3 bitop3:0x40
	s_delay_alu instid0(VALU_DEP_1)
	v_cmpx_gt_u32_e32 8, v4
	s_cbranch_execz .LBB67_53
; %bb.79:                               ;   in Loop: Header=BB67_55 Depth=1
	v_dual_mov_b32 v5, v2 :: v_dual_mov_b32 v6, 0
	v_mov_b32_e32 v3, 0
	s_mov_b32 s17, exec_lo
	s_delay_alu instid0(VALU_DEP_2) | instskip(NEXT) | instid1(VALU_DEP_1)
	v_add_nc_u64_e32 v[4:5], v[86:87], v[4:5]
	v_add_nc_u64_e32 v[4:5], s[8:9], v[4:5]
	s_delay_alu instid0(VALU_DEP_1)
	v_cmpx_gt_i64_e64 s[4:5], v[4:5]
	s_cbranch_execz .LBB67_52
; %bb.80:                               ;   in Loop: Header=BB67_55 Depth=1
	v_lshlrev_b64_e32 v[4:5], 2, v[4:5]
	s_delay_alu instid0(VALU_DEP_1)
	v_add_nc_u64_e32 v[8:9], s[12:13], v[4:5]
	v_add_nc_u64_e32 v[4:5], s[14:15], v[4:5]
	global_load_b32 v6, v[8:9], off
	global_load_b32 v3, v[4:5], off
	s_branch .LBB67_52
.LBB67_81:
	v_and_b32_e32 v1, 0x3ff, v0
	v_bfe_u32 v2, v0, 10, 10
	v_bfe_u32 v0, v0, 5, 5
	s_mov_b32 s2, exec_lo
	s_delay_alu instid0(VALU_DEP_2) | instskip(NEXT) | instid1(VALU_DEP_2)
	v_mad_u32_u24 v3, v2, 33, v1
	v_add_nc_u32_e32 v0, v0, v2
	s_delay_alu instid0(VALU_DEP_2)
	v_lshl_add_u32 v2, v3, 2, 0
	ds_store_b32 v2, v20
	ds_store_b32 v2, v21 offset:2112
	s_wait_dscnt 0x0
	s_barrier_signal -1
	s_barrier_wait -1
	v_cmpx_gt_u32_e32 32, v0
	s_cbranch_execz .LBB67_97
; %bb.82:
	s_load_b128 s[8:11], s[0:1], 0x30
	v_and_b32_e32 v2, 31, v1
	s_wait_xcnt 0x0
	s_delay_alu instid0(VALU_DEP_1)
	v_cmp_gt_u32_e64 s0, 16, v2
	v_mul_u32_u24_e32 v6, 33, v2
                                        ; implicit-def: $vgpr2
	s_and_saveexec_b32 s1, s0
	s_cbranch_execz .LBB67_84
; %bb.83:
	s_delay_alu instid0(VALU_DEP_1) | instskip(NEXT) | instid1(VALU_DEP_1)
	v_add_nc_u32_e32 v2, v0, v6
	v_lshl_add_u32 v2, v2, 2, 0
	ds_load_b32 v3, v2
	ds_load_b32 v2, v2 offset:2112
.LBB67_84:
	s_or_b32 exec_lo, exec_lo, s1
	v_mbcnt_lo_u32_b32 v10, -1, 0
	s_mov_b32 s17, 0
	v_cmp_eq_u32_e64 s1, 0, v1
	s_lshl_b64 s[2:3], s[16:17], 5
	s_wait_kmcnt 0x0
	s_cmp_lg_u64 s[8:9], 0
	v_xor_b32_e32 v8, 4, v10
	v_dual_mov_b32 v1, 0 :: v_dual_bitop2_b32 v4, 8, v10 bitop3:0x14
	s_cselect_b32 s5, -1, 0
	s_cmp_lg_u64 s[10:11], 0
	v_xor_b32_e32 v9, 2, v10
	s_delay_alu instid0(VALU_DEP_2)
	v_cmp_gt_i32_e32 vcc_lo, 32, v4
	s_cselect_b32 s4, -1, 0
	v_dual_cndmask_b32 v4, v10, v4, vcc_lo :: v_dual_bitop2_b32 v11, 1, v10 bitop3:0x14
	v_cmp_gt_i32_e32 vcc_lo, 32, v8
	v_cndmask_b32_e32 v8, v10, v8, vcc_lo
	v_cmp_gt_i32_e32 vcc_lo, 32, v9
	s_delay_alu instid0(VALU_DEP_4) | instskip(NEXT) | instid1(VALU_DEP_3)
	v_lshlrev_b32_e32 v7, 2, v4
	v_dual_cndmask_b32 v9, v10, v9 :: v_dual_lshlrev_b32 v8, 2, v8
	s_wait_dscnt 0x1
	ds_bpermute_b32 v5, v7, v3
	s_wait_dscnt 0x1
	ds_bpermute_b32 v4, v7, v2
	v_cmp_gt_i32_e32 vcc_lo, 32, v11
	v_dual_cndmask_b32 v10, v10, v11 :: v_dual_lshlrev_b32 v9, 2, v9
	s_wait_dscnt 0x0
	v_pk_add_f32 v[2:3], v[2:3], v[4:5]
	ds_bpermute_b32 v5, v8, v3
	ds_bpermute_b32 v4, v8, v2
	s_wait_dscnt 0x0
	v_pk_add_f32 v[2:3], v[2:3], v[4:5]
	ds_bpermute_b32 v5, v9, v3
	ds_bpermute_b32 v4, v9, v2
	s_wait_dscnt 0x0
	v_pk_add_f32 v[2:3], v[2:3], v[4:5]
	v_dual_lshlrev_b32 v10, 2, v10 :: v_dual_bitop2_b32 v4, s2, v0 bitop3:0x54
	v_mov_b32_e32 v5, s3
	ds_bpermute_b32 v13, v10, v3
	ds_bpermute_b32 v12, v10, v2
	v_cmp_gt_i64_e32 vcc_lo, s[6:7], v[4:5]
	s_and_b32 s13, s1, vcc_lo
	s_wait_dscnt 0x0
	v_pk_add_f32 v[2:3], v[2:3], v[12:13]
	s_and_saveexec_b32 s12, s13
	s_cbranch_execz .LBB67_89
; %bb.85:
	s_and_not1_b32 vcc_lo, exec_lo, s5
	s_cbranch_vccnz .LBB67_87
; %bb.86:
	v_lshl_add_u64 v[12:13], v[4:5], 2, s[8:9]
	global_store_b32 v[12:13], v3, off
.LBB67_87:
	s_and_not1_b32 vcc_lo, exec_lo, s4
	s_cbranch_vccnz .LBB67_89
; %bb.88:
	v_lshl_add_u64 v[4:5], v[4:5], 2, s[10:11]
	global_store_b32 v[4:5], v2, off
.LBB67_89:
	s_wait_xcnt 0x0
	s_or_b32 exec_lo, exec_lo, s12
	v_cmp_gt_u32_e32 vcc_lo, 16, v0
	s_and_b32 exec_lo, exec_lo, vcc_lo
	s_cbranch_execz .LBB67_97
; %bb.90:
	s_and_saveexec_b32 s12, s0
	s_cbranch_execz .LBB67_92
; %bb.91:
	v_add_nc_u32_e32 v2, v0, v6
	s_delay_alu instid0(VALU_DEP_1)
	v_lshl_add_u32 v2, v2, 2, 0
	ds_load_b32 v3, v2 offset:64
	ds_load_b32 v2, v2 offset:2176
.LBB67_92:
	s_or_b32 exec_lo, exec_lo, s12
	s_wait_dscnt 0x1
	ds_bpermute_b32 v4, v7, v3
	s_wait_dscnt 0x1
	ds_bpermute_b32 v5, v7, v2
	v_dual_mov_b32 v7, s3 :: v_dual_add_nc_u32 v6, 16, v0
	s_delay_alu instid0(VALU_DEP_1) | instskip(NEXT) | instid1(VALU_DEP_1)
	v_or_b32_e32 v6, s2, v6
	v_cmp_gt_i64_e32 vcc_lo, s[6:7], v[6:7]
	s_and_b32 s0, s1, vcc_lo
	s_wait_dscnt 0x0
	v_dual_add_f32 v3, v3, v4 :: v_dual_add_f32 v2, v2, v5
	ds_bpermute_b32 v4, v8, v3
	ds_bpermute_b32 v5, v8, v2
	s_wait_dscnt 0x0
	v_dual_add_f32 v3, v3, v4 :: v_dual_add_f32 v2, v2, v5
	ds_bpermute_b32 v4, v9, v3
	ds_bpermute_b32 v5, v9, v2
	;; [unrolled: 4-line block ×3, first 2 shown]
	s_and_b32 exec_lo, exec_lo, s0
	s_cbranch_execz .LBB67_97
; %bb.93:
	v_add_nc_u64_e32 v[0:1], s[2:3], v[0:1]
	s_and_not1_b32 vcc_lo, exec_lo, s5
	s_cbranch_vccnz .LBB67_95
; %bb.94:
	s_wait_dscnt 0x1
	v_add_f32_e32 v6, v4, v5
	s_delay_alu instid0(VALU_DEP_2)
	v_lshl_add_u64 v[4:5], v[0:1], 2, s[8:9]
	global_store_b32 v[4:5], v6, off offset:64
.LBB67_95:
	s_and_not1_b32 vcc_lo, exec_lo, s4
	s_cbranch_vccnz .LBB67_97
; %bb.96:
	s_wait_dscnt 0x0
	v_add_f32_e32 v2, v2, v3
	v_lshl_add_u64 v[0:1], v[0:1], 2, s[10:11]
	global_store_b32 v[0:1], v2, off offset:64
.LBB67_97:
	s_sendmsg sendmsg(MSG_DEALLOC_VGPRS)
	s_endpgm
	.section	.rodata,"a",@progbits
	.p2align	6, 0x0
	.amdhsa_kernel _ZN2at6native12_GLOBAL__N_135GammaBetaBackwardCUDAKernelTemplateIffLj32ELj16ELj128ELb0ELb0ELb0EEEvllPKT_S5_PKT0_S8_PS3_S9_
		.amdhsa_group_segment_fixed_size 0
		.amdhsa_private_segment_fixed_size 0
		.amdhsa_kernarg_size 320
		.amdhsa_user_sgpr_count 2
		.amdhsa_user_sgpr_dispatch_ptr 0
		.amdhsa_user_sgpr_queue_ptr 0
		.amdhsa_user_sgpr_kernarg_segment_ptr 1
		.amdhsa_user_sgpr_dispatch_id 0
		.amdhsa_user_sgpr_kernarg_preload_length 0
		.amdhsa_user_sgpr_kernarg_preload_offset 0
		.amdhsa_user_sgpr_private_segment_size 0
		.amdhsa_wavefront_size32 1
		.amdhsa_uses_dynamic_stack 0
		.amdhsa_enable_private_segment 0
		.amdhsa_system_sgpr_workgroup_id_x 1
		.amdhsa_system_sgpr_workgroup_id_y 1
		.amdhsa_system_sgpr_workgroup_id_z 0
		.amdhsa_system_sgpr_workgroup_info 0
		.amdhsa_system_vgpr_workitem_id 1
		.amdhsa_next_free_vgpr 106
		.amdhsa_next_free_sgpr 52
		.amdhsa_named_barrier_count 0
		.amdhsa_reserve_vcc 1
		.amdhsa_float_round_mode_32 0
		.amdhsa_float_round_mode_16_64 0
		.amdhsa_float_denorm_mode_32 3
		.amdhsa_float_denorm_mode_16_64 3
		.amdhsa_fp16_overflow 0
		.amdhsa_memory_ordered 1
		.amdhsa_forward_progress 1
		.amdhsa_inst_pref_size 53
		.amdhsa_round_robin_scheduling 0
		.amdhsa_exception_fp_ieee_invalid_op 0
		.amdhsa_exception_fp_denorm_src 0
		.amdhsa_exception_fp_ieee_div_zero 0
		.amdhsa_exception_fp_ieee_overflow 0
		.amdhsa_exception_fp_ieee_underflow 0
		.amdhsa_exception_fp_ieee_inexact 0
		.amdhsa_exception_int_div_zero 0
	.end_amdhsa_kernel
	.section	.text._ZN2at6native12_GLOBAL__N_135GammaBetaBackwardCUDAKernelTemplateIffLj32ELj16ELj128ELb0ELb0ELb0EEEvllPKT_S5_PKT0_S8_PS3_S9_,"axG",@progbits,_ZN2at6native12_GLOBAL__N_135GammaBetaBackwardCUDAKernelTemplateIffLj32ELj16ELj128ELb0ELb0ELb0EEEvllPKT_S5_PKT0_S8_PS3_S9_,comdat
.Lfunc_end67:
	.size	_ZN2at6native12_GLOBAL__N_135GammaBetaBackwardCUDAKernelTemplateIffLj32ELj16ELj128ELb0ELb0ELb0EEEvllPKT_S5_PKT0_S8_PS3_S9_, .Lfunc_end67-_ZN2at6native12_GLOBAL__N_135GammaBetaBackwardCUDAKernelTemplateIffLj32ELj16ELj128ELb0ELb0ELb0EEEvllPKT_S5_PKT0_S8_PS3_S9_
                                        ; -- End function
	.set _ZN2at6native12_GLOBAL__N_135GammaBetaBackwardCUDAKernelTemplateIffLj32ELj16ELj128ELb0ELb0ELb0EEEvllPKT_S5_PKT0_S8_PS3_S9_.num_vgpr, 106
	.set _ZN2at6native12_GLOBAL__N_135GammaBetaBackwardCUDAKernelTemplateIffLj32ELj16ELj128ELb0ELb0ELb0EEEvllPKT_S5_PKT0_S8_PS3_S9_.num_agpr, 0
	.set _ZN2at6native12_GLOBAL__N_135GammaBetaBackwardCUDAKernelTemplateIffLj32ELj16ELj128ELb0ELb0ELb0EEEvllPKT_S5_PKT0_S8_PS3_S9_.numbered_sgpr, 52
	.set _ZN2at6native12_GLOBAL__N_135GammaBetaBackwardCUDAKernelTemplateIffLj32ELj16ELj128ELb0ELb0ELb0EEEvllPKT_S5_PKT0_S8_PS3_S9_.num_named_barrier, 0
	.set _ZN2at6native12_GLOBAL__N_135GammaBetaBackwardCUDAKernelTemplateIffLj32ELj16ELj128ELb0ELb0ELb0EEEvllPKT_S5_PKT0_S8_PS3_S9_.private_seg_size, 0
	.set _ZN2at6native12_GLOBAL__N_135GammaBetaBackwardCUDAKernelTemplateIffLj32ELj16ELj128ELb0ELb0ELb0EEEvllPKT_S5_PKT0_S8_PS3_S9_.uses_vcc, 1
	.set _ZN2at6native12_GLOBAL__N_135GammaBetaBackwardCUDAKernelTemplateIffLj32ELj16ELj128ELb0ELb0ELb0EEEvllPKT_S5_PKT0_S8_PS3_S9_.uses_flat_scratch, 0
	.set _ZN2at6native12_GLOBAL__N_135GammaBetaBackwardCUDAKernelTemplateIffLj32ELj16ELj128ELb0ELb0ELb0EEEvllPKT_S5_PKT0_S8_PS3_S9_.has_dyn_sized_stack, 0
	.set _ZN2at6native12_GLOBAL__N_135GammaBetaBackwardCUDAKernelTemplateIffLj32ELj16ELj128ELb0ELb0ELb0EEEvllPKT_S5_PKT0_S8_PS3_S9_.has_recursion, 0
	.set _ZN2at6native12_GLOBAL__N_135GammaBetaBackwardCUDAKernelTemplateIffLj32ELj16ELj128ELb0ELb0ELb0EEEvllPKT_S5_PKT0_S8_PS3_S9_.has_indirect_call, 0
	.section	.AMDGPU.csdata,"",@progbits
; Kernel info:
; codeLenInByte = 6764
; TotalNumSgprs: 54
; NumVgprs: 106
; ScratchSize: 0
; MemoryBound: 0
; FloatMode: 240
; IeeeMode: 1
; LDSByteSize: 0 bytes/workgroup (compile time only)
; SGPRBlocks: 0
; VGPRBlocks: 6
; NumSGPRsForWavesPerEU: 54
; NumVGPRsForWavesPerEU: 106
; NamedBarCnt: 0
; Occupancy: 9
; WaveLimiterHint : 0
; COMPUTE_PGM_RSRC2:SCRATCH_EN: 0
; COMPUTE_PGM_RSRC2:USER_SGPR: 2
; COMPUTE_PGM_RSRC2:TRAP_HANDLER: 0
; COMPUTE_PGM_RSRC2:TGID_X_EN: 1
; COMPUTE_PGM_RSRC2:TGID_Y_EN: 1
; COMPUTE_PGM_RSRC2:TGID_Z_EN: 0
; COMPUTE_PGM_RSRC2:TIDIG_COMP_CNT: 1
	.section	.text._ZN2at6native12_GLOBAL__N_135GammaBetaBackwardCUDAKernelTemplateIffLj32ELj32ELj256ELb0ELb1ELb0EEEvllPKT_S5_PKT0_S8_PS3_S9_,"axG",@progbits,_ZN2at6native12_GLOBAL__N_135GammaBetaBackwardCUDAKernelTemplateIffLj32ELj32ELj256ELb0ELb1ELb0EEEvllPKT_S5_PKT0_S8_PS3_S9_,comdat
	.globl	_ZN2at6native12_GLOBAL__N_135GammaBetaBackwardCUDAKernelTemplateIffLj32ELj32ELj256ELb0ELb1ELb0EEEvllPKT_S5_PKT0_S8_PS3_S9_ ; -- Begin function _ZN2at6native12_GLOBAL__N_135GammaBetaBackwardCUDAKernelTemplateIffLj32ELj32ELj256ELb0ELb1ELb0EEEvllPKT_S5_PKT0_S8_PS3_S9_
	.p2align	8
	.type	_ZN2at6native12_GLOBAL__N_135GammaBetaBackwardCUDAKernelTemplateIffLj32ELj32ELj256ELb0ELb1ELb0EEEvllPKT_S5_PKT0_S8_PS3_S9_,@function
_ZN2at6native12_GLOBAL__N_135GammaBetaBackwardCUDAKernelTemplateIffLj32ELj32ELj256ELb0ELb1ELb0EEEvllPKT_S5_PKT0_S8_PS3_S9_: ; @_ZN2at6native12_GLOBAL__N_135GammaBetaBackwardCUDAKernelTemplateIffLj32ELj32ELj256ELb0ELb1ELb0EEEvllPKT_S5_PKT0_S8_PS3_S9_
; %bb.0:
	s_load_b128 s[12:15], s[0:1], 0x0
	s_bfe_u32 s2, ttmp6, 0x40010
	s_bfe_u32 s3, ttmp6, 0x40004
	s_add_co_i32 s2, s2, 1
	s_getreg_b32 s24, hwreg(HW_REG_IB_STS2, 6, 4)
	s_mul_i32 s2, ttmp7, s2
	s_mov_b32 s17, 0
	s_add_co_i32 s3, s3, s2
	s_cmp_eq_u32 s24, 0
	v_bfe_u32 v11, v0, 10, 10
	s_cselect_b32 s2, ttmp7, s3
	s_delay_alu instid0(SALU_CYCLE_1)
	s_lshl_b32 s16, s2, 8
	s_wait_kmcnt 0x0
	v_cmp_gt_i64_e64 s2, s[12:13], s[16:17]
	s_and_b32 vcc_lo, exec_lo, s2
	s_cbranch_vccnz .LBB68_2
; %bb.1:
	v_bfe_u32 v1, v0, 10, 10
	s_mov_b32 s2, s17
	s_branch .LBB68_3
.LBB68_2:
	s_mov_b32 s2, -1
                                        ; implicit-def: $vgpr1
.LBB68_3:
	v_mov_b32_e32 v9, 0
	v_and_b32_e32 v10, 0x3ff, v0
	s_and_not1_b32 vcc_lo, exec_lo, s2
	s_delay_alu instid0(VALU_DEP_2)
	v_mov_b32_e32 v8, v9
	s_cbranch_vccnz .LBB68_11
; %bb.4:
	v_dual_mov_b32 v1, 0 :: v_dual_lshlrev_b32 v0, 3, v11
	s_load_b32 s2, s[0:1], 0x4c
	s_bfe_u32 s20, ttmp6, 0x4000c
	s_clause 0x1
	s_load_b32 s3, s[0:1], 0x44
	s_load_b256 s[4:11], s[0:1], 0x10
	s_add_co_i32 s20, s20, 1
	v_add_nc_u64_e32 v[2:3], s[16:17], v[0:1]
	s_and_b32 s18, ttmp6, 15
	s_mul_i32 s20, ttmp9, s20
	v_dual_mov_b32 v13, 12 :: v_dual_mov_b32 v5, v1
	s_add_co_i32 s18, s18, s20
	s_mov_b32 s19, 0
	s_delay_alu instid0(VALU_DEP_2)
	v_mul_u64_e32 v[6:7], s[14:15], v[2:3]
	v_dual_mov_b32 v0, 4 :: v_dual_mov_b32 v12, 8
	v_dual_mov_b32 v14, 16 :: v_dual_mov_b32 v15, 20
	;; [unrolled: 1-line block ×3, first 2 shown]
	s_wait_kmcnt 0x0
	s_and_b32 s2, s2, 0xffff
	s_cmp_eq_u32 s24, 0
	v_mad_u32_u24 v4, v11, s2, v10
	v_mov_b32_e32 v9, v1
	s_cselect_b32 s2, ttmp9, s18
	s_lshl_b32 s18, s3, 8
	v_lshl_add_u32 v8, s2, 5, v10
	v_and_b32_e32 v4, 31, v4
	s_mul_u64 s[22:23], s[14:15], s[18:19]
	s_lshl_b64 s[20:21], s[18:19], 2
	s_lshl_b64 s[22:23], s[22:23], 2
	v_lshlrev_b64_e32 v[18:19], 2, v[8:9]
	v_add_nc_u64_e32 v[2:3], v[2:3], v[4:5]
	v_cmp_gt_u32_e64 s2, 8, v4
	v_mov_b32_e32 v8, 0
	s_lshl_b64 s[14:15], s[14:15], 2
	v_lshlrev_b64_e32 v[4:5], 2, v[2:3]
	v_lshl_add_u64 v[6:7], v[6:7], 2, v[18:19]
	s_branch .LBB68_7
.LBB68_5:                               ;   in Loop: Header=BB68_7 Depth=1
	s_wait_xcnt 0x0
	s_or_b32 exec_lo, exec_lo, s25
.LBB68_6:                               ;   in Loop: Header=BB68_7 Depth=1
	s_delay_alu instid0(SALU_CYCLE_1)
	s_or_b32 exec_lo, exec_lo, s3
	v_add_nc_u64_e32 v[20:21], s[6:7], v[6:7]
	v_add_nc_u64_e32 v[22:23], s[4:5], v[6:7]
	s_wait_loadcnt 0x0
	ds_bpermute_b32 v42, v12, v18
	ds_bpermute_b32 v43, v14, v19
	;; [unrolled: 1-line block ×4, first 2 shown]
	s_add_nc_u64 s[16:17], s[16:17], s[18:19]
	v_add_nc_u64_e32 v[24:25], s[14:15], v[20:21]
	v_add_nc_u64_e32 v[26:27], s[14:15], v[22:23]
	global_load_b32 v30, v[20:21], off
	global_load_b32 v31, v[22:23], off
	v_cmp_lt_i64_e64 s3, s[16:17], s[12:13]
	v_add_nc_u64_e32 v[4:5], s[20:21], v[4:5]
	v_add_nc_u64_e32 v[2:3], s[18:19], v[2:3]
	;; [unrolled: 1-line block ×4, first 2 shown]
	s_wait_xcnt 0x1
	v_add_nc_u64_e32 v[20:21], s[14:15], v[26:27]
	global_load_b32 v24, v[24:25], off
	s_and_b32 vcc_lo, exec_lo, s3
	global_load_b32 v25, v[26:27], off
	global_load_b32 v32, v[28:29], off
	v_add_nc_u64_e32 v[22:23], s[14:15], v[28:29]
	s_wait_xcnt 0x1
	v_add_nc_u64_e32 v[26:27], s[14:15], v[20:21]
	global_load_b32 v33, v[20:21], off
	global_load_b32 v34, v[22:23], off
	s_wait_xcnt 0x2
	v_add_nc_u64_e32 v[28:29], s[14:15], v[22:23]
	s_wait_xcnt 0x1
	v_add_nc_u64_e32 v[20:21], s[14:15], v[26:27]
	global_load_b32 v35, v[26:27], off
	global_load_b32 v36, v[28:29], off
	s_wait_xcnt 0x2
	;; [unrolled: 6-line block ×3, first 2 shown]
	v_add_nc_u64_e32 v[28:29], s[14:15], v[22:23]
	s_wait_xcnt 0x1
	v_add_nc_u64_e32 v[20:21], s[14:15], v[26:27]
	global_load_b32 v23, v[26:27], off
	s_wait_xcnt 0x0
	v_add_nc_u64_e32 v[26:27], s[14:15], v[28:29]
	global_load_b32 v22, v[28:29], off
	;; [unrolled: 3-line block ×3, first 2 shown]
	global_load_b32 v40, v[26:27], off
	global_load_b32 v41, v[28:29], off
	s_wait_xcnt 0x2
	ds_bpermute_b32 v20, v1, v19
	ds_bpermute_b32 v21, v0, v19
	s_wait_xcnt 0x1
	ds_bpermute_b32 v26, v1, v18
	ds_bpermute_b32 v27, v12, v19
	;; [unrolled: 3-line block ×3, first 2 shown]
	s_wait_loadcnt_dscnt 0xd04
	v_dual_sub_f32 v20, v30, v20 :: v_dual_sub_f32 v21, v24, v21
	s_delay_alu instid0(VALU_DEP_1) | instskip(SKIP_1) | instid1(VALU_DEP_1)
	v_mul_f32_e32 v20, v31, v20
	s_wait_loadcnt_dscnt 0xc03
	v_dual_mul_f32 v30, v20, v26 :: v_dual_mul_f32 v20, v25, v21
	s_wait_loadcnt_dscnt 0xb02
	v_sub_f32_e32 v21, v32, v27
	ds_bpermute_b32 v26, v14, v18
	ds_bpermute_b32 v27, v16, v19
	v_pk_add_f32 v[8:9], v[8:9], v[30:31]
	s_wait_loadcnt_dscnt 0xa03
	v_dual_mul_f32 v24, v20, v28 :: v_dual_mul_f32 v20, v33, v21
	s_wait_loadcnt_dscnt 0x902
	v_sub_f32_e32 v21, v34, v29
	ds_bpermute_b32 v28, v15, v18
	ds_bpermute_b32 v19, v17, v19
	v_pk_add_f32 v[8:9], v[8:9], v[24:25]
	s_wait_loadcnt 0x8
	v_dual_mul_f32 v32, v20, v42 :: v_dual_mul_f32 v20, v35, v21
	s_wait_loadcnt 0x7
	v_sub_f32_e32 v21, v36, v43
	ds_bpermute_b32 v24, v16, v18
	ds_bpermute_b32 v18, v17, v18
	v_pk_add_f32 v[8:9], v[8:9], v[32:33]
	s_wait_loadcnt 0x6
	v_dual_mul_f32 v34, v20, v44 :: v_dual_mul_f32 v20, v37, v21
	s_wait_loadcnt 0x5
	v_sub_f32_e32 v21, v38, v45
	s_delay_alu instid0(VALU_DEP_2) | instskip(SKIP_1) | instid1(VALU_DEP_2)
	v_pk_add_f32 v[8:9], v[8:9], v[34:35]
	s_wait_loadcnt_dscnt 0x405
	v_dual_mul_f32 v36, v20, v26 :: v_dual_mul_f32 v20, v23, v21
	s_wait_loadcnt_dscnt 0x304
	v_sub_f32_e32 v21, v22, v27
	s_delay_alu instid0(VALU_DEP_2) | instskip(SKIP_1) | instid1(VALU_DEP_2)
	v_pk_add_f32 v[8:9], v[8:9], v[36:37]
	s_wait_loadcnt_dscnt 0x203
	v_dual_mul_f32 v22, v20, v28 :: v_dual_mul_f32 v20, v39, v21
	s_wait_loadcnt_dscnt 0x102
	v_sub_f32_e32 v19, v40, v19
	s_delay_alu instid0(VALU_DEP_2) | instskip(SKIP_1) | instid1(VALU_DEP_2)
	v_pk_add_f32 v[8:9], v[8:9], v[22:23]
	s_wait_loadcnt_dscnt 0x1
	v_dual_mul_f32 v38, v20, v24 :: v_dual_mul_f32 v19, v41, v19
	s_delay_alu instid0(VALU_DEP_1) | instskip(SKIP_1) | instid1(VALU_DEP_2)
	v_pk_add_f32 v[8:9], v[8:9], v[38:39]
	s_wait_dscnt 0x0
	v_mul_f32_e32 v40, v19, v18
	s_delay_alu instid0(VALU_DEP_1)
	v_pk_add_f32 v[8:9], v[8:9], v[40:41]
	s_cbranch_vccz .LBB68_10
.LBB68_7:                               ; =>This Inner Loop Header: Depth=1
	v_dual_mov_b32 v18, 0 :: v_dual_mov_b32 v19, 0
	s_and_saveexec_b32 s3, s2
	s_cbranch_execz .LBB68_6
; %bb.8:                                ;   in Loop: Header=BB68_7 Depth=1
	v_dual_mov_b32 v19, 0 :: v_dual_mov_b32 v18, 0
	s_mov_b32 s25, exec_lo
	v_cmpx_gt_i64_e64 s[12:13], v[2:3]
	s_cbranch_execz .LBB68_5
; %bb.9:                                ;   in Loop: Header=BB68_7 Depth=1
	v_add_nc_u64_e32 v[20:21], s[8:9], v[4:5]
	v_add_nc_u64_e32 v[22:23], s[10:11], v[4:5]
	global_load_b32 v19, v[20:21], off
	global_load_b32 v18, v[22:23], off
	s_branch .LBB68_5
.LBB68_10:
	v_mov_b32_e32 v1, v11
.LBB68_11:
	s_load_b128 s[0:3], s[0:1], 0x30
	s_delay_alu instid0(VALU_DEP_1) | instskip(SKIP_2) | instid1(VALU_DEP_2)
	v_mad_u32_u24 v0, v1, 33, v10
	v_lshrrev_b32_e32 v2, 5, v10
	s_mov_b32 s4, exec_lo
	v_lshl_add_u32 v3, v0, 2, 0
	s_delay_alu instid0(VALU_DEP_2)
	v_add_nc_u32_e32 v0, v2, v1
	ds_store_b32 v3, v8
	ds_store_b32 v3, v9 offset:4224
	s_wait_dscnt 0x0
	s_barrier_signal -1
	s_barrier_wait -1
	v_cmpx_gt_u32_e32 32, v0
	s_cbranch_execz .LBB68_17
; %bb.12:
	v_mbcnt_lo_u32_b32 v2, -1, 0
	s_delay_alu instid0(VALU_DEP_1) | instskip(SKIP_1) | instid1(VALU_DEP_2)
	v_xor_b32_e32 v4, 16, v2
	v_xor_b32_e32 v6, 8, v2
	v_cmp_gt_i32_e32 vcc_lo, 32, v4
	v_dual_cndmask_b32 v4, v2, v4, vcc_lo :: v_dual_bitop2_b32 v1, 31, v10 bitop3:0x40
	s_delay_alu instid0(VALU_DEP_1) | instskip(NEXT) | instid1(VALU_DEP_4)
	v_mad_u32_u24 v1, v1, 33, v0
	v_cmp_gt_i32_e32 vcc_lo, 32, v6
	s_delay_alu instid0(VALU_DEP_3) | instskip(NEXT) | instid1(VALU_DEP_3)
	v_lshlrev_b32_e32 v4, 2, v4
	v_lshl_add_u32 v1, v1, 2, 0
	ds_load_b32 v3, v1
	ds_load_b32 v1, v1 offset:4224
	s_wait_dscnt 0x1
	ds_bpermute_b32 v5, v4, v3
	s_wait_dscnt 0x1
	ds_bpermute_b32 v4, v4, v1
	s_wait_dscnt 0x1
	v_dual_cndmask_b32 v6, v2, v6 :: v_dual_add_f32 v3, v3, v5
	s_wait_dscnt 0x0
	s_delay_alu instid0(VALU_DEP_1)
	v_dual_add_f32 v1, v1, v4 :: v_dual_lshlrev_b32 v6, 2, v6
	ds_bpermute_b32 v4, v6, v3
	s_wait_dscnt 0x0
	v_add_f32_e32 v3, v3, v4
	ds_bpermute_b32 v5, v6, v1
	s_wait_dscnt 0x0
	v_dual_add_f32 v1, v1, v5 :: v_dual_bitop2_b32 v6, 4, v2 bitop3:0x14
	s_delay_alu instid0(VALU_DEP_1) | instskip(SKIP_1) | instid1(VALU_DEP_1)
	v_cmp_gt_i32_e32 vcc_lo, 32, v6
	v_cndmask_b32_e32 v6, v2, v6, vcc_lo
	v_lshlrev_b32_e32 v6, 2, v6
	ds_bpermute_b32 v5, v6, v1
	s_wait_dscnt 0x0
	v_add_f32_e32 v1, v1, v5
	ds_bpermute_b32 v4, v6, v3
	s_wait_dscnt 0x0
	v_dual_add_f32 v3, v3, v4 :: v_dual_bitop2_b32 v6, 2, v2 bitop3:0x14
	s_delay_alu instid0(VALU_DEP_1) | instskip(SKIP_1) | instid1(VALU_DEP_1)
	v_cmp_gt_i32_e32 vcc_lo, 32, v6
	v_cndmask_b32_e32 v6, v2, v6, vcc_lo
	v_lshlrev_b32_e32 v6, 2, v6
	ds_bpermute_b32 v4, v6, v3
	ds_bpermute_b32 v5, v6, v1
	v_xor_b32_e32 v6, 1, v2
	s_delay_alu instid0(VALU_DEP_1) | instskip(SKIP_3) | instid1(VALU_DEP_2)
	v_cmp_gt_i32_e32 vcc_lo, 32, v6
	v_cndmask_b32_e32 v2, v2, v6, vcc_lo
	v_cmp_eq_u32_e32 vcc_lo, 0, v10
	s_wait_dscnt 0x1
	v_dual_lshlrev_b32 v6, 2, v2 :: v_dual_add_f32 v4, v3, v4
	s_wait_dscnt 0x0
	v_add_f32_e32 v2, v1, v5
	ds_bpermute_b32 v5, v6, v4
	ds_bpermute_b32 v3, v6, v2
	s_and_b32 exec_lo, exec_lo, vcc_lo
	s_cbranch_execz .LBB68_17
; %bb.13:
	s_bfe_u32 s4, ttmp6, 0x4000c
	s_and_b32 s5, ttmp6, 15
	s_add_co_i32 s4, s4, 1
	s_delay_alu instid0(SALU_CYCLE_1) | instskip(NEXT) | instid1(SALU_CYCLE_1)
	s_mul_i32 s4, ttmp9, s4
	s_add_co_i32 s4, s5, s4
	s_cmp_eq_u32 s24, 0
	s_mov_b32 s5, 0
	s_cselect_b32 s4, ttmp9, s4
	s_delay_alu instid0(SALU_CYCLE_1)
	s_lshl_b64 s[4:5], s[4:5], 5
	s_wait_kmcnt 0x0
	s_cmp_eq_u64 s[0:1], 0
	v_dual_mov_b32 v1, s5 :: v_dual_bitop2_b32 v0, s4, v0 bitop3:0x54
	s_cbranch_scc1 .LBB68_15
; %bb.14:
	s_wait_dscnt 0x1
	v_add_f32_e32 v6, v4, v5
	s_delay_alu instid0(VALU_DEP_2)
	v_lshl_add_u64 v[4:5], v[0:1], 2, s[0:1]
	global_store_b32 v[4:5], v6, off
.LBB68_15:
	s_cmp_eq_u64 s[2:3], 0
	s_cbranch_scc1 .LBB68_17
; %bb.16:
	s_wait_dscnt 0x0
	v_add_f32_e32 v2, v2, v3
	v_lshl_add_u64 v[0:1], v[0:1], 2, s[2:3]
	global_store_b32 v[0:1], v2, off
.LBB68_17:
	s_endpgm
	.section	.rodata,"a",@progbits
	.p2align	6, 0x0
	.amdhsa_kernel _ZN2at6native12_GLOBAL__N_135GammaBetaBackwardCUDAKernelTemplateIffLj32ELj32ELj256ELb0ELb1ELb0EEEvllPKT_S5_PKT0_S8_PS3_S9_
		.amdhsa_group_segment_fixed_size 0
		.amdhsa_private_segment_fixed_size 0
		.amdhsa_kernarg_size 320
		.amdhsa_user_sgpr_count 2
		.amdhsa_user_sgpr_dispatch_ptr 0
		.amdhsa_user_sgpr_queue_ptr 0
		.amdhsa_user_sgpr_kernarg_segment_ptr 1
		.amdhsa_user_sgpr_dispatch_id 0
		.amdhsa_user_sgpr_kernarg_preload_length 0
		.amdhsa_user_sgpr_kernarg_preload_offset 0
		.amdhsa_user_sgpr_private_segment_size 0
		.amdhsa_wavefront_size32 1
		.amdhsa_uses_dynamic_stack 0
		.amdhsa_enable_private_segment 0
		.amdhsa_system_sgpr_workgroup_id_x 1
		.amdhsa_system_sgpr_workgroup_id_y 1
		.amdhsa_system_sgpr_workgroup_id_z 0
		.amdhsa_system_sgpr_workgroup_info 0
		.amdhsa_system_vgpr_workitem_id 1
		.amdhsa_next_free_vgpr 46
		.amdhsa_next_free_sgpr 26
		.amdhsa_named_barrier_count 0
		.amdhsa_reserve_vcc 1
		.amdhsa_float_round_mode_32 0
		.amdhsa_float_round_mode_16_64 0
		.amdhsa_float_denorm_mode_32 3
		.amdhsa_float_denorm_mode_16_64 3
		.amdhsa_fp16_overflow 0
		.amdhsa_memory_ordered 1
		.amdhsa_forward_progress 1
		.amdhsa_inst_pref_size 14
		.amdhsa_round_robin_scheduling 0
		.amdhsa_exception_fp_ieee_invalid_op 0
		.amdhsa_exception_fp_denorm_src 0
		.amdhsa_exception_fp_ieee_div_zero 0
		.amdhsa_exception_fp_ieee_overflow 0
		.amdhsa_exception_fp_ieee_underflow 0
		.amdhsa_exception_fp_ieee_inexact 0
		.amdhsa_exception_int_div_zero 0
	.end_amdhsa_kernel
	.section	.text._ZN2at6native12_GLOBAL__N_135GammaBetaBackwardCUDAKernelTemplateIffLj32ELj32ELj256ELb0ELb1ELb0EEEvllPKT_S5_PKT0_S8_PS3_S9_,"axG",@progbits,_ZN2at6native12_GLOBAL__N_135GammaBetaBackwardCUDAKernelTemplateIffLj32ELj32ELj256ELb0ELb1ELb0EEEvllPKT_S5_PKT0_S8_PS3_S9_,comdat
.Lfunc_end68:
	.size	_ZN2at6native12_GLOBAL__N_135GammaBetaBackwardCUDAKernelTemplateIffLj32ELj32ELj256ELb0ELb1ELb0EEEvllPKT_S5_PKT0_S8_PS3_S9_, .Lfunc_end68-_ZN2at6native12_GLOBAL__N_135GammaBetaBackwardCUDAKernelTemplateIffLj32ELj32ELj256ELb0ELb1ELb0EEEvllPKT_S5_PKT0_S8_PS3_S9_
                                        ; -- End function
	.set _ZN2at6native12_GLOBAL__N_135GammaBetaBackwardCUDAKernelTemplateIffLj32ELj32ELj256ELb0ELb1ELb0EEEvllPKT_S5_PKT0_S8_PS3_S9_.num_vgpr, 46
	.set _ZN2at6native12_GLOBAL__N_135GammaBetaBackwardCUDAKernelTemplateIffLj32ELj32ELj256ELb0ELb1ELb0EEEvllPKT_S5_PKT0_S8_PS3_S9_.num_agpr, 0
	.set _ZN2at6native12_GLOBAL__N_135GammaBetaBackwardCUDAKernelTemplateIffLj32ELj32ELj256ELb0ELb1ELb0EEEvllPKT_S5_PKT0_S8_PS3_S9_.numbered_sgpr, 26
	.set _ZN2at6native12_GLOBAL__N_135GammaBetaBackwardCUDAKernelTemplateIffLj32ELj32ELj256ELb0ELb1ELb0EEEvllPKT_S5_PKT0_S8_PS3_S9_.num_named_barrier, 0
	.set _ZN2at6native12_GLOBAL__N_135GammaBetaBackwardCUDAKernelTemplateIffLj32ELj32ELj256ELb0ELb1ELb0EEEvllPKT_S5_PKT0_S8_PS3_S9_.private_seg_size, 0
	.set _ZN2at6native12_GLOBAL__N_135GammaBetaBackwardCUDAKernelTemplateIffLj32ELj32ELj256ELb0ELb1ELb0EEEvllPKT_S5_PKT0_S8_PS3_S9_.uses_vcc, 1
	.set _ZN2at6native12_GLOBAL__N_135GammaBetaBackwardCUDAKernelTemplateIffLj32ELj32ELj256ELb0ELb1ELb0EEEvllPKT_S5_PKT0_S8_PS3_S9_.uses_flat_scratch, 0
	.set _ZN2at6native12_GLOBAL__N_135GammaBetaBackwardCUDAKernelTemplateIffLj32ELj32ELj256ELb0ELb1ELb0EEEvllPKT_S5_PKT0_S8_PS3_S9_.has_dyn_sized_stack, 0
	.set _ZN2at6native12_GLOBAL__N_135GammaBetaBackwardCUDAKernelTemplateIffLj32ELj32ELj256ELb0ELb1ELb0EEEvllPKT_S5_PKT0_S8_PS3_S9_.has_recursion, 0
	.set _ZN2at6native12_GLOBAL__N_135GammaBetaBackwardCUDAKernelTemplateIffLj32ELj32ELj256ELb0ELb1ELb0EEEvllPKT_S5_PKT0_S8_PS3_S9_.has_indirect_call, 0
	.section	.AMDGPU.csdata,"",@progbits
; Kernel info:
; codeLenInByte = 1744
; TotalNumSgprs: 28
; NumVgprs: 46
; ScratchSize: 0
; MemoryBound: 0
; FloatMode: 240
; IeeeMode: 1
; LDSByteSize: 0 bytes/workgroup (compile time only)
; SGPRBlocks: 0
; VGPRBlocks: 2
; NumSGPRsForWavesPerEU: 28
; NumVGPRsForWavesPerEU: 46
; NamedBarCnt: 0
; Occupancy: 16
; WaveLimiterHint : 0
; COMPUTE_PGM_RSRC2:SCRATCH_EN: 0
; COMPUTE_PGM_RSRC2:USER_SGPR: 2
; COMPUTE_PGM_RSRC2:TRAP_HANDLER: 0
; COMPUTE_PGM_RSRC2:TGID_X_EN: 1
; COMPUTE_PGM_RSRC2:TGID_Y_EN: 1
; COMPUTE_PGM_RSRC2:TGID_Z_EN: 0
; COMPUTE_PGM_RSRC2:TIDIG_COMP_CNT: 1
	.section	.text._ZN2at6native12_GLOBAL__N_135GammaBetaBackwardCUDAKernelTemplateIffLj32ELj32ELj256ELb0ELb0ELb0EEEvllPKT_S5_PKT0_S8_PS3_S9_,"axG",@progbits,_ZN2at6native12_GLOBAL__N_135GammaBetaBackwardCUDAKernelTemplateIffLj32ELj32ELj256ELb0ELb0ELb0EEEvllPKT_S5_PKT0_S8_PS3_S9_,comdat
	.globl	_ZN2at6native12_GLOBAL__N_135GammaBetaBackwardCUDAKernelTemplateIffLj32ELj32ELj256ELb0ELb0ELb0EEEvllPKT_S5_PKT0_S8_PS3_S9_ ; -- Begin function _ZN2at6native12_GLOBAL__N_135GammaBetaBackwardCUDAKernelTemplateIffLj32ELj32ELj256ELb0ELb0ELb0EEEvllPKT_S5_PKT0_S8_PS3_S9_
	.p2align	8
	.type	_ZN2at6native12_GLOBAL__N_135GammaBetaBackwardCUDAKernelTemplateIffLj32ELj32ELj256ELb0ELb0ELb0EEEvllPKT_S5_PKT0_S8_PS3_S9_,@function
_ZN2at6native12_GLOBAL__N_135GammaBetaBackwardCUDAKernelTemplateIffLj32ELj32ELj256ELb0ELb0ELb0EEEvllPKT_S5_PKT0_S8_PS3_S9_: ; @_ZN2at6native12_GLOBAL__N_135GammaBetaBackwardCUDAKernelTemplateIffLj32ELj32ELj256ELb0ELb0ELb0EEEvllPKT_S5_PKT0_S8_PS3_S9_
; %bb.0:
	s_load_b256 s[4:11], s[0:1], 0x0
	s_bfe_u32 s3, ttmp6, 0x4000c
	s_bfe_u32 s12, ttmp6, 0x40010
	s_add_co_i32 s3, s3, 1
	s_add_co_i32 s12, s12, 1
	s_and_b32 s2, ttmp6, 15
	s_bfe_u32 s13, ttmp6, 0x40004
	s_mul_i32 s3, ttmp9, s3
	s_mul_i32 s12, ttmp7, s12
	s_getreg_b32 s14, hwreg(HW_REG_IB_STS2, 6, 4)
	s_add_co_i32 s2, s2, s3
	s_add_co_i32 s3, s13, s12
	s_cmp_eq_u32 s14, 0
	s_mov_b32 s19, 0
	s_cselect_b32 s16, ttmp9, s2
	s_cselect_b32 s2, ttmp7, s3
	s_lshl_b32 s3, s16, 5
	s_load_b128 s[12:15], s[0:1], 0x20
	s_or_b32 s18, s3, 31
	s_wait_kmcnt 0x0
	v_cmp_le_i64_e64 s20, s[6:7], s[18:19]
	s_lshl_b32 s18, s2, 8
	s_delay_alu instid0(SALU_CYCLE_1) | instskip(SKIP_2) | instid1(VALU_DEP_1)
	v_cmp_gt_i64_e64 s17, s[4:5], s[18:19]
	s_and_b32 vcc_lo, exec_lo, s20
	v_cndmask_b32_e64 v1, 0, 1, s17
	v_cmp_ne_u32_e64 s2, 1, v1
	s_cbranch_vccz .LBB69_48
; %bb.1:
	v_mov_b32_e32 v21, 0
	s_and_b32 vcc_lo, exec_lo, s2
	s_delay_alu instid0(VALU_DEP_1)
	v_mov_b32_e32 v20, v21
	s_cbranch_vccnz .LBB69_49
; %bb.2:
	v_bfe_u32 v1, v0, 10, 10
	v_mov_b32_e32 v2, 0
	v_and_b32_e32 v62, 0x3ff, v0
	s_load_b32 s20, s[0:1], 0x44
	s_mov_b32 s21, 0
	s_delay_alu instid0(VALU_DEP_2) | instskip(NEXT) | instid1(VALU_DEP_2)
	v_dual_mov_b32 v23, v2 :: v_dual_lshlrev_b32 v22, 3, v1
	v_dual_mov_b32 v19, v2 :: v_dual_add_nc_u32 v18, s3, v62
	s_mov_b32 s37, s21
	s_add_nc_u64 s[22:23], s[0:1], 64
	s_delay_alu instid0(VALU_DEP_2)
	v_add_nc_u64_e32 v[4:5], s[18:19], v[22:23]
	s_mov_b64 s[24:25], 0xffffffffffffff01
	s_mov_b64 s[26:27], 0xffffffffffffff02
	;; [unrolled: 1-line block ×6, first 2 shown]
	v_mul_u64_e32 v[6:7], s[6:7], v[4:5]
	v_add_nc_u64_e32 v[8:9], 7, v[4:5]
	v_add_nc_u64_e32 v[10:11], 6, v[4:5]
	;; [unrolled: 1-line block ×6, first 2 shown]
	s_wait_kmcnt 0x0
	s_lshl_b32 s36, s20, 8
	v_mul_u64_e32 v[8:9], s[6:7], v[8:9]
	v_mul_u64_e32 v[10:11], s[6:7], v[10:11]
	;; [unrolled: 1-line block ×6, first 2 shown]
	s_mul_u64 s[44:45], s[6:7], s[36:37]
	s_mov_b64 s[40:41], 0xffffffffffffff07
	s_mov_b64 s[42:43], 0xffffffffffffff08
	s_lshl_b64 s[44:45], s[44:45], 2
	s_add_nc_u64 s[46:47], s[18:19], 0xff
	s_mov_b64 s[48:49], s[18:19]
	v_lshlrev_b64_e32 v[20:21], 2, v[6:7]
	v_add_nc_u64_e32 v[6:7], s[6:7], v[6:7]
	s_delay_alu instid0(VALU_DEP_2)
	v_add_nc_u64_e32 v[26:27], s[8:9], v[20:21]
	v_lshlrev_b64_e32 v[8:9], 2, v[8:9]
	v_lshlrev_b64_e32 v[10:11], 2, v[10:11]
	;; [unrolled: 1-line block ×7, first 2 shown]
	v_add_nc_u64_e32 v[28:29], s[10:11], v[20:21]
	v_add_nc_u64_e32 v[30:31], s[8:9], v[8:9]
	;; [unrolled: 1-line block ×15, first 2 shown]
	v_mov_b32_e32 v20, 0
	v_cmp_gt_i64_e64 s2, s[6:7], v[18:19]
	v_lshlrev_b64_e32 v[24:25], 2, v[18:19]
	v_mov_b32_e32 v21, v2
	s_branch .LBB69_5
.LBB69_3:                               ;   in Loop: Header=BB69_5 Depth=1
	s_wait_xcnt 0x0
	s_or_b32 exec_lo, exec_lo, s20
	s_wait_loadcnt 0x1
	ds_bpermute_b32 v3, v2, v60
	ds_bpermute_b32 v58, v2, v60 offset:4
	ds_bpermute_b32 v63, v2, v60 offset:8
	s_wait_loadcnt 0x0
	ds_bpermute_b32 v64, v2, v61
	ds_bpermute_b32 v66, v2, v60 offset:12
	ds_bpermute_b32 v67, v2, v61 offset:4
	;; [unrolled: 1-line block ×6, first 2 shown]
	v_mov_b32_e32 v59, v4
	ds_bpermute_b32 v71, v2, v61 offset:16
	ds_bpermute_b32 v74, v2, v60 offset:24
	;; [unrolled: 1-line block ×3, first 2 shown]
	s_wait_dscnt 0xc
	v_dual_mov_b32 v65, v5 :: v_dual_sub_f32 v3, v12, v3
	s_wait_dscnt 0xb
	v_dual_sub_f32 v12, v13, v58 :: v_dual_mov_b32 v13, v6
	s_delay_alu instid0(VALU_DEP_2) | instskip(SKIP_1) | instid1(VALU_DEP_2)
	v_mul_f32_e32 v3, v4, v3
	s_wait_dscnt 0xa
	v_dual_sub_f32 v4, v14, v63 :: v_dual_mul_f32 v12, v5, v12
	v_mov_b32_e32 v5, v7
	s_wait_dscnt 0x9
	v_mul_f32_e32 v58, v3, v64
	s_wait_dscnt 0x8
	v_dual_mul_f32 v4, v6, v4 :: v_dual_sub_f32 v3, v15, v66
	s_wait_dscnt 0x7
	v_mul_f32_e32 v64, v12, v67
	v_pk_add_f32 v[14:15], v[20:21], v[58:59]
	ds_bpermute_b32 v20, v2, v61 offset:24
	s_wait_dscnt 0x7
	v_mul_f32_e32 v12, v4, v68
	s_wait_dscnt 0x6
	v_dual_sub_f32 v16, v16, v70 :: v_dual_mul_f32 v3, v7, v3
	v_pk_add_f32 v[6:7], v[64:65], v[14:15]
	s_wait_dscnt 0x4
	v_dual_mov_b32 v15, v8 :: v_dual_sub_f32 v14, v17, v73
	s_delay_alu instid0(VALU_DEP_3) | instskip(NEXT) | instid1(VALU_DEP_3)
	v_dual_mul_f32 v8, v8, v16 :: v_dual_mul_f32 v4, v3, v69
	v_pk_add_f32 v[6:7], v[12:13], v[6:7]
	ds_bpermute_b32 v3, v2, v61 offset:28
	s_wait_dscnt 0x3
	v_sub_f32_e32 v12, v18, v74
	v_dual_mul_f32 v13, v9, v14 :: v_dual_mul_f32 v14, v8, v71
	v_pk_add_f32 v[6:7], v[4:5], v[6:7]
	ds_bpermute_b32 v4, v2, v60 offset:28
	v_mul_f32_e32 v5, v10, v12
	s_wait_dscnt 0x3
	v_dual_mul_f32 v8, v13, v72 :: v_dual_mov_b32 v13, v10
	v_pk_add_f32 v[6:7], v[14:15], v[6:7]
	s_wait_dscnt 0x2
	v_mul_f32_e32 v12, v5, v20
	s_delay_alu instid0(VALU_DEP_2) | instskip(NEXT) | instid1(VALU_DEP_1)
	v_pk_add_f32 v[6:7], v[8:9], v[6:7]
	v_pk_add_f32 v[60:61], v[12:13], v[6:7]
.LBB69_4:                               ;   in Loop: Header=BB69_5 Depth=1
	s_wait_dscnt 0x0
	v_sub_f32_e32 v4, v19, v4
	s_add_nc_u64 s[48:49], s[48:49], s[36:37]
	v_add_nc_u64_e32 v[26:27], s[44:45], v[26:27]
	v_cmp_lt_i64_e64 s20, s[48:49], s[4:5]
	v_add_nc_u64_e32 v[28:29], s[44:45], v[28:29]
	v_mul_f32_e32 v4, v11, v4
	v_add_nc_u64_e32 v[30:31], s[44:45], v[30:31]
	v_add_nc_u64_e32 v[32:33], s[44:45], v[32:33]
	;; [unrolled: 1-line block ×4, first 2 shown]
	v_mul_f32_e32 v10, v4, v3
	v_add_nc_u64_e32 v[38:39], s[44:45], v[38:39]
	v_add_nc_u64_e32 v[40:41], s[44:45], v[40:41]
	;; [unrolled: 1-line block ×10, first 2 shown]
	v_pk_add_f32 v[20:21], v[60:61], v[10:11]
	s_and_b32 vcc_lo, exec_lo, s20
	s_add_nc_u64 s[46:47], s[46:47], s[36:37]
	s_cbranch_vccz .LBB69_49
.LBB69_5:                               ; =>This Inner Loop Header: Depth=1
	v_cmp_ge_i64_e64 s20, s[46:47], s[4:5]
	v_add_nc_u64_e32 v[58:59], s[46:47], v[22:23]
                                        ; implicit-def: $vgpr4_vgpr5_vgpr6_vgpr7_vgpr8_vgpr9_vgpr10_vgpr11
                                        ; implicit-def: $vgpr60_vgpr61
                                        ; implicit-def: $vgpr3
                                        ; implicit-def: $vgpr12_vgpr13_vgpr14_vgpr15_vgpr16_vgpr17_vgpr18_vgpr19
                                        ; implicit-def: $vgpr4
	s_and_b32 vcc_lo, exec_lo, s20
	s_mov_b32 s20, -1
	s_cbranch_vccz .LBB69_27
; %bb.6:                                ;   in Loop: Header=BB69_5 Depth=1
	s_load_b32 s20, s[22:23], 0xc
	v_dual_mov_b32 v60, 0 :: v_dual_mov_b32 v61, 0
	s_wait_kmcnt 0x0
	s_and_b32 s20, s20, 0xffff
	s_delay_alu instid0(SALU_CYCLE_1) | instskip(SKIP_1) | instid1(VALU_DEP_1)
	v_mad_u32_u24 v3, v1, s20, v62
	s_mov_b32 s20, exec_lo
	v_and_b32_e32 v4, 31, v3
	s_delay_alu instid0(VALU_DEP_1)
	v_cmpx_gt_u32_e32 8, v4
	s_cbranch_execz .LBB69_10
; %bb.7:                                ;   in Loop: Header=BB69_5 Depth=1
	v_dual_mov_b32 v5, v2 :: v_dual_mov_b32 v60, 0
	v_mov_b32_e32 v61, 0
	s_mov_b32 s33, exec_lo
	s_delay_alu instid0(VALU_DEP_2) | instskip(NEXT) | instid1(VALU_DEP_1)
	v_add_nc_u64_e32 v[4:5], v[58:59], v[4:5]
	v_add_nc_u64_e32 v[4:5], s[24:25], v[4:5]
	s_delay_alu instid0(VALU_DEP_1)
	v_cmpx_gt_i64_e64 s[4:5], v[4:5]
	s_cbranch_execz .LBB69_9
; %bb.8:                                ;   in Loop: Header=BB69_5 Depth=1
	v_lshlrev_b64_e32 v[4:5], 2, v[4:5]
	s_delay_alu instid0(VALU_DEP_1)
	v_add_nc_u64_e32 v[6:7], s[12:13], v[4:5]
	v_add_nc_u64_e32 v[4:5], s[14:15], v[4:5]
	global_load_b32 v60, v[6:7], off
	global_load_b32 v61, v[4:5], off
.LBB69_9:                               ;   in Loop: Header=BB69_5 Depth=1
	s_wait_xcnt 0x0
	s_or_b32 exec_lo, exec_lo, s33
.LBB69_10:                              ;   in Loop: Header=BB69_5 Depth=1
	s_delay_alu instid0(SALU_CYCLE_1)
	s_or_b32 exec_lo, exec_lo, s20
	v_add_nc_u64_e32 v[10:11], s[24:25], v[58:59]
	v_dual_mov_b32 v7, v2 :: v_dual_mov_b32 v8, v2
	v_dual_mov_b32 v9, v2 :: v_dual_mov_b32 v3, v2
	v_dual_mov_b32 v4, v2 :: v_dual_mov_b32 v5, v2
	v_mov_b32_e32 v6, v2
	v_cmp_gt_i64_e32 vcc_lo, s[4:5], v[10:11]
	s_delay_alu instid0(VALU_DEP_4)
	v_mov_b64_e32 v[18:19], v[8:9]
	v_mov_b64_e32 v[12:13], v[2:3]
	;; [unrolled: 1-line block ×8, first 2 shown]
	s_and_b32 s33, s2, vcc_lo
	s_delay_alu instid0(SALU_CYCLE_1)
	s_and_saveexec_b32 s20, s33
	s_cbranch_execz .LBB69_12
; %bb.11:                               ;   in Loop: Header=BB69_5 Depth=1
	v_add_nc_u64_e32 v[6:7], v[26:27], v[24:25]
	v_add_nc_u64_e32 v[8:9], v[28:29], v[24:25]
	v_dual_mov_b32 v5, v2 :: v_dual_mov_b32 v11, v2
	v_dual_mov_b32 v13, v2 :: v_dual_mov_b32 v14, v2
	v_mov_b32_e32 v15, v2
	global_load_b32 v4, v[6:7], off
	global_load_b32 v12, v[8:9], off
	s_wait_xcnt 0x1
	v_dual_mov_b32 v6, v2 :: v_dual_mov_b32 v7, v2
	s_wait_xcnt 0x0
	v_dual_mov_b32 v8, v2 :: v_dual_mov_b32 v9, v2
	v_dual_mov_b32 v10, v2 :: v_dual_mov_b32 v16, v2
	;; [unrolled: 1-line block ×3, first 2 shown]
	v_mov_b32_e32 v19, v2
.LBB69_12:                              ;   in Loop: Header=BB69_5 Depth=1
	s_or_b32 exec_lo, exec_lo, s20
	v_add_nc_u64_e32 v[64:65], s[26:27], v[58:59]
	s_delay_alu instid0(VALU_DEP_1) | instskip(SKIP_1) | instid1(SALU_CYCLE_1)
	v_cmp_gt_i64_e32 vcc_lo, s[4:5], v[64:65]
	s_and_b32 s33, s2, vcc_lo
	s_and_saveexec_b32 s20, s33
	s_cbranch_execz .LBB69_14
; %bb.13:                               ;   in Loop: Header=BB69_5 Depth=1
	v_add_nc_u64_e32 v[64:65], v[54:55], v[24:25]
	v_add_nc_u64_e32 v[66:67], v[56:57], v[24:25]
	global_load_b32 v5, v[64:65], off
	global_load_b32 v13, v[66:67], off
.LBB69_14:                              ;   in Loop: Header=BB69_5 Depth=1
	s_wait_xcnt 0x0
	s_or_b32 exec_lo, exec_lo, s20
	v_add_nc_u64_e32 v[64:65], s[28:29], v[58:59]
	s_delay_alu instid0(VALU_DEP_1) | instskip(SKIP_1) | instid1(SALU_CYCLE_1)
	v_cmp_gt_i64_e32 vcc_lo, s[4:5], v[64:65]
	s_and_b32 s33, s2, vcc_lo
	s_and_saveexec_b32 s20, s33
	s_cbranch_execz .LBB69_16
; %bb.15:                               ;   in Loop: Header=BB69_5 Depth=1
	v_add_nc_u64_e32 v[64:65], v[50:51], v[24:25]
	v_add_nc_u64_e32 v[66:67], v[52:53], v[24:25]
	global_load_b32 v6, v[64:65], off
	global_load_b32 v14, v[66:67], off
.LBB69_16:                              ;   in Loop: Header=BB69_5 Depth=1
	s_wait_xcnt 0x0
	;; [unrolled: 14-line block ×7, first 2 shown]
	s_or_b32 exec_lo, exec_lo, s20
	s_wait_loadcnt 0x1
	ds_bpermute_b32 v3, v2, v60
	ds_bpermute_b32 v63, v2, v60 offset:4
	ds_bpermute_b32 v64, v2, v60 offset:8
	s_wait_loadcnt 0x0
	ds_bpermute_b32 v66, v2, v61
	ds_bpermute_b32 v68, v2, v60 offset:12
	ds_bpermute_b32 v69, v2, v61 offset:4
	ds_bpermute_b32 v70, v2, v61 offset:8
	ds_bpermute_b32 v72, v2, v60 offset:16
	ds_bpermute_b32 v71, v2, v61 offset:12
	ds_bpermute_b32 v75, v2, v60 offset:20
	v_mov_b32_e32 v65, v4
	ds_bpermute_b32 v73, v2, v61 offset:16
	ds_bpermute_b32 v74, v2, v61 offset:20
	s_mov_b32 s20, 0
	s_wait_dscnt 0xb
	v_dual_mov_b32 v67, v5 :: v_dual_sub_f32 v3, v12, v3
	s_wait_dscnt 0xa
	v_sub_f32_e32 v12, v13, v63
	ds_bpermute_b32 v63, v2, v60 offset:24
	v_dual_mov_b32 v13, v6 :: v_dual_mul_f32 v3, v4, v3
	s_wait_dscnt 0xa
	v_sub_f32_e32 v4, v14, v64
	v_dual_mul_f32 v12, v5, v12 :: v_dual_mov_b32 v5, v7
	s_wait_dscnt 0x5
	v_dual_sub_f32 v16, v16, v72 :: v_dual_mul_f32 v64, v3, v66
	s_delay_alu instid0(VALU_DEP_2) | instskip(SKIP_1) | instid1(VALU_DEP_3)
	v_dual_sub_f32 v3, v15, v68 :: v_dual_mul_f32 v66, v12, v69
	v_mul_f32_e32 v4, v6, v4
	v_pk_add_f32 v[14:15], v[20:21], v[64:65]
	ds_bpermute_b32 v64, v2, v61 offset:24
	v_dual_mul_f32 v3, v7, v3 :: v_dual_mul_f32 v12, v4, v70
	v_pk_add_f32 v[6:7], v[66:67], v[14:15]
	s_wait_dscnt 0x4
	v_dual_sub_f32 v14, v17, v75 :: v_dual_mov_b32 v15, v8
	s_delay_alu instid0(VALU_DEP_3) | instskip(NEXT) | instid1(VALU_DEP_3)
	v_dual_mul_f32 v8, v8, v16 :: v_dual_mul_f32 v4, v3, v71
	v_pk_add_f32 v[6:7], v[12:13], v[6:7]
	ds_bpermute_b32 v3, v2, v61 offset:28
	s_wait_dscnt 0x2
	v_dual_sub_f32 v12, v18, v63 :: v_dual_mul_f32 v13, v9, v14
	v_mul_f32_e32 v14, v8, v73
	v_pk_add_f32 v[6:7], v[4:5], v[6:7]
	ds_bpermute_b32 v4, v2, v60 offset:28
	v_dual_mul_f32 v5, v10, v12 :: v_dual_mul_f32 v8, v13, v74
	v_mov_b32_e32 v13, v10
	v_pk_add_f32 v[6:7], v[14:15], v[6:7]
	s_wait_dscnt 0x2
	s_delay_alu instid0(VALU_DEP_3) | instskip(NEXT) | instid1(VALU_DEP_2)
	v_mul_f32_e32 v12, v5, v64
	v_pk_add_f32 v[6:7], v[8:9], v[6:7]
	s_delay_alu instid0(VALU_DEP_1)
	v_pk_add_f32 v[60:61], v[12:13], v[6:7]
.LBB69_27:                              ;   in Loop: Header=BB69_5 Depth=1
	s_and_b32 vcc_lo, exec_lo, s20
	s_cbranch_vccz .LBB69_4
; %bb.28:                               ;   in Loop: Header=BB69_5 Depth=1
	s_load_b32 s20, s[22:23], 0x0
	v_dual_mov_b32 v60, 0 :: v_dual_mov_b32 v61, 0
	s_wait_kmcnt 0x0
	s_cmp_lt_u32 s16, s20
	s_cselect_b32 s20, 12, 18
	s_delay_alu instid0(SALU_CYCLE_1)
	s_add_nc_u64 s[50:51], s[22:23], s[20:21]
	s_load_u16 s20, s[50:51], 0x0
	s_wait_dscnt 0x1
	s_wait_kmcnt 0x0
	v_mad_u32_u24 v3, v1, s20, v62
	s_mov_b32 s20, exec_lo
	s_wait_dscnt 0x0
	s_delay_alu instid0(VALU_DEP_1) | instskip(NEXT) | instid1(VALU_DEP_1)
	v_and_b32_e32 v4, 31, v3
	v_cmpx_gt_u32_e32 8, v4
	s_cbranch_execz .LBB69_32
; %bb.29:                               ;   in Loop: Header=BB69_5 Depth=1
	v_dual_mov_b32 v5, v2 :: v_dual_mov_b32 v60, 0
	v_mov_b32_e32 v61, 0
	s_mov_b32 s33, exec_lo
	s_delay_alu instid0(VALU_DEP_2) | instskip(NEXT) | instid1(VALU_DEP_1)
	v_add_nc_u64_e32 v[4:5], v[58:59], v[4:5]
	v_add_nc_u64_e32 v[4:5], s[24:25], v[4:5]
	s_delay_alu instid0(VALU_DEP_1)
	v_cmpx_gt_i64_e64 s[4:5], v[4:5]
	s_cbranch_execz .LBB69_31
; %bb.30:                               ;   in Loop: Header=BB69_5 Depth=1
	v_lshlrev_b64_e32 v[4:5], 2, v[4:5]
	s_delay_alu instid0(VALU_DEP_1)
	v_add_nc_u64_e32 v[6:7], s[12:13], v[4:5]
	v_add_nc_u64_e32 v[4:5], s[14:15], v[4:5]
	global_load_b32 v60, v[6:7], off
	global_load_b32 v61, v[4:5], off
.LBB69_31:                              ;   in Loop: Header=BB69_5 Depth=1
	s_wait_xcnt 0x0
	s_or_b32 exec_lo, exec_lo, s33
.LBB69_32:                              ;   in Loop: Header=BB69_5 Depth=1
	s_delay_alu instid0(SALU_CYCLE_1) | instskip(SKIP_4) | instid1(VALU_DEP_3)
	s_or_b32 exec_lo, exec_lo, s20
	v_dual_mov_b32 v7, v2 :: v_dual_mov_b32 v8, v2
	v_dual_mov_b32 v9, v2 :: v_dual_mov_b32 v3, v2
	;; [unrolled: 1-line block ×3, first 2 shown]
	v_mov_b32_e32 v6, v2
	v_mov_b64_e32 v[18:19], v[8:9]
	s_delay_alu instid0(VALU_DEP_4) | instskip(NEXT) | instid1(VALU_DEP_4)
	v_mov_b64_e32 v[12:13], v[2:3]
	v_mov_b64_e32 v[14:15], v[4:5]
	s_delay_alu instid0(VALU_DEP_4)
	v_mov_b64_e32 v[16:17], v[6:7]
	v_mov_b64_e32 v[10:11], v[8:9]
	;; [unrolled: 1-line block ×5, first 2 shown]
	s_and_saveexec_b32 s20, s2
	s_cbranch_execz .LBB69_40
; %bb.33:                               ;   in Loop: Header=BB69_5 Depth=1
	v_add_nc_u64_e32 v[6:7], v[26:27], v[24:25]
	v_add_nc_u64_e32 v[8:9], v[28:29], v[24:25]
	v_dual_mov_b32 v5, v2 :: v_dual_mov_b32 v11, v2
	v_dual_mov_b32 v13, v2 :: v_dual_mov_b32 v14, v2
	v_mov_b32_e32 v15, v2
	global_load_b32 v4, v[6:7], off
	global_load_b32 v12, v[8:9], off
	s_wait_xcnt 0x1
	v_dual_mov_b32 v6, v2 :: v_dual_mov_b32 v7, v2
	s_wait_xcnt 0x0
	v_dual_mov_b32 v8, v2 :: v_dual_mov_b32 v9, v2
	v_dual_mov_b32 v10, v2 :: v_dual_mov_b32 v16, v2
	;; [unrolled: 1-line block ×3, first 2 shown]
	v_mov_b32_e32 v19, v2
	s_or_b32 exec_lo, exec_lo, s20
	s_and_saveexec_b32 s20, s2
	s_cbranch_execnz .LBB69_41
.LBB69_34:                              ;   in Loop: Header=BB69_5 Depth=1
	s_or_b32 exec_lo, exec_lo, s20
	s_and_saveexec_b32 s20, s2
	s_cbranch_execz .LBB69_42
.LBB69_35:                              ;   in Loop: Header=BB69_5 Depth=1
	v_add_nc_u64_e32 v[58:59], v[50:51], v[24:25]
	v_add_nc_u64_e32 v[64:65], v[52:53], v[24:25]
	global_load_b32 v6, v[58:59], off
	global_load_b32 v14, v[64:65], off
	s_wait_xcnt 0x0
	s_or_b32 exec_lo, exec_lo, s20
	s_and_saveexec_b32 s20, s2
	s_cbranch_execnz .LBB69_43
.LBB69_36:                              ;   in Loop: Header=BB69_5 Depth=1
	s_or_b32 exec_lo, exec_lo, s20
	s_and_saveexec_b32 s20, s2
	s_cbranch_execz .LBB69_44
.LBB69_37:                              ;   in Loop: Header=BB69_5 Depth=1
	v_add_nc_u64_e32 v[58:59], v[42:43], v[24:25]
	v_add_nc_u64_e32 v[64:65], v[44:45], v[24:25]
	global_load_b32 v8, v[58:59], off
	global_load_b32 v16, v[64:65], off
	s_wait_xcnt 0x0
	s_or_b32 exec_lo, exec_lo, s20
	s_and_saveexec_b32 s20, s2
	s_cbranch_execnz .LBB69_45
.LBB69_38:                              ;   in Loop: Header=BB69_5 Depth=1
	s_or_b32 exec_lo, exec_lo, s20
	s_and_saveexec_b32 s20, s2
	s_cbranch_execz .LBB69_46
.LBB69_39:                              ;   in Loop: Header=BB69_5 Depth=1
	v_add_nc_u64_e32 v[58:59], v[34:35], v[24:25]
	v_add_nc_u64_e32 v[64:65], v[36:37], v[24:25]
	global_load_b32 v10, v[58:59], off
	global_load_b32 v18, v[64:65], off
	s_wait_xcnt 0x0
	s_or_b32 exec_lo, exec_lo, s20
	s_and_saveexec_b32 s20, s2
	s_cbranch_execz .LBB69_3
	s_branch .LBB69_47
.LBB69_40:                              ;   in Loop: Header=BB69_5 Depth=1
	s_or_b32 exec_lo, exec_lo, s20
	s_and_saveexec_b32 s20, s2
	s_cbranch_execz .LBB69_34
.LBB69_41:                              ;   in Loop: Header=BB69_5 Depth=1
	v_add_nc_u64_e32 v[58:59], v[54:55], v[24:25]
	v_add_nc_u64_e32 v[64:65], v[56:57], v[24:25]
	global_load_b32 v5, v[58:59], off
	global_load_b32 v13, v[64:65], off
	s_wait_xcnt 0x0
	s_or_b32 exec_lo, exec_lo, s20
	s_and_saveexec_b32 s20, s2
	s_cbranch_execnz .LBB69_35
.LBB69_42:                              ;   in Loop: Header=BB69_5 Depth=1
	s_or_b32 exec_lo, exec_lo, s20
	s_and_saveexec_b32 s20, s2
	s_cbranch_execz .LBB69_36
.LBB69_43:                              ;   in Loop: Header=BB69_5 Depth=1
	v_add_nc_u64_e32 v[58:59], v[46:47], v[24:25]
	v_add_nc_u64_e32 v[64:65], v[48:49], v[24:25]
	global_load_b32 v7, v[58:59], off
	global_load_b32 v15, v[64:65], off
	s_wait_xcnt 0x0
	s_or_b32 exec_lo, exec_lo, s20
	s_and_saveexec_b32 s20, s2
	s_cbranch_execnz .LBB69_37
.LBB69_44:                              ;   in Loop: Header=BB69_5 Depth=1
	s_or_b32 exec_lo, exec_lo, s20
	s_and_saveexec_b32 s20, s2
	s_cbranch_execz .LBB69_38
.LBB69_45:                              ;   in Loop: Header=BB69_5 Depth=1
	v_add_nc_u64_e32 v[58:59], v[38:39], v[24:25]
	v_add_nc_u64_e32 v[64:65], v[40:41], v[24:25]
	global_load_b32 v9, v[58:59], off
	global_load_b32 v17, v[64:65], off
	s_wait_xcnt 0x0
	s_or_b32 exec_lo, exec_lo, s20
	s_and_saveexec_b32 s20, s2
	s_cbranch_execnz .LBB69_39
.LBB69_46:                              ;   in Loop: Header=BB69_5 Depth=1
	s_or_b32 exec_lo, exec_lo, s20
	s_and_saveexec_b32 s20, s2
	s_cbranch_execz .LBB69_3
.LBB69_47:                              ;   in Loop: Header=BB69_5 Depth=1
	v_add_nc_u64_e32 v[58:59], v[30:31], v[24:25]
	v_add_nc_u64_e32 v[64:65], v[32:33], v[24:25]
	global_load_b32 v11, v[58:59], off
	global_load_b32 v19, v[64:65], off
	s_branch .LBB69_3
.LBB69_48:
                                        ; implicit-def: $vgpr21
	s_branch .LBB69_50
.LBB69_49:
	s_cbranch_execnz .LBB69_81
.LBB69_50:
	v_mov_b32_e32 v21, 0
	s_and_not1_b32 vcc_lo, exec_lo, s17
	s_delay_alu instid0(VALU_DEP_1)
	v_mov_b32_e32 v20, v21
	s_cbranch_vccnz .LBB69_81
; %bb.51:
	v_bfe_u32 v1, v0, 10, 10
	v_mov_b32_e32 v2, 0
	v_and_b32_e32 v88, 0x3ff, v0
	s_load_b32 s2, s[0:1], 0x44
	s_mov_b64 s[22:23], 0xffffffffffffff03
	s_delay_alu instid0(VALU_DEP_2) | instskip(SKIP_3) | instid1(VALU_DEP_2)
	v_dual_mov_b32 v5, v2 :: v_dual_lshlrev_b32 v4, 5, v1
	v_dual_mov_b32 v23, v2 :: v_dual_lshlrev_b32 v22, 3, v1
	s_mov_b64 s[24:25], 0xffffffffffffff04
	s_mov_b64 s[26:27], 0xffffffffffffff05
	v_lshl_add_u64 v[8:9], s[18:19], 2, v[4:5]
	s_mov_b64 s[28:29], 0xffffffffffffff06
	v_add_nc_u64_e32 v[4:5], s[18:19], v[22:23]
	s_mov_b64 s[30:31], 0xffffffffffffff07
	s_mov_b64 s[34:35], 0xffffffffffffff08
	v_add_nc_u64_e32 v[10:11], 4, v[8:9]
	v_add_nc_u64_e32 v[12:13], 8, v[8:9]
	;; [unrolled: 1-line block ×4, first 2 shown]
	v_mul_u64_e32 v[6:7], s[6:7], v[4:5]
	v_add_nc_u64_e32 v[44:45], 4, v[4:5]
	v_add_nc_u64_e32 v[18:19], 20, v[8:9]
	v_mad_nc_u64_u32 v[24:25], s6, v10, s[8:9]
	v_mul_lo_u32 v3, s6, v11
	v_mul_lo_u32 v42, s7, v10
	v_mad_nc_u64_u32 v[26:27], s6, v12, s[8:9]
	v_mul_lo_u32 v43, s6, v13
	v_mul_lo_u32 v46, s7, v12
	v_mad_nc_u64_u32 v[34:35], s6, v10, s[10:11]
	v_mad_nc_u64_u32 v[36:37], s6, v12, s[10:11]
	v_add_nc_u64_e32 v[10:11], 7, v[4:5]
	v_add_nc_u64_e32 v[12:13], 6, v[4:5]
	v_mad_nc_u64_u32 v[28:29], s6, v14, s[8:9]
	v_mul_lo_u32 v52, s6, v15
	v_mul_lo_u32 v53, s7, v14
	v_mad_nc_u64_u32 v[30:31], s6, v16, s[8:9]
	v_mul_lo_u32 v54, s6, v17
	v_mul_lo_u32 v55, s7, v16
	v_add3_u32 v25, v42, v25, v3
	v_add3_u32 v27, v46, v27, v43
	v_mad_nc_u64_u32 v[40:41], s6, v14, s[10:11]
	v_mul_u64_e32 v[10:11], s[6:7], v[10:11]
	v_add3_u32 v35, v42, v35, v3
	v_add_nc_u64_e32 v[14:15], 5, v[4:5]
	v_mul_u64_e32 v[12:13], s[6:7], v[12:13]
	v_add3_u32 v37, v46, v37, v43
	v_mad_nc_u64_u32 v[42:43], s6, v16, s[10:11]
	v_add_nc_u64_e32 v[16:17], 3, v[4:5]
	v_add_nc_u64_e32 v[4:5], 2, v[4:5]
	v_mul_u64_e32 v[62:63], s[6:7], v[44:45]
	v_mul_u64_e32 v[14:15], s[6:7], v[14:15]
	v_add_nc_u64_e32 v[20:21], 24, v[8:9]
	v_add_nc_u64_e32 v[8:9], 28, v[8:9]
	v_mad_nc_u64_u32 v[32:33], s6, v18, s[8:9]
	v_mul_u64_e32 v[16:17], s[6:7], v[16:17]
	v_mul_u64_e32 v[4:5], s[6:7], v[4:5]
	v_mul_lo_u32 v19, s6, v19
	v_mul_lo_u32 v56, s7, v18
	v_mad_nc_u64_u32 v[44:45], s6, v18, s[10:11]
	v_mad_nc_u64_u32 v[46:47], s6, v8, s[8:9]
	v_mul_lo_u32 v3, s6, v9
	v_mul_lo_u32 v18, s7, v8
	v_mad_nc_u64_u32 v[50:51], s6, v8, s[10:11]
	v_dual_mov_b32 v9, v2 :: v_dual_add_nc_u32 v8, s3, v88
	v_add3_u32 v29, v53, v29, v52
	v_mad_nc_u64_u32 v[38:39], s6, v20, s[8:9]
	v_mul_lo_u32 v57, s7, v20
	v_add3_u32 v33, v56, v33, v19
	v_mad_nc_u64_u32 v[48:49], s6, v20, s[10:11]
	v_add3_u32 v41, v53, v41, v52
	v_add3_u32 v45, v56, v45, v19
	v_add3_u32 v47, v18, v47, v3
	v_add3_u32 v51, v18, v51, v3
	v_lshlrev_b64_e32 v[18:19], 2, v[6:7]
	v_lshlrev_b64_e32 v[10:11], 2, v[10:11]
	v_add_nc_u64_e32 v[6:7], s[6:7], v[6:7]
	v_mov_b32_e32 v20, 0
	v_lshlrev_b64_e32 v[52:53], 2, v[8:9]
	v_lshlrev_b64_e32 v[8:9], 2, v[12:13]
	v_mul_lo_u32 v21, s6, v21
	v_lshlrev_b64_e32 v[12:13], 2, v[62:63]
	v_add_nc_u64_e32 v[58:59], s[8:9], v[10:11]
	v_add_nc_u64_e32 v[60:61], s[10:11], v[10:11]
	v_lshlrev_b64_e32 v[10:11], 2, v[14:15]
	v_lshlrev_b64_e32 v[6:7], 2, v[6:7]
	v_add_nc_u64_e32 v[62:63], s[8:9], v[8:9]
	v_add_nc_u64_e32 v[64:65], s[10:11], v[8:9]
	v_lshlrev_b64_e32 v[8:9], 2, v[16:17]
	v_lshlrev_b64_e32 v[4:5], 2, v[4:5]
	s_mov_b32 s3, 0
	v_add3_u32 v31, v55, v31, v54
	v_add3_u32 v43, v55, v43, v54
	v_add3_u32 v39, v57, v39, v21
	v_add3_u32 v49, v57, v49, v21
	v_add_nc_u64_e32 v[54:55], s[8:9], v[18:19]
	v_add_nc_u64_e32 v[56:57], s[10:11], v[18:19]
	;; [unrolled: 1-line block ×12, first 2 shown]
	s_wait_kmcnt 0x0
	s_lshl_b32 s20, s2, 8
	s_mov_b32 s21, s3
	v_mov_b32_e32 v21, v2
	s_mul_u64 s[38:39], s[6:7], s[20:21]
	s_mov_b64 s[8:9], 0xffffffffffffff01
	s_mov_b64 s[10:11], 0xffffffffffffff02
	s_add_nc_u64 s[36:37], s[0:1], 64
	s_lshl_b64 s[38:39], s[38:39], 2
	s_add_nc_u64 s[40:41], s[18:19], 0xff
	s_branch .LBB69_55
.LBB69_52:                              ;   in Loop: Header=BB69_55 Depth=1
	s_wait_xcnt 0x0
	s_or_b32 exec_lo, exec_lo, s17
.LBB69_53:                              ;   in Loop: Header=BB69_55 Depth=1
	s_delay_alu instid0(SALU_CYCLE_1)
	s_or_b32 exec_lo, exec_lo, s2
	v_add_nc_u64_e32 v[4:5], v[56:57], v[52:53]
	v_add_nc_u64_e32 v[8:9], v[34:35], v[52:53]
	;; [unrolled: 1-line block ×7, first 2 shown]
	global_load_b32 v86, v[4:5], off
	s_wait_xcnt 0x0
	v_add_nc_u64_e32 v[4:5], v[36:37], v[52:53]
	global_load_b32 v8, v[8:9], off
	global_load_b32 v9, v[10:11], off
	s_wait_xcnt 0x0
	v_add_nc_u64_e32 v[10:11], v[26:27], v[52:53]
	s_wait_loadcnt 0x3
	ds_bpermute_b32 v91, v2, v3
	ds_bpermute_b32 v92, v2, v6 offset:12
	ds_bpermute_b32 v93, v2, v3 offset:4
	global_load_b32 v4, v[4:5], off
	global_load_b32 v5, v[12:13], off
	s_wait_xcnt 0x0
	v_add_nc_u64_e32 v[12:13], v[42:43], v[52:53]
	global_load_b32 v89, v[14:15], off
	global_load_b32 v7, v[10:11], off
	s_wait_xcnt 0x0
	v_add_nc_u64_e32 v[10:11], v[44:45], v[52:53]
	v_add_nc_u64_e32 v[14:15], v[30:31], v[52:53]
	ds_bpermute_b32 v94, v2, v6 offset:16
	global_load_b32 v12, v[12:13], off
	global_load_b32 v13, v[16:17], off
	s_wait_xcnt 0x0
	v_add_nc_u64_e32 v[16:17], v[48:49], v[52:53]
	global_load_b32 v90, v[10:11], off
	global_load_b32 v15, v[14:15], off
	s_wait_xcnt 0x1
	v_add_nc_u64_e32 v[10:11], v[38:39], v[52:53]
	ds_bpermute_b32 v95, v2, v3 offset:8
	global_load_b32 v14, v[16:17], off
	global_load_b32 v17, v[18:19], off
	s_wait_xcnt 0x0
	v_add_nc_u64_e32 v[18:19], v[50:51], v[52:53]
	global_load_b32 v87, v[10:11], off
	s_wait_xcnt 0x0
	v_add_nc_u64_e32 v[10:11], v[46:47], v[52:53]
	global_load_b32 v18, v[18:19], off
	global_load_b32 v11, v[10:11], off
	s_wait_xcnt 0x0
	ds_bpermute_b32 v10, v2, v6
	ds_bpermute_b32 v16, v2, v6 offset:4
	ds_bpermute_b32 v19, v2, v6 offset:8
	;; [unrolled: 1-line block ×5, first 2 shown]
	s_wait_loadcnt_dscnt 0xe04
	v_dual_sub_f32 v10, v86, v10 :: v_dual_sub_f32 v8, v8, v16
	ds_bpermute_b32 v86, v2, v6 offset:20
	ds_bpermute_b32 v16, v2, v3 offset:16
	s_wait_loadcnt_dscnt 0xc05
	v_dual_mul_f32 v10, v9, v10 :: v_dual_sub_f32 v4, v4, v19
	s_wait_loadcnt 0xb
	s_delay_alu instid0(VALU_DEP_1)
	v_dual_mul_f32 v19, v5, v8 :: v_dual_mul_f32 v8, v10, v91
	ds_bpermute_b32 v10, v2, v6 offset:28
	s_wait_loadcnt 0xa
	v_sub_f32_e32 v6, v89, v92
	s_wait_loadcnt 0x9
	v_mul_f32_e32 v89, v7, v4
	v_mul_f32_e32 v4, v19, v93
	v_pk_add_f32 v[8:9], v[20:21], v[8:9]
	ds_bpermute_b32 v19, v2, v3 offset:24
	s_wait_loadcnt 0x8
	v_sub_f32_e32 v12, v12, v94
	s_wait_loadcnt 0x7
	v_mul_f32_e32 v20, v13, v6
	v_mul_f32_e32 v6, v89, v95
	v_pk_add_f32 v[4:5], v[8:9], v[4:5]
	ds_bpermute_b32 v3, v2, v3 offset:28
	s_wait_loadcnt_dscnt 0x504
	v_dual_sub_f32 v8, v90, v86 :: v_dual_mul_f32 v9, v15, v12
	v_mul_f32_e32 v12, v20, v96
	v_pk_add_f32 v[4:5], v[4:5], v[6:7]
	s_wait_loadcnt 0x3
	s_delay_alu instid0(VALU_DEP_3) | instskip(NEXT) | instid1(VALU_DEP_2)
	v_dual_sub_f32 v6, v14, v97 :: v_dual_mul_f32 v7, v17, v8
	v_pk_add_f32 v[4:5], v[4:5], v[12:13]
	s_wait_loadcnt_dscnt 0x203
	s_delay_alu instid0(VALU_DEP_2) | instskip(NEXT) | instid1(VALU_DEP_3)
	v_dual_mul_f32 v6, v87, v6 :: v_dual_mul_f32 v14, v9, v16
	v_mul_f32_e32 v16, v7, v98
	s_wait_loadcnt_dscnt 0x102
	v_sub_f32_e32 v7, v18, v10
	s_wait_dscnt 0x1
	v_mul_f32_e32 v86, v6, v19
	v_pk_add_f32 v[4:5], v[4:5], v[14:15]
	s_wait_loadcnt 0x0
	v_mul_f32_e32 v6, v11, v7
	s_delay_alu instid0(VALU_DEP_2) | instskip(SKIP_1) | instid1(VALU_DEP_2)
	v_pk_add_f32 v[4:5], v[4:5], v[16:17]
	s_wait_dscnt 0x0
	v_mul_f32_e32 v10, v6, v3
	s_delay_alu instid0(VALU_DEP_2)
	v_pk_add_f32 v[4:5], v[4:5], v[86:87]
.LBB69_54:                              ;   in Loop: Header=BB69_55 Depth=1
	s_add_nc_u64 s[18:19], s[18:19], s[20:21]
	v_add_nc_u64_e32 v[54:55], s[38:39], v[54:55]
	v_cmp_ge_i64_e64 s2, s[18:19], s[4:5]
	v_add_nc_u64_e32 v[56:57], s[38:39], v[56:57]
	v_add_nc_u64_e32 v[24:25], s[38:39], v[24:25]
	;; [unrolled: 1-line block ×29, first 2 shown]
	v_pk_add_f32 v[20:21], v[4:5], v[10:11]
	s_and_b32 vcc_lo, exec_lo, s2
	s_add_nc_u64 s[40:41], s[40:41], s[20:21]
	s_cbranch_vccnz .LBB69_81
.LBB69_55:                              ; =>This Inner Loop Header: Depth=1
	v_cmp_ge_i64_e64 s2, s[40:41], s[4:5]
	v_add_nc_u64_e32 v[86:87], s[40:41], v[22:23]
                                        ; implicit-def: $vgpr4_vgpr5
                                        ; implicit-def: $vgpr10_vgpr11
	s_and_b32 vcc_lo, exec_lo, s2
	s_mov_b32 s2, -1
	s_cbranch_vccz .LBB69_77
; %bb.56:                               ;   in Loop: Header=BB69_55 Depth=1
	s_load_b32 s2, s[36:37], 0xc
	v_dual_mov_b32 v90, 0 :: v_dual_mov_b32 v89, 0
	s_wait_kmcnt 0x0
	s_and_b32 s2, s2, 0xffff
	s_delay_alu instid0(SALU_CYCLE_1) | instskip(SKIP_1) | instid1(VALU_DEP_1)
	v_mad_u32_u24 v3, v1, s2, v88
	s_mov_b32 s2, exec_lo
	v_and_b32_e32 v4, 31, v3
	s_delay_alu instid0(VALU_DEP_1)
	v_cmpx_gt_u32_e32 8, v4
	s_cbranch_execz .LBB69_60
; %bb.57:                               ;   in Loop: Header=BB69_55 Depth=1
	v_dual_mov_b32 v5, v2 :: v_dual_mov_b32 v90, 0
	v_mov_b32_e32 v89, 0
	s_mov_b32 s17, exec_lo
	s_delay_alu instid0(VALU_DEP_2) | instskip(NEXT) | instid1(VALU_DEP_1)
	v_add_nc_u64_e32 v[4:5], v[86:87], v[4:5]
	v_add_nc_u64_e32 v[4:5], s[8:9], v[4:5]
	s_delay_alu instid0(VALU_DEP_1)
	v_cmpx_gt_i64_e64 s[4:5], v[4:5]
	s_cbranch_execz .LBB69_59
; %bb.58:                               ;   in Loop: Header=BB69_55 Depth=1
	v_lshlrev_b64_e32 v[4:5], 2, v[4:5]
	s_delay_alu instid0(VALU_DEP_1)
	v_add_nc_u64_e32 v[6:7], s[12:13], v[4:5]
	v_add_nc_u64_e32 v[4:5], s[14:15], v[4:5]
	global_load_b32 v90, v[6:7], off
	global_load_b32 v89, v[4:5], off
.LBB69_59:                              ;   in Loop: Header=BB69_55 Depth=1
	s_wait_xcnt 0x0
	s_or_b32 exec_lo, exec_lo, s17
.LBB69_60:                              ;   in Loop: Header=BB69_55 Depth=1
	s_delay_alu instid0(SALU_CYCLE_1)
	s_or_b32 exec_lo, exec_lo, s2
	v_add_nc_u64_e32 v[10:11], s[8:9], v[86:87]
	v_dual_mov_b32 v7, v2 :: v_dual_mov_b32 v8, v2
	v_dual_mov_b32 v9, v2 :: v_dual_mov_b32 v3, v2
	;; [unrolled: 1-line block ×3, first 2 shown]
	v_mov_b32_e32 v6, v2
	s_delay_alu instid0(VALU_DEP_3)
	v_mov_b64_e32 v[18:19], v[8:9]
	v_cmp_gt_i64_e32 vcc_lo, s[4:5], v[10:11]
	v_mov_b64_e32 v[12:13], v[2:3]
	v_mov_b64_e32 v[14:15], v[4:5]
	;; [unrolled: 1-line block ×7, first 2 shown]
	s_and_saveexec_b32 s2, vcc_lo
	s_cbranch_execz .LBB69_62
; %bb.61:                               ;   in Loop: Header=BB69_55 Depth=1
	v_add_nc_u64_e32 v[4:5], v[54:55], v[52:53]
	v_add_nc_u64_e32 v[6:7], v[56:57], v[52:53]
	v_dual_mov_b32 v9, v2 :: v_dual_mov_b32 v10, v2
	v_dual_mov_b32 v11, v2 :: v_dual_mov_b32 v13, v2
	;; [unrolled: 1-line block ×3, first 2 shown]
	global_load_b32 v4, v[4:5], off
	global_load_b32 v12, v[6:7], off
	s_wait_xcnt 0x0
	v_dual_mov_b32 v5, v2 :: v_dual_mov_b32 v6, v2
	v_dual_mov_b32 v7, v2 :: v_dual_mov_b32 v8, v2
	;; [unrolled: 1-line block ×4, first 2 shown]
.LBB69_62:                              ;   in Loop: Header=BB69_55 Depth=1
	s_or_b32 exec_lo, exec_lo, s2
	v_add_nc_u64_e32 v[92:93], s[10:11], v[86:87]
	s_mov_b32 s2, exec_lo
	s_delay_alu instid0(VALU_DEP_1)
	v_cmpx_gt_i64_e64 s[4:5], v[92:93]
	s_cbranch_execz .LBB69_64
; %bb.63:                               ;   in Loop: Header=BB69_55 Depth=1
	v_add_nc_u64_e32 v[92:93], v[82:83], v[52:53]
	v_add_nc_u64_e32 v[94:95], v[84:85], v[52:53]
	global_load_b32 v5, v[92:93], off
	global_load_b32 v13, v[94:95], off
.LBB69_64:                              ;   in Loop: Header=BB69_55 Depth=1
	s_wait_xcnt 0x0
	s_or_b32 exec_lo, exec_lo, s2
	v_add_nc_u64_e32 v[92:93], s[22:23], v[86:87]
	s_mov_b32 s2, exec_lo
	s_delay_alu instid0(VALU_DEP_1)
	v_cmpx_gt_i64_e64 s[4:5], v[92:93]
	s_cbranch_execz .LBB69_66
; %bb.65:                               ;   in Loop: Header=BB69_55 Depth=1
	v_add_nc_u64_e32 v[92:93], v[78:79], v[52:53]
	v_add_nc_u64_e32 v[94:95], v[80:81], v[52:53]
	global_load_b32 v6, v[92:93], off
	global_load_b32 v14, v[94:95], off
.LBB69_66:                              ;   in Loop: Header=BB69_55 Depth=1
	s_wait_xcnt 0x0
	;; [unrolled: 13-line block ×7, first 2 shown]
	s_or_b32 exec_lo, exec_lo, s2
	s_wait_loadcnt 0x1
	ds_bpermute_b32 v3, v2, v90
	ds_bpermute_b32 v92, v2, v90 offset:4
	ds_bpermute_b32 v94, v2, v90 offset:8
	s_wait_loadcnt 0x0
	ds_bpermute_b32 v96, v2, v89
	ds_bpermute_b32 v97, v2, v90 offset:12
	ds_bpermute_b32 v98, v2, v89 offset:4
	;; [unrolled: 1-line block ×7, first 2 shown]
	v_dual_mov_b32 v93, v4 :: v_dual_mov_b32 v91, v6
	ds_bpermute_b32 v105, v2, v90 offset:24
	ds_bpermute_b32 v103, v2, v89 offset:20
	s_mov_b32 s2, 0
	s_wait_dscnt 0xc
	v_dual_mov_b32 v95, v5 :: v_dual_sub_f32 v3, v12, v3
	s_wait_dscnt 0xb
	v_dual_sub_f32 v12, v13, v92 :: v_dual_mov_b32 v13, v7
	s_wait_dscnt 0xa
	s_delay_alu instid0(VALU_DEP_2) | instskip(SKIP_1) | instid1(VALU_DEP_2)
	v_dual_mul_f32 v3, v4, v3 :: v_dual_sub_f32 v4, v14, v94
	s_wait_dscnt 0x8
	v_dual_mul_f32 v5, v5, v12 :: v_dual_sub_f32 v12, v15, v97
	ds_bpermute_b32 v14, v2, v90 offset:28
	v_mul_f32_e32 v92, v3, v96
	s_wait_dscnt 0x6
	v_dual_mul_f32 v6, v6, v4 :: v_dual_sub_f32 v15, v16, v102
	v_mul_f32_e32 v94, v5, v98
	ds_bpermute_b32 v3, v2, v89 offset:24
	v_pk_add_f32 v[4:5], v[20:21], v[92:93]
	v_dual_mul_f32 v12, v7, v12 :: v_dual_mul_f32 v90, v6, v99
	s_wait_dscnt 0x5
	v_dual_mov_b32 v7, v8 :: v_dual_sub_f32 v6, v17, v104
	s_delay_alu instid0(VALU_DEP_3) | instskip(SKIP_2) | instid1(VALU_DEP_3)
	v_pk_add_f32 v[4:5], v[94:95], v[4:5]
	s_wait_dscnt 0x3
	v_dual_mul_f32 v8, v8, v15 :: v_dual_sub_f32 v16, v18, v105
	v_dual_mul_f32 v12, v12, v100 :: v_dual_mul_f32 v17, v9, v6
	s_delay_alu instid0(VALU_DEP_3)
	v_pk_add_f32 v[4:5], v[90:91], v[4:5]
	ds_bpermute_b32 v15, v2, v89 offset:28
	s_wait_dscnt 0x3
	v_dual_mul_f32 v6, v8, v101 :: v_dual_mul_f32 v8, v17, v103
	v_pk_add_f32 v[4:5], v[12:13], v[4:5]
	s_wait_dscnt 0x2
	v_dual_mul_f32 v12, v10, v16 :: v_dual_sub_f32 v13, v19, v14
	s_delay_alu instid0(VALU_DEP_2) | instskip(SKIP_1) | instid1(VALU_DEP_2)
	v_pk_add_f32 v[4:5], v[6:7], v[4:5]
	s_wait_dscnt 0x1
	v_dual_mov_b32 v7, v10 :: v_dual_mul_f32 v6, v12, v3
	s_delay_alu instid0(VALU_DEP_3) | instskip(NEXT) | instid1(VALU_DEP_3)
	v_mul_f32_e32 v3, v11, v13
	v_pk_add_f32 v[4:5], v[8:9], v[4:5]
	s_delay_alu instid0(VALU_DEP_1) | instskip(SKIP_1) | instid1(VALU_DEP_3)
	v_pk_add_f32 v[4:5], v[6:7], v[4:5]
	s_wait_dscnt 0x0
	v_mul_f32_e32 v10, v3, v15
.LBB69_77:                              ;   in Loop: Header=BB69_55 Depth=1
	s_and_b32 vcc_lo, exec_lo, s2
	s_cbranch_vccz .LBB69_54
; %bb.78:                               ;   in Loop: Header=BB69_55 Depth=1
	s_load_b32 s2, s[36:37], 0x0
	v_mov_b32_e32 v6, 0
	s_wait_kmcnt 0x0
	s_cmp_lt_u32 s16, s2
	s_cselect_b32 s2, 12, 18
	s_delay_alu instid0(SALU_CYCLE_1) | instskip(SKIP_4) | instid1(VALU_DEP_1)
	s_add_nc_u64 s[42:43], s[36:37], s[2:3]
	s_load_u16 s2, s[42:43], 0x0
	s_wait_kmcnt 0x0
	v_mad_u32_u24 v3, v1, s2, v88
	s_mov_b32 s2, exec_lo
	v_dual_mov_b32 v3, 0 :: v_dual_bitop2_b32 v4, 31, v3 bitop3:0x40
	s_delay_alu instid0(VALU_DEP_1)
	v_cmpx_gt_u32_e32 8, v4
	s_cbranch_execz .LBB69_53
; %bb.79:                               ;   in Loop: Header=BB69_55 Depth=1
	v_dual_mov_b32 v5, v2 :: v_dual_mov_b32 v6, 0
	v_mov_b32_e32 v3, 0
	s_mov_b32 s17, exec_lo
	s_delay_alu instid0(VALU_DEP_2) | instskip(NEXT) | instid1(VALU_DEP_1)
	v_add_nc_u64_e32 v[4:5], v[86:87], v[4:5]
	v_add_nc_u64_e32 v[4:5], s[8:9], v[4:5]
	s_delay_alu instid0(VALU_DEP_1)
	v_cmpx_gt_i64_e64 s[4:5], v[4:5]
	s_cbranch_execz .LBB69_52
; %bb.80:                               ;   in Loop: Header=BB69_55 Depth=1
	v_lshlrev_b64_e32 v[4:5], 2, v[4:5]
	s_delay_alu instid0(VALU_DEP_1)
	v_add_nc_u64_e32 v[6:7], s[12:13], v[4:5]
	v_add_nc_u64_e32 v[4:5], s[14:15], v[4:5]
	global_load_b32 v6, v[6:7], off
	global_load_b32 v3, v[4:5], off
	s_branch .LBB69_52
.LBB69_81:
	v_and_b32_e32 v2, 0x3ff, v0
	v_bfe_u32 v1, v0, 10, 10
	v_bfe_u32 v0, v0, 5, 5
	s_mov_b32 s17, 0
	s_mov_b32 s2, exec_lo
	s_delay_alu instid0(VALU_DEP_2) | instskip(NEXT) | instid1(VALU_DEP_2)
	v_mad_u32_u24 v3, v1, 33, v2
	v_add_nc_u32_e32 v0, v0, v1
	s_delay_alu instid0(VALU_DEP_2)
	v_lshl_add_u32 v1, v3, 2, 0
	ds_store_b32 v1, v20
	ds_store_b32 v1, v21 offset:4224
	s_wait_dscnt 0x0
	s_barrier_signal -1
	s_barrier_wait -1
	v_cmpx_gt_u32_e32 32, v0
	s_cbranch_execz .LBB69_87
; %bb.82:
	v_mbcnt_lo_u32_b32 v3, -1, 0
	s_lshl_b64 s[2:3], s[16:17], 5
	s_delay_alu instid0(VALU_DEP_1) | instskip(SKIP_1) | instid1(VALU_DEP_2)
	v_xor_b32_e32 v5, 16, v3
	v_xor_b32_e32 v7, 8, v3
	v_cmp_gt_i32_e32 vcc_lo, 32, v5
	v_dual_cndmask_b32 v5, v3, v5, vcc_lo :: v_dual_bitop2_b32 v1, 31, v2 bitop3:0x40
	s_delay_alu instid0(VALU_DEP_1) | instskip(NEXT) | instid1(VALU_DEP_4)
	v_mad_u32_u24 v1, v1, 33, v0
	v_cmp_gt_i32_e32 vcc_lo, 32, v7
	v_or_b32_e32 v0, s2, v0
	v_cmp_eq_u32_e64 s2, 0, v2
	v_lshlrev_b32_e32 v5, 2, v5
	v_lshl_add_u32 v1, v1, 2, 0
	ds_load_b32 v4, v1
	ds_load_b32 v1, v1 offset:4224
	s_wait_dscnt 0x1
	ds_bpermute_b32 v6, v5, v4
	s_wait_dscnt 0x1
	ds_bpermute_b32 v5, v5, v1
	s_wait_dscnt 0x1
	v_dual_cndmask_b32 v7, v3, v7 :: v_dual_add_f32 v4, v4, v6
	s_wait_dscnt 0x0
	s_delay_alu instid0(VALU_DEP_1)
	v_dual_add_f32 v1, v1, v5 :: v_dual_lshlrev_b32 v7, 2, v7
	ds_bpermute_b32 v5, v7, v4
	s_wait_dscnt 0x0
	v_add_f32_e32 v4, v4, v5
	ds_bpermute_b32 v6, v7, v1
	s_wait_dscnt 0x0
	v_dual_add_f32 v1, v1, v6 :: v_dual_bitop2_b32 v7, 4, v3 bitop3:0x14
	s_delay_alu instid0(VALU_DEP_1) | instskip(SKIP_1) | instid1(VALU_DEP_1)
	v_cmp_gt_i32_e32 vcc_lo, 32, v7
	v_cndmask_b32_e32 v7, v3, v7, vcc_lo
	v_lshlrev_b32_e32 v7, 2, v7
	ds_bpermute_b32 v6, v7, v1
	s_wait_dscnt 0x0
	v_add_f32_e32 v1, v1, v6
	ds_bpermute_b32 v5, v7, v4
	s_wait_dscnt 0x0
	v_dual_add_f32 v4, v4, v5 :: v_dual_bitop2_b32 v7, 2, v3 bitop3:0x14
	s_delay_alu instid0(VALU_DEP_1) | instskip(SKIP_1) | instid1(VALU_DEP_1)
	v_cmp_gt_i32_e32 vcc_lo, 32, v7
	v_cndmask_b32_e32 v7, v3, v7, vcc_lo
	v_lshlrev_b32_e32 v7, 2, v7
	ds_bpermute_b32 v5, v7, v4
	ds_bpermute_b32 v6, v7, v1
	v_xor_b32_e32 v7, 1, v3
	s_delay_alu instid0(VALU_DEP_1) | instskip(SKIP_2) | instid1(VALU_DEP_1)
	v_cmp_gt_i32_e32 vcc_lo, 32, v7
	v_cndmask_b32_e32 v3, v3, v7, vcc_lo
	s_wait_dscnt 0x1
	v_dual_lshlrev_b32 v7, 2, v3 :: v_dual_add_f32 v5, v4, v5
	s_wait_dscnt 0x0
	v_dual_add_f32 v3, v1, v6 :: v_dual_mov_b32 v1, s3
	ds_bpermute_b32 v6, v7, v5
	ds_bpermute_b32 v4, v7, v3
	v_cmp_gt_i64_e32 vcc_lo, s[6:7], v[0:1]
	s_and_b32 s2, s2, vcc_lo
	s_delay_alu instid0(SALU_CYCLE_1)
	s_and_b32 exec_lo, exec_lo, s2
	s_cbranch_execz .LBB69_87
; %bb.83:
	s_load_b128 s[0:3], s[0:1], 0x30
	s_wait_kmcnt 0x0
	s_cmp_eq_u64 s[0:1], 0
	s_cbranch_scc1 .LBB69_85
; %bb.84:
	s_wait_dscnt 0x1
	v_add_f32_e32 v2, v5, v6
	v_lshl_add_u64 v[6:7], v[0:1], 2, s[0:1]
	global_store_b32 v[6:7], v2, off
.LBB69_85:
	s_cmp_eq_u64 s[2:3], 0
	s_cbranch_scc1 .LBB69_87
; %bb.86:
	s_wait_dscnt 0x0
	s_wait_xcnt 0x0
	v_add_f32_e32 v2, v3, v4
	v_lshl_add_u64 v[0:1], v[0:1], 2, s[2:3]
	global_store_b32 v[0:1], v2, off
.LBB69_87:
	s_sendmsg sendmsg(MSG_DEALLOC_VGPRS)
	s_endpgm
	.section	.rodata,"a",@progbits
	.p2align	6, 0x0
	.amdhsa_kernel _ZN2at6native12_GLOBAL__N_135GammaBetaBackwardCUDAKernelTemplateIffLj32ELj32ELj256ELb0ELb0ELb0EEEvllPKT_S5_PKT0_S8_PS3_S9_
		.amdhsa_group_segment_fixed_size 0
		.amdhsa_private_segment_fixed_size 0
		.amdhsa_kernarg_size 320
		.amdhsa_user_sgpr_count 2
		.amdhsa_user_sgpr_dispatch_ptr 0
		.amdhsa_user_sgpr_queue_ptr 0
		.amdhsa_user_sgpr_kernarg_segment_ptr 1
		.amdhsa_user_sgpr_dispatch_id 0
		.amdhsa_user_sgpr_kernarg_preload_length 0
		.amdhsa_user_sgpr_kernarg_preload_offset 0
		.amdhsa_user_sgpr_private_segment_size 0
		.amdhsa_wavefront_size32 1
		.amdhsa_uses_dynamic_stack 0
		.amdhsa_enable_private_segment 0
		.amdhsa_system_sgpr_workgroup_id_x 1
		.amdhsa_system_sgpr_workgroup_id_y 1
		.amdhsa_system_sgpr_workgroup_id_z 0
		.amdhsa_system_sgpr_workgroup_info 0
		.amdhsa_system_vgpr_workitem_id 1
		.amdhsa_next_free_vgpr 106
		.amdhsa_next_free_sgpr 52
		.amdhsa_named_barrier_count 0
		.amdhsa_reserve_vcc 1
		.amdhsa_float_round_mode_32 0
		.amdhsa_float_round_mode_16_64 0
		.amdhsa_float_denorm_mode_32 3
		.amdhsa_float_denorm_mode_16_64 3
		.amdhsa_fp16_overflow 0
		.amdhsa_memory_ordered 1
		.amdhsa_forward_progress 1
		.amdhsa_inst_pref_size 51
		.amdhsa_round_robin_scheduling 0
		.amdhsa_exception_fp_ieee_invalid_op 0
		.amdhsa_exception_fp_denorm_src 0
		.amdhsa_exception_fp_ieee_div_zero 0
		.amdhsa_exception_fp_ieee_overflow 0
		.amdhsa_exception_fp_ieee_underflow 0
		.amdhsa_exception_fp_ieee_inexact 0
		.amdhsa_exception_int_div_zero 0
	.end_amdhsa_kernel
	.section	.text._ZN2at6native12_GLOBAL__N_135GammaBetaBackwardCUDAKernelTemplateIffLj32ELj32ELj256ELb0ELb0ELb0EEEvllPKT_S5_PKT0_S8_PS3_S9_,"axG",@progbits,_ZN2at6native12_GLOBAL__N_135GammaBetaBackwardCUDAKernelTemplateIffLj32ELj32ELj256ELb0ELb0ELb0EEEvllPKT_S5_PKT0_S8_PS3_S9_,comdat
.Lfunc_end69:
	.size	_ZN2at6native12_GLOBAL__N_135GammaBetaBackwardCUDAKernelTemplateIffLj32ELj32ELj256ELb0ELb0ELb0EEEvllPKT_S5_PKT0_S8_PS3_S9_, .Lfunc_end69-_ZN2at6native12_GLOBAL__N_135GammaBetaBackwardCUDAKernelTemplateIffLj32ELj32ELj256ELb0ELb0ELb0EEEvllPKT_S5_PKT0_S8_PS3_S9_
                                        ; -- End function
	.set _ZN2at6native12_GLOBAL__N_135GammaBetaBackwardCUDAKernelTemplateIffLj32ELj32ELj256ELb0ELb0ELb0EEEvllPKT_S5_PKT0_S8_PS3_S9_.num_vgpr, 106
	.set _ZN2at6native12_GLOBAL__N_135GammaBetaBackwardCUDAKernelTemplateIffLj32ELj32ELj256ELb0ELb0ELb0EEEvllPKT_S5_PKT0_S8_PS3_S9_.num_agpr, 0
	.set _ZN2at6native12_GLOBAL__N_135GammaBetaBackwardCUDAKernelTemplateIffLj32ELj32ELj256ELb0ELb0ELb0EEEvllPKT_S5_PKT0_S8_PS3_S9_.numbered_sgpr, 52
	.set _ZN2at6native12_GLOBAL__N_135GammaBetaBackwardCUDAKernelTemplateIffLj32ELj32ELj256ELb0ELb0ELb0EEEvllPKT_S5_PKT0_S8_PS3_S9_.num_named_barrier, 0
	.set _ZN2at6native12_GLOBAL__N_135GammaBetaBackwardCUDAKernelTemplateIffLj32ELj32ELj256ELb0ELb0ELb0EEEvllPKT_S5_PKT0_S8_PS3_S9_.private_seg_size, 0
	.set _ZN2at6native12_GLOBAL__N_135GammaBetaBackwardCUDAKernelTemplateIffLj32ELj32ELj256ELb0ELb0ELb0EEEvllPKT_S5_PKT0_S8_PS3_S9_.uses_vcc, 1
	.set _ZN2at6native12_GLOBAL__N_135GammaBetaBackwardCUDAKernelTemplateIffLj32ELj32ELj256ELb0ELb0ELb0EEEvllPKT_S5_PKT0_S8_PS3_S9_.uses_flat_scratch, 0
	.set _ZN2at6native12_GLOBAL__N_135GammaBetaBackwardCUDAKernelTemplateIffLj32ELj32ELj256ELb0ELb0ELb0EEEvllPKT_S5_PKT0_S8_PS3_S9_.has_dyn_sized_stack, 0
	.set _ZN2at6native12_GLOBAL__N_135GammaBetaBackwardCUDAKernelTemplateIffLj32ELj32ELj256ELb0ELb0ELb0EEEvllPKT_S5_PKT0_S8_PS3_S9_.has_recursion, 0
	.set _ZN2at6native12_GLOBAL__N_135GammaBetaBackwardCUDAKernelTemplateIffLj32ELj32ELj256ELb0ELb0ELb0EEEvllPKT_S5_PKT0_S8_PS3_S9_.has_indirect_call, 0
	.section	.AMDGPU.csdata,"",@progbits
; Kernel info:
; codeLenInByte = 6508
; TotalNumSgprs: 54
; NumVgprs: 106
; ScratchSize: 0
; MemoryBound: 0
; FloatMode: 240
; IeeeMode: 1
; LDSByteSize: 0 bytes/workgroup (compile time only)
; SGPRBlocks: 0
; VGPRBlocks: 6
; NumSGPRsForWavesPerEU: 54
; NumVGPRsForWavesPerEU: 106
; NamedBarCnt: 0
; Occupancy: 9
; WaveLimiterHint : 0
; COMPUTE_PGM_RSRC2:SCRATCH_EN: 0
; COMPUTE_PGM_RSRC2:USER_SGPR: 2
; COMPUTE_PGM_RSRC2:TRAP_HANDLER: 0
; COMPUTE_PGM_RSRC2:TGID_X_EN: 1
; COMPUTE_PGM_RSRC2:TGID_Y_EN: 1
; COMPUTE_PGM_RSRC2:TGID_Z_EN: 0
; COMPUTE_PGM_RSRC2:TIDIG_COMP_CNT: 1
	.section	.text._ZN2at6native12_GLOBAL__N_118cuComputeGradInputIN3c104HalfEfLb0EEEvPKT_S7_llPKT0_SA_S7_PS5_,"axG",@progbits,_ZN2at6native12_GLOBAL__N_118cuComputeGradInputIN3c104HalfEfLb0EEEvPKT_S7_llPKT0_SA_S7_PS5_,comdat
	.globl	_ZN2at6native12_GLOBAL__N_118cuComputeGradInputIN3c104HalfEfLb0EEEvPKT_S7_llPKT0_SA_S7_PS5_ ; -- Begin function _ZN2at6native12_GLOBAL__N_118cuComputeGradInputIN3c104HalfEfLb0EEEvPKT_S7_llPKT0_SA_S7_PS5_
	.p2align	8
	.type	_ZN2at6native12_GLOBAL__N_118cuComputeGradInputIN3c104HalfEfLb0EEEvPKT_S7_llPKT0_SA_S7_PS5_,@function
_ZN2at6native12_GLOBAL__N_118cuComputeGradInputIN3c104HalfEfLb0EEEvPKT_S7_llPKT0_SA_S7_PS5_: ; @_ZN2at6native12_GLOBAL__N_118cuComputeGradInputIN3c104HalfEfLb0EEEvPKT_S7_llPKT0_SA_S7_PS5_
; %bb.0:
	s_load_b128 s[16:19], s[0:1], 0x10
	s_bfe_u32 s2, ttmp6, 0x40010
	s_bfe_u32 s3, ttmp6, 0x40004
	s_add_co_i32 s2, s2, 1
	s_getreg_b32 s4, hwreg(HW_REG_IB_STS2, 6, 4)
	s_mul_i32 s2, ttmp7, s2
	s_delay_alu instid0(SALU_CYCLE_1) | instskip(SKIP_2) | instid1(SALU_CYCLE_1)
	s_add_co_i32 s3, s3, s2
	s_cmp_eq_u32 s4, 0
	s_cselect_b32 s6, ttmp7, s3
	s_ashr_i32 s7, s6, 31
	s_wait_kmcnt 0x0
	v_cmp_le_i64_e64 s2, s[16:17], s[6:7]
	s_and_b32 vcc_lo, exec_lo, s2
	s_cbranch_vccnz .LBB70_49
; %bb.1:
	s_clause 0x1
	s_load_b32 s2, s[0:1], 0x4c
	s_load_b256 s[8:15], s[0:1], 0x20
	s_cls_i32 s3, s19
	v_and_b32_e32 v12, 0x3ff, v0
	v_bfe_u32 v13, v0, 10, 10
	s_clause 0x1
	s_load_b32 s38, s[0:1], 0x44
	s_load_b128 s[20:23], s[0:1], 0x0
	v_cmp_gt_i64_e64 s39, s[18:19], 0
	v_mbcnt_lo_u32_b32 v15, -1, 0
	v_lshlrev_b32_e32 v8, 3, v12
	s_wait_xcnt 0x0
	v_cmp_eq_u32_e64 s0, 0, v13
	v_cmp_ne_u32_e64 s1, 0, v13
	v_cndmask_b32_e64 v14, 0, 1, s39
	v_add_nc_u32_e32 v18, 0, v8
	s_wait_kmcnt 0x0
	s_lshr_b32 s33, s2, 16
	s_and_b32 s34, s2, 0xffff
	s_cmp_lg_u64 s[12:13], 0
	v_mad_u32_u24 v0, v13, s34, v12
	s_cselect_b32 s35, -1, 0
	s_cmp_gt_u32 s34, 1
	s_mul_i32 s24, s33, s34
	s_cselect_b32 s36, -1, 0
	s_cmp_gt_u32 s33, 1
	v_lshlrev_b32_e32 v9, 3, v0
	s_cselect_b32 s37, -1, 0
	s_xor_b32 s2, s18, s19
	s_add_co_i32 s3, s3, -1
	s_ashr_i32 s2, s2, 31
	s_ashr_i32 s25, s24, 31
	s_add_co_i32 s2, s2, 32
	v_add_nc_u32_e32 v16, 0, v9
	s_min_u32 s4, s3, s2
	s_delay_alu instid0(SALU_CYCLE_1) | instskip(NEXT) | instid1(SALU_CYCLE_1)
	s_lshl_b64 s[2:3], s[18:19], s4
	s_min_u32 s2, s2, 1
	s_delay_alu instid0(SALU_CYCLE_1) | instskip(SKIP_2) | instid1(SALU_CYCLE_3)
	s_or_b32 s2, s3, s2
	s_sub_co_i32 s3, 32, s4
	s_cvt_f32_i32 s2, s2
	v_ldexp_f32 v2, s2, s3
	s_delay_alu instid0(VALU_DEP_1) | instskip(SKIP_1) | instid1(VALU_DEP_2)
	v_div_scale_f32 v1, null, v2, v2, 1.0
	v_div_scale_f32 v6, vcc_lo, 1.0, v2, 1.0
	v_rcp_f32_e32 v3, v1
	v_xor_b32_e32 v5, 0x80000000, v1
	s_delay_alu instid0(TRANS32_DEP_1) | instid1(VALU_DEP_1)
	v_fma_f32 v1, v5, v3, 1.0
	s_delay_alu instid0(VALU_DEP_1) | instskip(NEXT) | instid1(VALU_DEP_1)
	v_dual_fmac_f32 v3, v1, v3 :: v_dual_mov_b32 v1, 0
	v_mul_f32_e32 v7, v6, v3
	s_delay_alu instid0(VALU_DEP_2) | instskip(NEXT) | instid1(VALU_DEP_2)
	v_cmp_gt_i64_e64 s2, s[18:19], v[0:1]
	v_fma_f32 v4, v5, v7, v6
	s_delay_alu instid0(VALU_DEP_1) | instskip(NEXT) | instid1(VALU_DEP_1)
	v_dual_fmac_f32 v7, v4, v3 :: v_dual_add_nc_u32 v4, s24, v0
	v_dual_fmac_f32 v6, v5, v7 :: v_dual_ashrrev_i32 v5, 31, v4
	s_delay_alu instid0(VALU_DEP_1) | instskip(NEXT) | instid1(VALU_DEP_2)
	v_div_fmas_f32 v3, v6, v3, v7
	v_sub_nc_u64_e64 v[4:5], v[4:5], s[24:25]
	s_delay_alu instid0(VALU_DEP_2)
	v_div_fixup_f32 v17, v3, v2, 1.0
	s_branch .LBB70_4
.LBB70_2:                               ;   in Loop: Header=BB70_4 Depth=1
	s_or_b32 exec_lo, exec_lo, s3
.LBB70_3:                               ;   in Loop: Header=BB70_4 Depth=1
	s_add_co_i32 s6, s38, s6
	s_wait_storecnt_dscnt 0x0
	s_ashr_i32 s7, s6, 31
	s_barrier_signal -1
	v_cmp_le_i64_e64 s3, s[16:17], s[6:7]
	s_barrier_wait -1
	s_and_b32 vcc_lo, exec_lo, s3
	s_cbranch_vccnz .LBB70_49
.LBB70_4:                               ; =>This Loop Header: Depth=1
                                        ;     Child Loop BB70_8 Depth 2
                                        ;     Child Loop BB70_20 Depth 2
	;; [unrolled: 1-line block ×6, first 2 shown]
	s_lshl_b64 s[4:5], s[6:7], 2
	v_cmp_ne_u32_e64 s3, 1, v14
	s_add_nc_u64 s[26:27], s[8:9], s[4:5]
	s_add_nc_u64 s[4:5], s[10:11], s[4:5]
	s_load_b32 s40, s[26:27], 0x0
	s_load_b32 s41, s[4:5], 0x0
	s_wait_xcnt 0x0
	s_mul_u64 s[4:5], s[6:7], s[18:19]
	s_and_not1_b32 vcc_lo, exec_lo, s35
	s_lshl_b64 s[30:31], s[4:5], 1
	s_mov_b32 s4, -1
	s_add_nc_u64 s[26:27], s[22:23], s[30:31]
	s_add_nc_u64 s[28:29], s[20:21], s[30:31]
                                        ; implicit-def: $vgpr6_vgpr7
	s_cbranch_vccnz .LBB70_16
; %bb.5:                                ;   in Loop: Header=BB70_4 Depth=1
	s_and_b32 vcc_lo, exec_lo, s3
	s_cbranch_vccnz .LBB70_14
; %bb.6:                                ;   in Loop: Header=BB70_4 Depth=1
	v_mov_b32_e32 v6, 0
	s_mov_b32 s4, 0
	s_delay_alu instid0(VALU_DEP_1)
	v_mov_b32_e32 v7, v6
	s_branch .LBB70_8
.LBB70_7:                               ;   in Loop: Header=BB70_8 Depth=2
	s_or_b32 exec_lo, exec_lo, s3
	s_wait_kmcnt 0x0
	s_delay_alu instid0(VALU_DEP_1) | instskip(SKIP_1) | instid1(SALU_CYCLE_1)
	v_dual_subrev_f32 v9, s40, v11 :: v_dual_mul_f32 v8, v3, v10
	s_add_co_i32 s4, s4, s24
	s_ashr_i32 s5, s4, 31
	s_delay_alu instid0(VALU_DEP_1) | instskip(SKIP_1) | instid1(VALU_DEP_2)
	v_mul_f32_e32 v3, v9, v8
	v_cmp_le_i64_e64 s3, s[18:19], s[4:5]
	v_mul_f32_e32 v9, s41, v3
	s_and_b32 vcc_lo, exec_lo, s3
	s_delay_alu instid0(VALU_DEP_1)
	v_pk_add_f32 v[6:7], v[6:7], v[8:9]
	s_cbranch_vccnz .LBB70_15
.LBB70_8:                               ;   Parent Loop BB70_4 Depth=1
                                        ; =>  This Inner Loop Header: Depth=2
	v_dual_mov_b32 v3, 0 :: v_dual_add_nc_u32 v8, s4, v0
	s_delay_alu instid0(VALU_DEP_1) | instskip(NEXT) | instid1(VALU_DEP_1)
	v_ashrrev_i32_e32 v9, 31, v8
	v_cmp_gt_i64_e32 vcc_lo, s[18:19], v[8:9]
	s_and_saveexec_b32 s3, vcc_lo
	s_cbranch_execz .LBB70_10
; %bb.9:                                ;   in Loop: Header=BB70_8 Depth=2
	v_lshl_add_u64 v[10:11], v[8:9], 1, s[12:13]
	global_load_u16 v3, v[10:11], off
	s_wait_loadcnt 0x0
	v_cvt_f32_f16_e32 v3, v3
.LBB70_10:                              ;   in Loop: Header=BB70_8 Depth=2
	s_or_b32 exec_lo, exec_lo, s3
	v_dual_mov_b32 v10, 0 :: v_dual_mov_b32 v11, 0
	s_and_saveexec_b32 s3, vcc_lo
	s_cbranch_execz .LBB70_12
; %bb.11:                               ;   in Loop: Header=BB70_8 Depth=2
	v_lshl_add_u64 v[20:21], v[8:9], 1, s[26:27]
	global_load_u16 v11, v[20:21], off
	s_wait_loadcnt 0x0
	v_cvt_f32_f16_e32 v11, v11
.LBB70_12:                              ;   in Loop: Header=BB70_8 Depth=2
	s_or_b32 exec_lo, exec_lo, s3
	s_and_saveexec_b32 s3, vcc_lo
	s_cbranch_execz .LBB70_7
; %bb.13:                               ;   in Loop: Header=BB70_8 Depth=2
	v_lshl_add_u64 v[8:9], v[8:9], 1, s[28:29]
	global_load_u16 v8, v[8:9], off
	s_wait_loadcnt 0x0
	v_cvt_f32_f16_e32 v10, v8
	s_branch .LBB70_7
.LBB70_14:                              ;   in Loop: Header=BB70_4 Depth=1
	v_mov_b64_e32 v[6:7], 0
.LBB70_15:                              ;   in Loop: Header=BB70_4 Depth=1
	s_mov_b32 s4, 0
.LBB70_16:                              ;   in Loop: Header=BB70_4 Depth=1
	s_delay_alu instid0(SALU_CYCLE_1)
	s_and_not1_b32 vcc_lo, exec_lo, s4
	s_cbranch_vccnz .LBB70_25
; %bb.17:                               ;   in Loop: Header=BB70_4 Depth=1
	s_and_not1_b32 vcc_lo, exec_lo, s39
	s_cbranch_vccnz .LBB70_24
; %bb.18:                               ;   in Loop: Header=BB70_4 Depth=1
	v_mov_b32_e32 v6, 0
	s_mov_b32 s4, 0
	s_delay_alu instid0(VALU_DEP_1)
	v_mov_b32_e32 v7, v6
	s_branch .LBB70_20
.LBB70_19:                              ;   in Loop: Header=BB70_20 Depth=2
	s_or_b32 exec_lo, exec_lo, s3
	s_wait_kmcnt 0x0
	v_subrev_f32_e32 v3, s40, v3
	s_add_co_i32 s4, s4, s24
	s_delay_alu instid0(SALU_CYCLE_1) | instskip(NEXT) | instid1(SALU_CYCLE_1)
	s_ashr_i32 s5, s4, 31
	v_cmp_le_i64_e64 s3, s[18:19], s[4:5]
	s_delay_alu instid0(VALU_DEP_2) | instskip(NEXT) | instid1(VALU_DEP_1)
	v_mul_f32_e32 v3, v3, v10
	v_mul_f32_e32 v11, s41, v3
	s_and_b32 vcc_lo, exec_lo, s3
	s_delay_alu instid0(VALU_DEP_1)
	v_pk_add_f32 v[6:7], v[6:7], v[10:11]
	s_cbranch_vccnz .LBB70_25
.LBB70_20:                              ;   Parent Loop BB70_4 Depth=1
                                        ; =>  This Inner Loop Header: Depth=2
	v_dual_mov_b32 v3, 0 :: v_dual_add_nc_u32 v8, s4, v0
	s_delay_alu instid0(VALU_DEP_1) | instskip(NEXT) | instid1(VALU_DEP_1)
	v_ashrrev_i32_e32 v9, 31, v8
	v_cmp_gt_i64_e32 vcc_lo, s[18:19], v[8:9]
	s_and_saveexec_b32 s3, vcc_lo
	s_cbranch_execz .LBB70_22
; %bb.21:                               ;   in Loop: Header=BB70_20 Depth=2
	v_lshl_add_u64 v[10:11], v[8:9], 1, s[26:27]
	global_load_u16 v3, v[10:11], off
	s_wait_loadcnt 0x0
	v_cvt_f32_f16_e32 v3, v3
.LBB70_22:                              ;   in Loop: Header=BB70_20 Depth=2
	s_or_b32 exec_lo, exec_lo, s3
	v_mov_b32_e32 v10, 0
	s_and_saveexec_b32 s3, vcc_lo
	s_cbranch_execz .LBB70_19
; %bb.23:                               ;   in Loop: Header=BB70_20 Depth=2
	v_lshl_add_u64 v[8:9], v[8:9], 1, s[28:29]
	global_load_u16 v8, v[8:9], off
	s_wait_loadcnt 0x0
	v_cvt_f32_f16_e32 v10, v8
	s_branch .LBB70_19
.LBB70_24:                              ;   in Loop: Header=BB70_4 Depth=1
	v_mov_b64_e32 v[6:7], 0
.LBB70_25:                              ;   in Loop: Header=BB70_4 Depth=1
	s_and_not1_b32 vcc_lo, exec_lo, s36
	s_cbranch_vccnz .LBB70_28
; %bb.26:                               ;   in Loop: Header=BB70_4 Depth=1
	s_mov_b32 s3, s34
.LBB70_27:                              ;   Parent Loop BB70_4 Depth=1
                                        ; =>  This Inner Loop Header: Depth=2
	s_delay_alu instid0(SALU_CYCLE_1) | instskip(SKIP_3) | instid1(VALU_DEP_1)
	s_lshr_b32 s4, s3, 1
	s_cmp_lt_u32 s3, 4
	v_xor_b32_e32 v3, s4, v15
	s_mov_b32 s3, s4
	v_cmp_gt_i32_e32 vcc_lo, 32, v3
	v_cndmask_b32_e32 v3, v15, v3, vcc_lo
	s_delay_alu instid0(VALU_DEP_1)
	v_lshlrev_b32_e32 v3, 2, v3
	ds_bpermute_b32 v8, v3, v6
	ds_bpermute_b32 v9, v3, v7
	s_wait_dscnt 0x0
	v_pk_add_f32 v[6:7], v[6:7], v[8:9]
	s_cbranch_scc0 .LBB70_27
.LBB70_28:                              ;   in Loop: Header=BB70_4 Depth=1
	s_and_not1_b32 vcc_lo, exec_lo, s37
	s_mov_b32 s5, s33
	s_cbranch_vccnz .LBB70_40
.LBB70_29:                              ;   Parent Loop BB70_4 Depth=1
                                        ; =>  This Inner Loop Header: Depth=2
	s_lshr_b32 s7, s5, 1
	s_and_b32 s4, s5, 0xfffe
	v_cmp_le_u32_e64 s3, s7, v13
	v_cmp_gt_u32_e64 s4, s4, v13
	v_cmp_gt_u32_e32 vcc_lo, s7, v13
	s_and_b32 s4, s3, s4
	s_delay_alu instid0(SALU_CYCLE_1)
	s_and_saveexec_b32 s3, s4
	s_cbranch_execz .LBB70_31
; %bb.30:                               ;   in Loop: Header=BB70_29 Depth=2
	v_subrev_nc_u32_e32 v3, s7, v13
	s_delay_alu instid0(VALU_DEP_1) | instskip(NEXT) | instid1(VALU_DEP_1)
	v_mad_u32_u24 v3, v3, s34, v12
	v_lshl_add_u32 v3, v3, 3, 0
	ds_store_b64 v3, v[6:7]
.LBB70_31:                              ;   in Loop: Header=BB70_29 Depth=2
	s_or_b32 exec_lo, exec_lo, s3
	s_wait_dscnt 0x0
	s_barrier_signal -1
	s_barrier_wait -1
	s_and_saveexec_b32 s3, vcc_lo
	s_cbranch_execz .LBB70_33
; %bb.32:                               ;   in Loop: Header=BB70_29 Depth=2
	ds_load_b64 v[8:9], v16
	s_wait_dscnt 0x0
	v_pk_add_f32 v[6:7], v[6:7], v[8:9]
.LBB70_33:                              ;   in Loop: Header=BB70_29 Depth=2
	s_or_b32 exec_lo, exec_lo, s3
	s_cmp_lt_u32 s5, 4
	s_barrier_signal -1
	s_barrier_wait -1
	s_cbranch_scc1 .LBB70_35
; %bb.34:                               ;   in Loop: Header=BB70_29 Depth=2
	s_mov_b32 s5, s7
	s_branch .LBB70_29
.LBB70_35:                              ;   in Loop: Header=BB70_4 Depth=1
	s_and_saveexec_b32 s3, s0
; %bb.36:                               ;   in Loop: Header=BB70_4 Depth=1
	ds_store_b64 v18, v[6:7]
; %bb.37:                               ;   in Loop: Header=BB70_4 Depth=1
	s_or_b32 exec_lo, exec_lo, s3
	s_wait_dscnt 0x0
	s_barrier_signal -1
	s_barrier_wait -1
	s_and_saveexec_b32 s3, s1
; %bb.38:                               ;   in Loop: Header=BB70_4 Depth=1
	ds_load_b64 v[6:7], v18
; %bb.39:                               ;   in Loop: Header=BB70_4 Depth=1
	s_or_b32 exec_lo, exec_lo, s3
.LBB70_40:                              ;   in Loop: Header=BB70_4 Depth=1
	s_wait_kmcnt 0x0
	v_mul_f32_e32 v19, s41, v17
	s_and_not1_b32 vcc_lo, exec_lo, s35
	s_add_nc_u64 s[4:5], s[14:15], s[30:31]
	s_cbranch_vccnz .LBB70_45
; %bb.41:                               ;   in Loop: Header=BB70_4 Depth=1
	s_and_saveexec_b32 s3, s2
	s_cbranch_execz .LBB70_44
; %bb.42:                               ;   in Loop: Header=BB70_4 Depth=1
	v_mov_b64_e32 v[8:9], v[4:5]
	v_mov_b64_e32 v[10:11], v[0:1]
	s_mov_b32 s7, 0
.LBB70_43:                              ;   Parent Loop BB70_4 Depth=1
                                        ; =>  This Inner Loop Header: Depth=2
	s_delay_alu instid0(VALU_DEP_1) | instskip(NEXT) | instid1(VALU_DEP_3)
	v_lshlrev_b64_e32 v[10:11], 1, v[10:11]
	v_add_nc_u64_e32 v[8:9], s[24:25], v[8:9]
	s_delay_alu instid0(VALU_DEP_2) | instskip(SKIP_1) | instid1(VALU_DEP_3)
	v_add_nc_u64_e32 v[20:21], s[28:29], v[10:11]
	v_add_nc_u64_e32 v[22:23], s[26:27], v[10:11]
	v_cmp_le_i64_e32 vcc_lo, s[18:19], v[8:9]
	global_load_u16 v3, v[20:21], off
	global_load_u16 v24, v[22:23], off
	s_wait_xcnt 0x1
	v_add_nc_u64_e32 v[20:21], s[12:13], v[10:11]
	s_or_b32 s7, vcc_lo, s7
	global_load_u16 v20, v[20:21], off
	s_wait_loadcnt 0x2
	v_cvt_f32_f16_e32 v3, v3
	s_wait_loadcnt 0x1
	s_wait_xcnt 0x0
	v_cvt_f32_f16_e32 v21, v24
	s_delay_alu instid0(VALU_DEP_1) | instskip(SKIP_1) | instid1(VALU_DEP_1)
	v_dual_mul_f32 v3, v2, v3 :: v_dual_subrev_f32 v21, s40, v21
	s_wait_loadcnt_dscnt 0x0
	v_fma_mix_f32 v3, v3, v20, -v6 op_sel_hi:[0,1,0]
	s_delay_alu instid0(VALU_DEP_2) | instskip(NEXT) | instid1(VALU_DEP_1)
	v_mul_f32_e32 v20, s41, v21
	v_fma_f32 v3, -v7, v20, v3
	v_add_nc_u64_e32 v[20:21], s[4:5], v[10:11]
	v_dual_mov_b32 v10, v8 :: v_dual_ashrrev_i32 v11, 31, v8
	s_delay_alu instid0(VALU_DEP_3)
	v_fma_mixlo_f16 v3, v19, v3, 0
	global_store_b16 v[20:21], v3, off
	s_wait_xcnt 0x0
	s_and_not1_b32 exec_lo, exec_lo, s7
	s_cbranch_execnz .LBB70_43
.LBB70_44:                              ;   in Loop: Header=BB70_4 Depth=1
	s_or_b32 exec_lo, exec_lo, s3
	s_cbranch_execnz .LBB70_3
	s_branch .LBB70_46
.LBB70_45:                              ;   in Loop: Header=BB70_4 Depth=1
.LBB70_46:                              ;   in Loop: Header=BB70_4 Depth=1
	s_and_saveexec_b32 s3, s2
	s_cbranch_execz .LBB70_2
; %bb.47:                               ;   in Loop: Header=BB70_4 Depth=1
	v_mov_b64_e32 v[8:9], v[4:5]
	v_mov_b64_e32 v[10:11], v[0:1]
	v_mov_b32_e32 v3, s41
	s_mov_b32 s7, 0
.LBB70_48:                              ;   Parent Loop BB70_4 Depth=1
                                        ; =>  This Inner Loop Header: Depth=2
	s_delay_alu instid0(VALU_DEP_2) | instskip(NEXT) | instid1(VALU_DEP_4)
	v_lshlrev_b64_e32 v[10:11], 1, v[10:11]
	v_add_nc_u64_e32 v[8:9], s[24:25], v[8:9]
	s_delay_alu instid0(VALU_DEP_2) | instskip(SKIP_1) | instid1(VALU_DEP_3)
	v_add_nc_u64_e32 v[20:21], s[26:27], v[10:11]
	v_add_nc_u64_e32 v[22:23], s[28:29], v[10:11]
	v_cmp_le_i64_e32 vcc_lo, s[18:19], v[8:9]
	global_load_u16 v24, v[20:21], off
	global_load_u16 v25, v[22:23], off
	s_or_b32 s7, vcc_lo, s7
	s_wait_loadcnt 0x1
	s_wait_xcnt 0x1
	v_cvt_f32_f16_e32 v21, v24
	s_wait_loadcnt 0x0
	v_cvt_f32_f16_e32 v20, v25
	s_delay_alu instid0(VALU_DEP_2) | instskip(NEXT) | instid1(VALU_DEP_1)
	v_subrev_f32_e32 v21, s40, v21
	v_pk_mul_f32 v[20:21], v[2:3], v[20:21]
	s_wait_dscnt 0x0
	s_delay_alu instid0(VALU_DEP_1) | instskip(SKIP_1) | instid1(VALU_DEP_1)
	v_sub_f32_e32 v20, v20, v6
	s_wait_xcnt 0x0
	v_fma_f32 v22, -v21, v7, v20
	v_add_nc_u64_e32 v[20:21], s[4:5], v[10:11]
	v_dual_mov_b32 v10, v8 :: v_dual_ashrrev_i32 v11, 31, v8
	s_delay_alu instid0(VALU_DEP_3)
	v_fma_mixlo_f16 v22, v19, v22, 0
	global_store_b16 v[20:21], v22, off
	s_wait_xcnt 0x0
	s_and_not1_b32 exec_lo, exec_lo, s7
	s_cbranch_execnz .LBB70_48
	s_branch .LBB70_2
.LBB70_49:
	s_endpgm
	.section	.rodata,"a",@progbits
	.p2align	6, 0x0
	.amdhsa_kernel _ZN2at6native12_GLOBAL__N_118cuComputeGradInputIN3c104HalfEfLb0EEEvPKT_S7_llPKT0_SA_S7_PS5_
		.amdhsa_group_segment_fixed_size 0
		.amdhsa_private_segment_fixed_size 0
		.amdhsa_kernarg_size 320
		.amdhsa_user_sgpr_count 2
		.amdhsa_user_sgpr_dispatch_ptr 0
		.amdhsa_user_sgpr_queue_ptr 0
		.amdhsa_user_sgpr_kernarg_segment_ptr 1
		.amdhsa_user_sgpr_dispatch_id 0
		.amdhsa_user_sgpr_kernarg_preload_length 0
		.amdhsa_user_sgpr_kernarg_preload_offset 0
		.amdhsa_user_sgpr_private_segment_size 0
		.amdhsa_wavefront_size32 1
		.amdhsa_uses_dynamic_stack 0
		.amdhsa_enable_private_segment 0
		.amdhsa_system_sgpr_workgroup_id_x 1
		.amdhsa_system_sgpr_workgroup_id_y 1
		.amdhsa_system_sgpr_workgroup_id_z 0
		.amdhsa_system_sgpr_workgroup_info 0
		.amdhsa_system_vgpr_workitem_id 1
		.amdhsa_next_free_vgpr 26
		.amdhsa_next_free_sgpr 42
		.amdhsa_named_barrier_count 0
		.amdhsa_reserve_vcc 1
		.amdhsa_float_round_mode_32 0
		.amdhsa_float_round_mode_16_64 0
		.amdhsa_float_denorm_mode_32 3
		.amdhsa_float_denorm_mode_16_64 3
		.amdhsa_fp16_overflow 0
		.amdhsa_memory_ordered 1
		.amdhsa_forward_progress 1
		.amdhsa_inst_pref_size 14
		.amdhsa_round_robin_scheduling 0
		.amdhsa_exception_fp_ieee_invalid_op 0
		.amdhsa_exception_fp_denorm_src 0
		.amdhsa_exception_fp_ieee_div_zero 0
		.amdhsa_exception_fp_ieee_overflow 0
		.amdhsa_exception_fp_ieee_underflow 0
		.amdhsa_exception_fp_ieee_inexact 0
		.amdhsa_exception_int_div_zero 0
	.end_amdhsa_kernel
	.section	.text._ZN2at6native12_GLOBAL__N_118cuComputeGradInputIN3c104HalfEfLb0EEEvPKT_S7_llPKT0_SA_S7_PS5_,"axG",@progbits,_ZN2at6native12_GLOBAL__N_118cuComputeGradInputIN3c104HalfEfLb0EEEvPKT_S7_llPKT0_SA_S7_PS5_,comdat
.Lfunc_end70:
	.size	_ZN2at6native12_GLOBAL__N_118cuComputeGradInputIN3c104HalfEfLb0EEEvPKT_S7_llPKT0_SA_S7_PS5_, .Lfunc_end70-_ZN2at6native12_GLOBAL__N_118cuComputeGradInputIN3c104HalfEfLb0EEEvPKT_S7_llPKT0_SA_S7_PS5_
                                        ; -- End function
	.set _ZN2at6native12_GLOBAL__N_118cuComputeGradInputIN3c104HalfEfLb0EEEvPKT_S7_llPKT0_SA_S7_PS5_.num_vgpr, 26
	.set _ZN2at6native12_GLOBAL__N_118cuComputeGradInputIN3c104HalfEfLb0EEEvPKT_S7_llPKT0_SA_S7_PS5_.num_agpr, 0
	.set _ZN2at6native12_GLOBAL__N_118cuComputeGradInputIN3c104HalfEfLb0EEEvPKT_S7_llPKT0_SA_S7_PS5_.numbered_sgpr, 42
	.set _ZN2at6native12_GLOBAL__N_118cuComputeGradInputIN3c104HalfEfLb0EEEvPKT_S7_llPKT0_SA_S7_PS5_.num_named_barrier, 0
	.set _ZN2at6native12_GLOBAL__N_118cuComputeGradInputIN3c104HalfEfLb0EEEvPKT_S7_llPKT0_SA_S7_PS5_.private_seg_size, 0
	.set _ZN2at6native12_GLOBAL__N_118cuComputeGradInputIN3c104HalfEfLb0EEEvPKT_S7_llPKT0_SA_S7_PS5_.uses_vcc, 1
	.set _ZN2at6native12_GLOBAL__N_118cuComputeGradInputIN3c104HalfEfLb0EEEvPKT_S7_llPKT0_SA_S7_PS5_.uses_flat_scratch, 0
	.set _ZN2at6native12_GLOBAL__N_118cuComputeGradInputIN3c104HalfEfLb0EEEvPKT_S7_llPKT0_SA_S7_PS5_.has_dyn_sized_stack, 0
	.set _ZN2at6native12_GLOBAL__N_118cuComputeGradInputIN3c104HalfEfLb0EEEvPKT_S7_llPKT0_SA_S7_PS5_.has_recursion, 0
	.set _ZN2at6native12_GLOBAL__N_118cuComputeGradInputIN3c104HalfEfLb0EEEvPKT_S7_llPKT0_SA_S7_PS5_.has_indirect_call, 0
	.section	.AMDGPU.csdata,"",@progbits
; Kernel info:
; codeLenInByte = 1744
; TotalNumSgprs: 44
; NumVgprs: 26
; ScratchSize: 0
; MemoryBound: 0
; FloatMode: 240
; IeeeMode: 1
; LDSByteSize: 0 bytes/workgroup (compile time only)
; SGPRBlocks: 0
; VGPRBlocks: 1
; NumSGPRsForWavesPerEU: 44
; NumVGPRsForWavesPerEU: 26
; NamedBarCnt: 0
; Occupancy: 16
; WaveLimiterHint : 0
; COMPUTE_PGM_RSRC2:SCRATCH_EN: 0
; COMPUTE_PGM_RSRC2:USER_SGPR: 2
; COMPUTE_PGM_RSRC2:TRAP_HANDLER: 0
; COMPUTE_PGM_RSRC2:TGID_X_EN: 1
; COMPUTE_PGM_RSRC2:TGID_Y_EN: 1
; COMPUTE_PGM_RSRC2:TGID_Z_EN: 0
; COMPUTE_PGM_RSRC2:TIDIG_COMP_CNT: 1
	.section	.text._ZN2at6native12_GLOBAL__N_128layer_norm_grad_input_kernelIN3c104HalfEfLb0EEEvPKT_S7_PKT0_SA_S7_PS5_i,"axG",@progbits,_ZN2at6native12_GLOBAL__N_128layer_norm_grad_input_kernelIN3c104HalfEfLb0EEEvPKT_S7_PKT0_SA_S7_PS5_i,comdat
	.globl	_ZN2at6native12_GLOBAL__N_128layer_norm_grad_input_kernelIN3c104HalfEfLb0EEEvPKT_S7_PKT0_SA_S7_PS5_i ; -- Begin function _ZN2at6native12_GLOBAL__N_128layer_norm_grad_input_kernelIN3c104HalfEfLb0EEEvPKT_S7_PKT0_SA_S7_PS5_i
	.p2align	8
	.type	_ZN2at6native12_GLOBAL__N_128layer_norm_grad_input_kernelIN3c104HalfEfLb0EEEvPKT_S7_PKT0_SA_S7_PS5_i,@function
_ZN2at6native12_GLOBAL__N_128layer_norm_grad_input_kernelIN3c104HalfEfLb0EEEvPKT_S7_PKT0_SA_S7_PS5_i: ; @_ZN2at6native12_GLOBAL__N_128layer_norm_grad_input_kernelIN3c104HalfEfLb0EEEvPKT_S7_PKT0_SA_S7_PS5_i
; %bb.0:
	s_load_b256 s[4:11], s[0:1], 0x0
	s_bfe_u32 s2, ttmp6, 0x4000c
	s_load_b32 s12, s[0:1], 0x30
	s_add_co_i32 s2, s2, 1
	s_and_b32 s3, ttmp6, 15
	s_mul_i32 s2, ttmp9, s2
	s_getreg_b32 s13, hwreg(HW_REG_IB_STS2, 6, 4)
	s_add_co_i32 s3, s3, s2
	s_cmp_eq_u32 s13, 0
	v_lshlrev_b32_e32 v4, 2, v0
	s_cselect_b32 s18, ttmp9, s3
	s_mov_b32 s19, 0
	v_mov_b64_e32 v[2:3], 0
	s_load_b64 s[14:15], s[0:1], 0x20
	s_wait_kmcnt 0x0
	s_load_b32 s20, s[8:9], s18 offset:0x0 scale_offset
	s_load_b32 s21, s[10:11], s18 offset:0x0 scale_offset
	v_or_b32_e32 v1, 3, v4
	s_ashr_i32 s13, s12, 31
	s_delay_alu instid0(SALU_CYCLE_1)
	s_mul_u64 s[2:3], s[12:13], s[18:19]
	s_mov_b32 s13, exec_lo
	s_lshl_b64 s[16:17], s[2:3], 1
	s_wait_xcnt 0x0
	s_add_nc_u64 s[8:9], s[6:7], s[16:17]
	s_add_nc_u64 s[10:11], s[4:5], s[16:17]
	v_cmpx_gt_u32_e64 s12, v1
	s_cbranch_execz .LBB71_12
; %bb.1:
	s_load_b32 s22, s[0:1], 0x44
	v_mov_b32_e32 v5, 0
	s_cmp_lg_u64 s[14:15], 0
	s_cselect_b32 s18, -1, 0
	s_delay_alu instid0(VALU_DEP_1) | instskip(SKIP_2) | instid1(SALU_CYCLE_1)
	v_dual_mov_b32 v2, v5 :: v_dual_mov_b32 v3, v5
	s_wait_kmcnt 0x0
	s_and_b32 s22, s22, 0xffff
	s_lshl_b32 s22, s22, 2
	s_branch .LBB71_3
.LBB71_2:                               ;   in Loop: Header=BB71_3 Depth=1
	global_load_u16 v10, v[6:7], off offset:6
	global_load_u16 v21, v[8:9], off offset:6
	s_wait_loadcnt 0x7
	s_wait_xcnt 0x1
	v_cvt_f32_f16_e32 v6, v14
	s_wait_loadcnt 0x6
	v_cvt_f32_f16_e32 v7, v15
	s_wait_loadcnt 0x5
	s_wait_xcnt 0x0
	v_cvt_f32_f16_e32 v8, v17
	s_wait_loadcnt 0x4
	v_cvt_f32_f16_e32 v9, v18
	s_wait_loadcnt 0x3
	v_cvt_f32_f16_e32 v11, v19
	v_dual_subrev_f32 v6, s20, v6 :: v_dual_mul_f32 v7, v12, v7
	s_wait_loadcnt 0x2
	v_cvt_f32_f16_e32 v12, v20
	v_dual_subrev_f32 v8, s20, v8 :: v_dual_mul_f32 v9, v1, v9
	v_subrev_f32_e32 v14, s20, v11
	s_delay_alu instid0(VALU_DEP_3) | instskip(NEXT) | instid1(VALU_DEP_3)
	v_dual_mul_f32 v1, v6, v7 :: v_dual_mul_f32 v11, v16, v12
	v_dual_add_nc_u32 v4, s22, v4 :: v_dual_mul_f32 v8, v8, v9
	s_delay_alu instid0(VALU_DEP_2) | instskip(NEXT) | instid1(VALU_DEP_1)
	v_dual_mul_f32 v6, s21, v1 :: v_dual_mul_f32 v12, v14, v11
	v_pk_add_f32 v[2:3], v[2:3], v[6:7]
	s_wait_loadcnt 0x1
	v_cvt_f32_f16_e32 v1, v10
	s_wait_loadcnt 0x0
	v_cvt_f32_f16_e32 v10, v21
	s_delay_alu instid0(VALU_DEP_2) | instskip(NEXT) | instid1(VALU_DEP_2)
	v_dual_mul_f32 v8, s21, v8 :: v_dual_subrev_f32 v1, s20, v1
	v_mul_f32_e32 v7, v13, v10
	s_delay_alu instid0(VALU_DEP_2) | instskip(NEXT) | instid1(VALU_DEP_2)
	v_pk_add_f32 v[2:3], v[2:3], v[8:9]
	v_dual_mul_f32 v10, s21, v12 :: v_dual_mul_f32 v1, v1, v7
	v_add_nc_u32_e32 v8, 3, v4
	s_delay_alu instid0(VALU_DEP_2) | instskip(NEXT) | instid1(VALU_DEP_3)
	v_pk_add_f32 v[2:3], v[2:3], v[10:11]
	v_mul_f32_e32 v6, s21, v1
	s_delay_alu instid0(VALU_DEP_3) | instskip(NEXT) | instid1(VALU_DEP_2)
	v_cmp_le_u32_e32 vcc_lo, s12, v8
	v_pk_add_f32 v[2:3], v[2:3], v[6:7]
	s_or_b32 s19, vcc_lo, s19
	s_delay_alu instid0(SALU_CYCLE_1)
	s_and_not1_b32 exec_lo, exec_lo, s19
	s_cbranch_execz .LBB71_11
.LBB71_3:                               ; =>This Inner Loop Header: Depth=1
	v_dual_mov_b32 v1, 1.0 :: v_dual_mov_b32 v12, 1.0
	v_lshl_add_u64 v[10:11], v[4:5], 1, s[14:15]
	s_and_b32 vcc_lo, exec_lo, s18
	s_cbranch_vccz .LBB71_5
; %bb.4:                                ;   in Loop: Header=BB71_3 Depth=1
	global_load_u16 v6, v[10:11], off
	s_wait_loadcnt 0x0
	v_cvt_f32_f16_e32 v12, v6
.LBB71_5:                               ;   in Loop: Header=BB71_3 Depth=1
	v_lshlrev_b64_e32 v[8:9], 1, v[4:5]
	s_and_not1_b32 vcc_lo, exec_lo, s18
	s_delay_alu instid0(VALU_DEP_1)
	v_add_nc_u64_e32 v[6:7], s[8:9], v[8:9]
	v_add_nc_u64_e32 v[8:9], s[10:11], v[8:9]
	global_load_u16 v14, v[6:7], off
	global_load_u16 v15, v[8:9], off
	s_cbranch_vccnz .LBB71_7
; %bb.6:                                ;   in Loop: Header=BB71_3 Depth=1
	global_load_u16 v1, v[10:11], off offset:2
	s_wait_loadcnt 0x0
	v_cvt_f32_f16_e32 v1, v1
.LBB71_7:                               ;   in Loop: Header=BB71_3 Depth=1
	global_load_u16 v17, v[6:7], off offset:2
	global_load_u16 v18, v[8:9], off offset:2
	v_dual_mov_b32 v13, 1.0 :: v_dual_mov_b32 v16, 1.0
	s_and_not1_b32 vcc_lo, exec_lo, s18
	s_cbranch_vccnz .LBB71_9
; %bb.8:                                ;   in Loop: Header=BB71_3 Depth=1
	global_load_u16 v16, v[10:11], off offset:4
	s_wait_loadcnt 0x0
	v_cvt_f32_f16_e32 v16, v16
.LBB71_9:                               ;   in Loop: Header=BB71_3 Depth=1
	global_load_u16 v19, v[6:7], off offset:4
	global_load_u16 v20, v[8:9], off offset:4
	s_and_not1_b32 vcc_lo, exec_lo, s18
	s_cbranch_vccnz .LBB71_2
; %bb.10:                               ;   in Loop: Header=BB71_3 Depth=1
	global_load_u16 v10, v[10:11], off offset:6
	s_wait_loadcnt 0x0
	v_cvt_f32_f16_e32 v13, v10
	s_branch .LBB71_2
.LBB71_11:
	s_or_b32 exec_lo, exec_lo, s19
.LBB71_12:
	s_delay_alu instid0(SALU_CYCLE_1) | instskip(NEXT) | instid1(SALU_CYCLE_1)
	s_or_b32 exec_lo, exec_lo, s13
	s_mov_b32 s13, exec_lo
	v_cmpx_gt_u32_e64 s12, v4
	s_cbranch_execz .LBB71_19
; %bb.13:
	v_mov_b32_e32 v5, 0
	s_cmp_lg_u64 s[14:15], 0
	s_delay_alu instid0(VALU_DEP_1) | instskip(NEXT) | instid1(VALU_DEP_1)
	v_lshlrev_b64_e32 v[6:7], 1, v[4:5]
	v_lshl_add_u64 v[10:11], s[2:3], 1, v[6:7]
	v_add_nc_u64_e32 v[6:7], s[14:15], v[6:7]
	s_cselect_b32 s2, -1, 0
	s_mov_b32 s3, 0
	s_delay_alu instid0(VALU_DEP_2)
	v_add_nc_u64_e32 v[8:9], s[6:7], v[10:11]
	v_add_nc_u64_e32 v[10:11], s[4:5], v[10:11]
	s_branch .LBB71_16
.LBB71_14:                              ;   in Loop: Header=BB71_16 Depth=1
	global_load_u16 v1, v[6:7], off
	s_wait_loadcnt 0x0
	v_cvt_f32_f16_e32 v1, v1
.LBB71_15:                              ;   in Loop: Header=BB71_16 Depth=1
	global_load_u16 v5, v[8:9], off
	global_load_u16 v12, v[10:11], off
	v_add_nc_u64_e32 v[6:7], 2, v[6:7]
	s_wait_xcnt 0x1
	v_add_nc_u64_e32 v[8:9], 2, v[8:9]
	s_wait_xcnt 0x0
	v_add_nc_u64_e32 v[10:11], 2, v[10:11]
	v_add_nc_u32_e32 v4, 1, v4
	s_delay_alu instid0(VALU_DEP_1)
	v_cmp_le_u32_e32 vcc_lo, s12, v4
	s_or_b32 s3, vcc_lo, s3
	s_wait_loadcnt 0x1
	v_cvt_f32_f16_e32 v5, v5
	s_wait_loadcnt 0x0
	v_cvt_f32_f16_e32 v12, v12
	s_wait_kmcnt 0x0
	s_delay_alu instid0(VALU_DEP_1) | instskip(NEXT) | instid1(VALU_DEP_1)
	v_dual_subrev_f32 v5, s20, v5 :: v_dual_mul_f32 v13, v1, v12
	v_mul_f32_e32 v1, v5, v13
	s_delay_alu instid0(VALU_DEP_1) | instskip(NEXT) | instid1(VALU_DEP_1)
	v_mul_f32_e32 v12, s21, v1
	v_pk_add_f32 v[2:3], v[2:3], v[12:13]
	s_and_not1_b32 exec_lo, exec_lo, s3
	s_cbranch_execz .LBB71_18
.LBB71_16:                              ; =>This Inner Loop Header: Depth=1
	s_and_not1_b32 vcc_lo, exec_lo, s2
	s_cbranch_vccz .LBB71_14
; %bb.17:                               ;   in Loop: Header=BB71_16 Depth=1
	v_mov_b32_e32 v1, 1.0
	s_branch .LBB71_15
.LBB71_18:
	s_or_b32 exec_lo, exec_lo, s3
.LBB71_19:
	s_delay_alu instid0(SALU_CYCLE_1) | instskip(SKIP_3) | instid1(VALU_DEP_1)
	s_or_b32 exec_lo, exec_lo, s13
	v_mbcnt_lo_u32_b32 v4, -1, 0
	s_barrier_signal -1
	s_barrier_wait -1
	v_lshl_or_b32 v1, v4, 2, 64
	v_cmp_gt_u32_e32 vcc_lo, 24, v4
	ds_bpermute_b32 v5, v1, v3
	v_cndmask_b32_e64 v6, 0, 8, vcc_lo
	v_cmp_gt_u32_e32 vcc_lo, 28, v4
	s_delay_alu instid0(VALU_DEP_2)
	v_add_lshl_u32 v6, v6, v4, 2
	s_wait_dscnt 0x0
	v_add_f32_e32 v5, v3, v5
	v_cndmask_b32_e64 v3, 0, 4, vcc_lo
	v_cmp_gt_u32_e32 vcc_lo, 30, v4
	ds_bpermute_b32 v7, v6, v5
	v_add_lshl_u32 v3, v3, v4, 2
	s_wait_dscnt 0x0
	v_add_f32_e32 v5, v5, v7
	v_cndmask_b32_e64 v7, 0, 2, vcc_lo
	v_cmp_ne_u32_e32 vcc_lo, 31, v4
	ds_bpermute_b32 v8, v3, v5
	v_add_lshl_u32 v7, v7, v4, 2
	v_add_co_ci_u32_e64 v9, null, 0, v4, vcc_lo
	s_wait_dscnt 0x0
	v_add_f32_e32 v5, v5, v8
	ds_bpermute_b32 v8, v7, v5
	s_wait_dscnt 0x0
	v_dual_add_f32 v4, v5, v8 :: v_dual_lshlrev_b32 v8, 2, v9
	v_dual_lshrrev_b32 v5, 3, v0 :: v_dual_bitop2_b32 v9, 31, v0 bitop3:0x40
	ds_bpermute_b32 v10, v8, v4
	v_cmp_eq_u32_e32 vcc_lo, 0, v9
	s_and_saveexec_b32 s2, vcc_lo
	s_cbranch_execz .LBB71_21
; %bb.20:
	s_wait_dscnt 0x0
	v_dual_add_f32 v4, v4, v10 :: v_dual_add_nc_u32 v11, 0, v5
	ds_store_b32 v11, v4
.LBB71_21:
	s_or_b32 exec_lo, exec_lo, s2
	s_wait_dscnt 0x0
	s_barrier_signal -1
	s_barrier_wait -1
	s_load_b32 s4, s[0:1], 0x44
	v_mov_b32_e32 v4, 0
	v_lshl_add_u32 v9, v9, 2, 0
	s_wait_kmcnt 0x0
	s_bfe_u32 s2, s4, 0xb0005
	s_delay_alu instid0(SALU_CYCLE_1)
	v_cmp_gt_u32_e64 s2, s2, v0
	s_and_saveexec_b32 s3, s2
; %bb.22:
	ds_load_b32 v4, v9
; %bb.23:
	s_or_b32 exec_lo, exec_lo, s3
	v_cmp_gt_u32_e64 s3, 32, v0
	s_and_saveexec_b32 s5, s3
	s_cbranch_execz .LBB71_25
; %bb.24:
	s_wait_dscnt 0x0
	ds_bpermute_b32 v10, v1, v4
	s_wait_dscnt 0x0
	v_add_f32_e32 v4, v4, v10
	ds_bpermute_b32 v10, v6, v4
	s_wait_dscnt 0x0
	v_add_f32_e32 v4, v4, v10
	;; [unrolled: 3-line block ×5, first 2 shown]
.LBB71_25:
	s_or_b32 exec_lo, exec_lo, s5
	ds_bpermute_b32 v10, v1, v2
	s_wait_dscnt 0x0
	s_barrier_signal -1
	s_barrier_wait -1
	v_add_f32_e32 v2, v2, v10
	ds_bpermute_b32 v10, v6, v2
	s_wait_dscnt 0x0
	v_add_f32_e32 v2, v2, v10
	ds_bpermute_b32 v10, v3, v2
	s_wait_dscnt 0x0
	;; [unrolled: 3-line block ×3, first 2 shown]
	v_add_f32_e32 v2, v2, v10
	ds_bpermute_b32 v10, v8, v2
	s_and_saveexec_b32 s5, vcc_lo
	s_cbranch_execz .LBB71_27
; %bb.26:
	s_wait_dscnt 0x0
	v_dual_add_f32 v2, v2, v10 :: v_dual_add_nc_u32 v5, 0, v5
	ds_store_b32 v5, v2
.LBB71_27:
	s_or_b32 exec_lo, exec_lo, s5
	v_mov_b32_e32 v5, 0
	s_wait_dscnt 0x0
	s_barrier_signal -1
	s_barrier_wait -1
	s_and_saveexec_b32 s5, s2
; %bb.28:
	ds_load_b32 v5, v9
; %bb.29:
	s_or_b32 exec_lo, exec_lo, s5
	s_and_saveexec_b32 s2, s3
	s_cbranch_execz .LBB71_31
; %bb.30:
	s_wait_dscnt 0x0
	ds_bpermute_b32 v1, v1, v5
	s_wait_dscnt 0x0
	v_add_f32_e32 v1, v5, v1
	ds_bpermute_b32 v2, v6, v1
	s_wait_dscnt 0x0
	v_add_f32_e32 v1, v1, v2
	;; [unrolled: 3-line block ×5, first 2 shown]
.LBB71_31:
	s_or_b32 exec_lo, exec_lo, s2
	s_delay_alu instid0(SALU_CYCLE_1)
	s_mov_b32 s2, exec_lo
	v_cmpx_eq_u32_e32 0, v0
	s_cbranch_execz .LBB71_33
; %bb.32:
	v_mov_b32_e32 v1, 0
	s_wait_dscnt 0x0
	ds_store_b64 v1, v[4:5]
.LBB71_33:
	s_or_b32 exec_lo, exec_lo, s2
	s_wait_dscnt 0x0
	s_barrier_signal -1
	s_barrier_wait -1
	s_mov_b32 s2, exec_lo
	v_cmpx_gt_i32_e64 s12, v0
	s_cbranch_execz .LBB71_39
; %bb.34:
	s_cvt_f32_i32 s2, s12
	s_load_b64 s[0:1], s[0:1], 0x28
	s_and_b32 s3, 0xffff, s4
	s_cmp_lg_u64 s[14:15], 0
	v_div_scale_f32 v1, null, s2, s2, 1.0
	v_div_scale_f32 v4, vcc_lo, 1.0, s2, 1.0
	s_cselect_b32 s4, -1, 0
	v_rcp_f32_e32 v2, v1
	v_nop
	v_xor_b32_e32 v1, 0x80000000, v1
	s_mov_b32 s5, 0
	s_delay_alu instid0(TRANS32_DEP_1) | instid1(VALU_DEP_1)
	v_fma_f32 v3, v1, v2, 1.0
	s_wait_kmcnt 0x0
	s_add_nc_u64 s[0:1], s[0:1], s[16:17]
	s_delay_alu instid0(VALU_DEP_1) | instskip(NEXT) | instid1(VALU_DEP_1)
	v_fmac_f32_e32 v2, v3, v2
	v_mul_f32_e32 v5, v4, v2
	s_delay_alu instid0(VALU_DEP_1) | instskip(NEXT) | instid1(VALU_DEP_1)
	v_fma_f32 v3, v1, v5, v4
	v_dual_fmac_f32 v5, v3, v2 :: v_dual_mov_b32 v3, 0
	ds_load_b32 v6, v3
	ds_load_b32 v3, v3 offset:4
	v_fmac_f32_e32 v4, v1, v5
	s_delay_alu instid0(VALU_DEP_1) | instskip(NEXT) | instid1(VALU_DEP_1)
	v_div_fmas_f32 v1, v4, v2, v5
	v_div_fixup_f32 v1, v1, s2, 1.0
	s_delay_alu instid0(VALU_DEP_1)
	v_mul_f32_e32 v7, s21, v1
	s_branch .LBB71_37
.LBB71_35:                              ;   in Loop: Header=BB71_37 Depth=1
	s_delay_alu instid0(VALU_DEP_1)
	v_lshl_add_u64 v[8:9], v[0:1], 1, s[14:15]
	global_load_u16 v4, v[8:9], off
	s_wait_loadcnt 0x0
	v_cvt_f32_f16_e32 v4, v4
.LBB71_36:                              ;   in Loop: Header=BB71_37 Depth=1
	s_wait_loadcnt 0x1
	s_wait_xcnt 0x0
	v_cvt_f32_f16_e32 v8, v5
	v_mov_b32_e32 v5, s21
	s_wait_loadcnt 0x0
	v_cvt_f32_f16_e32 v2, v2
	s_delay_alu instid0(VALU_DEP_3) | instskip(NEXT) | instid1(VALU_DEP_1)
	v_dual_subrev_f32 v9, s20, v8 :: v_dual_mov_b32 v8, s2
	v_pk_mul_f32 v[4:5], v[4:5], v[8:9]
	s_wait_dscnt 0x0
	s_delay_alu instid0(VALU_DEP_1) | instskip(NEXT) | instid1(VALU_DEP_1)
	v_pk_mul_f32 v[4:5], v[4:5], v[2:3]
	v_sub_f32_e32 v2, v4, v5
	v_lshl_add_u64 v[4:5], v[0:1], 1, s[0:1]
	s_delay_alu instid0(VALU_DEP_2) | instskip(NEXT) | instid1(VALU_DEP_1)
	v_dual_sub_f32 v1, v2, v6 :: v_dual_add_nc_u32 v0, s3, v0
	v_cmp_le_i32_e32 vcc_lo, s12, v0
	s_delay_alu instid0(VALU_DEP_2)
	v_fma_mixlo_f16 v1, v7, v1, 0
	s_or_b32 s5, vcc_lo, s5
	global_store_b16 v[4:5], v1, off
	s_wait_xcnt 0x0
	s_and_not1_b32 exec_lo, exec_lo, s5
	s_cbranch_execz .LBB71_39
.LBB71_37:                              ; =>This Inner Loop Header: Depth=1
	s_clause 0x1
	global_load_u16 v5, v0, s[8:9] scale_offset
	global_load_u16 v2, v0, s[10:11] scale_offset
	v_ashrrev_i32_e32 v1, 31, v0
	s_and_not1_b32 vcc_lo, exec_lo, s4
	s_cbranch_vccz .LBB71_35
; %bb.38:                               ;   in Loop: Header=BB71_37 Depth=1
	v_mov_b32_e32 v4, 1.0
	s_branch .LBB71_36
.LBB71_39:
	s_endpgm
	.section	.rodata,"a",@progbits
	.p2align	6, 0x0
	.amdhsa_kernel _ZN2at6native12_GLOBAL__N_128layer_norm_grad_input_kernelIN3c104HalfEfLb0EEEvPKT_S7_PKT0_SA_S7_PS5_i
		.amdhsa_group_segment_fixed_size 0
		.amdhsa_private_segment_fixed_size 0
		.amdhsa_kernarg_size 312
		.amdhsa_user_sgpr_count 2
		.amdhsa_user_sgpr_dispatch_ptr 0
		.amdhsa_user_sgpr_queue_ptr 0
		.amdhsa_user_sgpr_kernarg_segment_ptr 1
		.amdhsa_user_sgpr_dispatch_id 0
		.amdhsa_user_sgpr_kernarg_preload_length 0
		.amdhsa_user_sgpr_kernarg_preload_offset 0
		.amdhsa_user_sgpr_private_segment_size 0
		.amdhsa_wavefront_size32 1
		.amdhsa_uses_dynamic_stack 0
		.amdhsa_enable_private_segment 0
		.amdhsa_system_sgpr_workgroup_id_x 1
		.amdhsa_system_sgpr_workgroup_id_y 0
		.amdhsa_system_sgpr_workgroup_id_z 0
		.amdhsa_system_sgpr_workgroup_info 0
		.amdhsa_system_vgpr_workitem_id 0
		.amdhsa_next_free_vgpr 22
		.amdhsa_next_free_sgpr 23
		.amdhsa_named_barrier_count 0
		.amdhsa_reserve_vcc 1
		.amdhsa_float_round_mode_32 0
		.amdhsa_float_round_mode_16_64 0
		.amdhsa_float_denorm_mode_32 3
		.amdhsa_float_denorm_mode_16_64 3
		.amdhsa_fp16_overflow 0
		.amdhsa_memory_ordered 1
		.amdhsa_forward_progress 1
		.amdhsa_inst_pref_size 16
		.amdhsa_round_robin_scheduling 0
		.amdhsa_exception_fp_ieee_invalid_op 0
		.amdhsa_exception_fp_denorm_src 0
		.amdhsa_exception_fp_ieee_div_zero 0
		.amdhsa_exception_fp_ieee_overflow 0
		.amdhsa_exception_fp_ieee_underflow 0
		.amdhsa_exception_fp_ieee_inexact 0
		.amdhsa_exception_int_div_zero 0
	.end_amdhsa_kernel
	.section	.text._ZN2at6native12_GLOBAL__N_128layer_norm_grad_input_kernelIN3c104HalfEfLb0EEEvPKT_S7_PKT0_SA_S7_PS5_i,"axG",@progbits,_ZN2at6native12_GLOBAL__N_128layer_norm_grad_input_kernelIN3c104HalfEfLb0EEEvPKT_S7_PKT0_SA_S7_PS5_i,comdat
.Lfunc_end71:
	.size	_ZN2at6native12_GLOBAL__N_128layer_norm_grad_input_kernelIN3c104HalfEfLb0EEEvPKT_S7_PKT0_SA_S7_PS5_i, .Lfunc_end71-_ZN2at6native12_GLOBAL__N_128layer_norm_grad_input_kernelIN3c104HalfEfLb0EEEvPKT_S7_PKT0_SA_S7_PS5_i
                                        ; -- End function
	.set _ZN2at6native12_GLOBAL__N_128layer_norm_grad_input_kernelIN3c104HalfEfLb0EEEvPKT_S7_PKT0_SA_S7_PS5_i.num_vgpr, 22
	.set _ZN2at6native12_GLOBAL__N_128layer_norm_grad_input_kernelIN3c104HalfEfLb0EEEvPKT_S7_PKT0_SA_S7_PS5_i.num_agpr, 0
	.set _ZN2at6native12_GLOBAL__N_128layer_norm_grad_input_kernelIN3c104HalfEfLb0EEEvPKT_S7_PKT0_SA_S7_PS5_i.numbered_sgpr, 23
	.set _ZN2at6native12_GLOBAL__N_128layer_norm_grad_input_kernelIN3c104HalfEfLb0EEEvPKT_S7_PKT0_SA_S7_PS5_i.num_named_barrier, 0
	.set _ZN2at6native12_GLOBAL__N_128layer_norm_grad_input_kernelIN3c104HalfEfLb0EEEvPKT_S7_PKT0_SA_S7_PS5_i.private_seg_size, 0
	.set _ZN2at6native12_GLOBAL__N_128layer_norm_grad_input_kernelIN3c104HalfEfLb0EEEvPKT_S7_PKT0_SA_S7_PS5_i.uses_vcc, 1
	.set _ZN2at6native12_GLOBAL__N_128layer_norm_grad_input_kernelIN3c104HalfEfLb0EEEvPKT_S7_PKT0_SA_S7_PS5_i.uses_flat_scratch, 0
	.set _ZN2at6native12_GLOBAL__N_128layer_norm_grad_input_kernelIN3c104HalfEfLb0EEEvPKT_S7_PKT0_SA_S7_PS5_i.has_dyn_sized_stack, 0
	.set _ZN2at6native12_GLOBAL__N_128layer_norm_grad_input_kernelIN3c104HalfEfLb0EEEvPKT_S7_PKT0_SA_S7_PS5_i.has_recursion, 0
	.set _ZN2at6native12_GLOBAL__N_128layer_norm_grad_input_kernelIN3c104HalfEfLb0EEEvPKT_S7_PKT0_SA_S7_PS5_i.has_indirect_call, 0
	.section	.AMDGPU.csdata,"",@progbits
; Kernel info:
; codeLenInByte = 2020
; TotalNumSgprs: 25
; NumVgprs: 22
; ScratchSize: 0
; MemoryBound: 0
; FloatMode: 240
; IeeeMode: 1
; LDSByteSize: 0 bytes/workgroup (compile time only)
; SGPRBlocks: 0
; VGPRBlocks: 1
; NumSGPRsForWavesPerEU: 25
; NumVGPRsForWavesPerEU: 22
; NamedBarCnt: 0
; Occupancy: 16
; WaveLimiterHint : 0
; COMPUTE_PGM_RSRC2:SCRATCH_EN: 0
; COMPUTE_PGM_RSRC2:USER_SGPR: 2
; COMPUTE_PGM_RSRC2:TRAP_HANDLER: 0
; COMPUTE_PGM_RSRC2:TGID_X_EN: 1
; COMPUTE_PGM_RSRC2:TGID_Y_EN: 0
; COMPUTE_PGM_RSRC2:TGID_Z_EN: 0
; COMPUTE_PGM_RSRC2:TIDIG_COMP_CNT: 0
	.section	.text._ZN2at6native12_GLOBAL__N_133GammaBetaBackwardSimpleCUDAKernelIN3c104HalfEfLb0EEEvllPKT_S7_PKT0_SA_PS5_SB_,"axG",@progbits,_ZN2at6native12_GLOBAL__N_133GammaBetaBackwardSimpleCUDAKernelIN3c104HalfEfLb0EEEvllPKT_S7_PKT0_SA_PS5_SB_,comdat
	.globl	_ZN2at6native12_GLOBAL__N_133GammaBetaBackwardSimpleCUDAKernelIN3c104HalfEfLb0EEEvllPKT_S7_PKT0_SA_PS5_SB_ ; -- Begin function _ZN2at6native12_GLOBAL__N_133GammaBetaBackwardSimpleCUDAKernelIN3c104HalfEfLb0EEEvllPKT_S7_PKT0_SA_PS5_SB_
	.p2align	8
	.type	_ZN2at6native12_GLOBAL__N_133GammaBetaBackwardSimpleCUDAKernelIN3c104HalfEfLb0EEEvllPKT_S7_PKT0_SA_PS5_SB_,@function
_ZN2at6native12_GLOBAL__N_133GammaBetaBackwardSimpleCUDAKernelIN3c104HalfEfLb0EEEvllPKT_S7_PKT0_SA_PS5_SB_: ; @_ZN2at6native12_GLOBAL__N_133GammaBetaBackwardSimpleCUDAKernelIN3c104HalfEfLb0EEEvllPKT_S7_PKT0_SA_PS5_SB_
; %bb.0:
	s_load_b32 s2, s[0:1], 0x4c
	s_bfe_u32 s20, ttmp6, 0x4000c
	s_load_b512 s[4:19], s[0:1], 0x0
	s_add_co_i32 s20, s20, 1
	s_and_b32 s3, ttmp6, 15
	s_wait_xcnt 0x0
	s_mul_i32 s1, ttmp9, s20
	s_getreg_b32 s0, hwreg(HW_REG_IB_STS2, 6, 4)
	v_mov_b32_e32 v1, 0
	s_add_co_i32 s3, s3, s1
	s_wait_kmcnt 0x0
	s_and_b32 s2, s2, 0xffff
	s_cmp_eq_u32 s0, 0
	s_cselect_b32 s0, ttmp9, s3
	s_delay_alu instid0(SALU_CYCLE_1) | instskip(SKIP_1) | instid1(VALU_DEP_1)
	v_mad_nc_u64_u32 v[2:3], s2, s0, v[0:1]
	s_mov_b32 s0, exec_lo
	v_cmpx_gt_i64_e64 s[6:7], v[2:3]
	s_cbranch_execz .LBB72_14
; %bb.1:
	v_cmp_lt_i64_e64 s0, s[4:5], 1
	v_mov_b32_e32 v0, 0
	s_and_b32 vcc_lo, exec_lo, s0
	s_cbranch_vccnz .LBB72_10
; %bb.2:
	v_lshlrev_b64_e32 v[0:1], 1, v[2:3]
	s_cmp_lg_u64 s[16:17], 0
	v_dual_mov_b32 v6, 0 :: v_dual_mov_b32 v7, 0
	s_cselect_b32 s2, -1, 0
	s_cmp_lg_u64 s[18:19], 0
	s_cselect_b32 s3, -1, 0
	s_lshl_b64 s[0:1], s[6:7], 1
	s_branch .LBB72_5
.LBB72_3:                               ;   in Loop: Header=BB72_5 Depth=1
	global_load_u16 v4, v[4:5], off
	s_wait_loadcnt 0x0
	v_cvt_f32_f16_e32 v4, v4
.LBB72_4:                               ;   in Loop: Header=BB72_5 Depth=1
	v_add_nc_u64_e32 v[0:1], s[0:1], v[0:1]
	v_add_f32_e32 v6, v6, v8
	s_delay_alu instid0(VALU_DEP_3)
	v_add_f32_e32 v7, v7, v4
	s_add_nc_u64 s[4:5], s[4:5], -1
	s_add_nc_u64 s[14:15], s[14:15], 4
	s_cmp_eq_u64 s[4:5], 0
	s_add_nc_u64 s[12:13], s[12:13], 4
	s_cbranch_scc1 .LBB72_9
.LBB72_5:                               ; =>This Inner Loop Header: Depth=1
	v_add_nc_u64_e32 v[4:5], s[8:9], v[0:1]
	v_mov_b32_e32 v8, 0
	s_and_not1_b32 vcc_lo, exec_lo, s2
	s_cbranch_vccnz .LBB72_7
; %bb.6:                                ;   in Loop: Header=BB72_5 Depth=1
	v_add_nc_u64_e32 v[8:9], s[10:11], v[0:1]
	global_load_u16 v10, v[8:9], off
	global_load_u16 v11, v[4:5], off
	s_load_b32 s6, s[12:13], 0x0
	s_load_b32 s7, s[14:15], 0x0
	s_wait_loadcnt 0x1
	v_cvt_f32_f16_e32 v8, v10
	s_wait_loadcnt 0x0
	v_cvt_f32_f16_e32 v9, v11
	s_wait_kmcnt 0x0
	s_delay_alu instid0(VALU_DEP_2) | instskip(NEXT) | instid1(VALU_DEP_1)
	v_subrev_f32_e32 v8, s6, v8
	v_mul_f32_e32 v8, v8, v9
	s_delay_alu instid0(VALU_DEP_1)
	v_mul_f32_e32 v8, s7, v8
.LBB72_7:                               ;   in Loop: Header=BB72_5 Depth=1
	s_and_not1_b32 vcc_lo, exec_lo, s3
	s_cbranch_vccz .LBB72_3
; %bb.8:                                ;   in Loop: Header=BB72_5 Depth=1
	v_mov_b32_e32 v4, 0
	s_branch .LBB72_4
.LBB72_9:
	v_cvt_f16_f32_e32 v1, v6
	v_cvt_f16_f32_e32 v0, v7
.LBB72_10:
	s_cmp_lg_u64 s[16:17], 0
	s_cbranch_scc0 .LBB72_12
; %bb.11:
	v_lshl_add_u64 v[4:5], v[2:3], 1, s[16:17]
	global_store_b16 v[4:5], v1, off
.LBB72_12:
	s_cmp_eq_u64 s[18:19], 0
	s_cbranch_scc1 .LBB72_14
; %bb.13:
	v_lshl_add_u64 v[2:3], v[2:3], 1, s[18:19]
	global_store_b16 v[2:3], v0, off
.LBB72_14:
	s_endpgm
	.section	.rodata,"a",@progbits
	.p2align	6, 0x0
	.amdhsa_kernel _ZN2at6native12_GLOBAL__N_133GammaBetaBackwardSimpleCUDAKernelIN3c104HalfEfLb0EEEvllPKT_S7_PKT0_SA_PS5_SB_
		.amdhsa_group_segment_fixed_size 0
		.amdhsa_private_segment_fixed_size 0
		.amdhsa_kernarg_size 320
		.amdhsa_user_sgpr_count 2
		.amdhsa_user_sgpr_dispatch_ptr 0
		.amdhsa_user_sgpr_queue_ptr 0
		.amdhsa_user_sgpr_kernarg_segment_ptr 1
		.amdhsa_user_sgpr_dispatch_id 0
		.amdhsa_user_sgpr_kernarg_preload_length 0
		.amdhsa_user_sgpr_kernarg_preload_offset 0
		.amdhsa_user_sgpr_private_segment_size 0
		.amdhsa_wavefront_size32 1
		.amdhsa_uses_dynamic_stack 0
		.amdhsa_enable_private_segment 0
		.amdhsa_system_sgpr_workgroup_id_x 1
		.amdhsa_system_sgpr_workgroup_id_y 0
		.amdhsa_system_sgpr_workgroup_id_z 0
		.amdhsa_system_sgpr_workgroup_info 0
		.amdhsa_system_vgpr_workitem_id 0
		.amdhsa_next_free_vgpr 12
		.amdhsa_next_free_sgpr 21
		.amdhsa_named_barrier_count 0
		.amdhsa_reserve_vcc 1
		.amdhsa_float_round_mode_32 0
		.amdhsa_float_round_mode_16_64 0
		.amdhsa_float_denorm_mode_32 3
		.amdhsa_float_denorm_mode_16_64 3
		.amdhsa_fp16_overflow 0
		.amdhsa_memory_ordered 1
		.amdhsa_forward_progress 1
		.amdhsa_inst_pref_size 4
		.amdhsa_round_robin_scheduling 0
		.amdhsa_exception_fp_ieee_invalid_op 0
		.amdhsa_exception_fp_denorm_src 0
		.amdhsa_exception_fp_ieee_div_zero 0
		.amdhsa_exception_fp_ieee_overflow 0
		.amdhsa_exception_fp_ieee_underflow 0
		.amdhsa_exception_fp_ieee_inexact 0
		.amdhsa_exception_int_div_zero 0
	.end_amdhsa_kernel
	.section	.text._ZN2at6native12_GLOBAL__N_133GammaBetaBackwardSimpleCUDAKernelIN3c104HalfEfLb0EEEvllPKT_S7_PKT0_SA_PS5_SB_,"axG",@progbits,_ZN2at6native12_GLOBAL__N_133GammaBetaBackwardSimpleCUDAKernelIN3c104HalfEfLb0EEEvllPKT_S7_PKT0_SA_PS5_SB_,comdat
.Lfunc_end72:
	.size	_ZN2at6native12_GLOBAL__N_133GammaBetaBackwardSimpleCUDAKernelIN3c104HalfEfLb0EEEvllPKT_S7_PKT0_SA_PS5_SB_, .Lfunc_end72-_ZN2at6native12_GLOBAL__N_133GammaBetaBackwardSimpleCUDAKernelIN3c104HalfEfLb0EEEvllPKT_S7_PKT0_SA_PS5_SB_
                                        ; -- End function
	.set _ZN2at6native12_GLOBAL__N_133GammaBetaBackwardSimpleCUDAKernelIN3c104HalfEfLb0EEEvllPKT_S7_PKT0_SA_PS5_SB_.num_vgpr, 12
	.set _ZN2at6native12_GLOBAL__N_133GammaBetaBackwardSimpleCUDAKernelIN3c104HalfEfLb0EEEvllPKT_S7_PKT0_SA_PS5_SB_.num_agpr, 0
	.set _ZN2at6native12_GLOBAL__N_133GammaBetaBackwardSimpleCUDAKernelIN3c104HalfEfLb0EEEvllPKT_S7_PKT0_SA_PS5_SB_.numbered_sgpr, 21
	.set _ZN2at6native12_GLOBAL__N_133GammaBetaBackwardSimpleCUDAKernelIN3c104HalfEfLb0EEEvllPKT_S7_PKT0_SA_PS5_SB_.num_named_barrier, 0
	.set _ZN2at6native12_GLOBAL__N_133GammaBetaBackwardSimpleCUDAKernelIN3c104HalfEfLb0EEEvllPKT_S7_PKT0_SA_PS5_SB_.private_seg_size, 0
	.set _ZN2at6native12_GLOBAL__N_133GammaBetaBackwardSimpleCUDAKernelIN3c104HalfEfLb0EEEvllPKT_S7_PKT0_SA_PS5_SB_.uses_vcc, 1
	.set _ZN2at6native12_GLOBAL__N_133GammaBetaBackwardSimpleCUDAKernelIN3c104HalfEfLb0EEEvllPKT_S7_PKT0_SA_PS5_SB_.uses_flat_scratch, 0
	.set _ZN2at6native12_GLOBAL__N_133GammaBetaBackwardSimpleCUDAKernelIN3c104HalfEfLb0EEEvllPKT_S7_PKT0_SA_PS5_SB_.has_dyn_sized_stack, 0
	.set _ZN2at6native12_GLOBAL__N_133GammaBetaBackwardSimpleCUDAKernelIN3c104HalfEfLb0EEEvllPKT_S7_PKT0_SA_PS5_SB_.has_recursion, 0
	.set _ZN2at6native12_GLOBAL__N_133GammaBetaBackwardSimpleCUDAKernelIN3c104HalfEfLb0EEEvllPKT_S7_PKT0_SA_PS5_SB_.has_indirect_call, 0
	.section	.AMDGPU.csdata,"",@progbits
; Kernel info:
; codeLenInByte = 396
; TotalNumSgprs: 23
; NumVgprs: 12
; ScratchSize: 0
; MemoryBound: 0
; FloatMode: 240
; IeeeMode: 1
; LDSByteSize: 0 bytes/workgroup (compile time only)
; SGPRBlocks: 0
; VGPRBlocks: 0
; NumSGPRsForWavesPerEU: 23
; NumVGPRsForWavesPerEU: 12
; NamedBarCnt: 0
; Occupancy: 16
; WaveLimiterHint : 0
; COMPUTE_PGM_RSRC2:SCRATCH_EN: 0
; COMPUTE_PGM_RSRC2:USER_SGPR: 2
; COMPUTE_PGM_RSRC2:TRAP_HANDLER: 0
; COMPUTE_PGM_RSRC2:TGID_X_EN: 1
; COMPUTE_PGM_RSRC2:TGID_Y_EN: 0
; COMPUTE_PGM_RSRC2:TGID_Z_EN: 0
; COMPUTE_PGM_RSRC2:TIDIG_COMP_CNT: 0
	.section	.text._ZN2at6native12_GLOBAL__N_135GammaBetaBackwardCUDAKernelTemplateIN3c104HalfEfLj64ELj1ELj32ELb1ELb1ELb0EEEvllPKT_S7_PKT0_SA_PS5_SB_,"axG",@progbits,_ZN2at6native12_GLOBAL__N_135GammaBetaBackwardCUDAKernelTemplateIN3c104HalfEfLj64ELj1ELj32ELb1ELb1ELb0EEEvllPKT_S7_PKT0_SA_PS5_SB_,comdat
	.globl	_ZN2at6native12_GLOBAL__N_135GammaBetaBackwardCUDAKernelTemplateIN3c104HalfEfLj64ELj1ELj32ELb1ELb1ELb0EEEvllPKT_S7_PKT0_SA_PS5_SB_ ; -- Begin function _ZN2at6native12_GLOBAL__N_135GammaBetaBackwardCUDAKernelTemplateIN3c104HalfEfLj64ELj1ELj32ELb1ELb1ELb0EEEvllPKT_S7_PKT0_SA_PS5_SB_
	.p2align	8
	.type	_ZN2at6native12_GLOBAL__N_135GammaBetaBackwardCUDAKernelTemplateIN3c104HalfEfLj64ELj1ELj32ELb1ELb1ELb0EEEvllPKT_S7_PKT0_SA_PS5_SB_,@function
_ZN2at6native12_GLOBAL__N_135GammaBetaBackwardCUDAKernelTemplateIN3c104HalfEfLj64ELj1ELj32ELb1ELb1ELb0EEEvllPKT_S7_PKT0_SA_PS5_SB_: ; @_ZN2at6native12_GLOBAL__N_135GammaBetaBackwardCUDAKernelTemplateIN3c104HalfEfLj64ELj1ELj32ELb1ELb1ELb0EEEvllPKT_S7_PKT0_SA_PS5_SB_
; %bb.0:
	s_load_b128 s[12:15], s[0:1], 0x0
	s_bfe_u32 s3, ttmp6, 0x4000c
	s_bfe_u32 s4, ttmp6, 0x40010
	s_add_co_i32 s3, s3, 1
	s_add_co_i32 s4, s4, 1
	s_and_b32 s2, ttmp6, 15
	s_bfe_u32 s5, ttmp6, 0x40004
	s_mul_i32 s3, ttmp9, s3
	s_mul_i32 s4, ttmp7, s4
	s_getreg_b32 s6, hwreg(HW_REG_IB_STS2, 6, 4)
	s_add_co_i32 s2, s2, s3
	s_add_co_i32 s5, s5, s4
	s_cmp_eq_u32 s6, 0
	s_mov_b32 s3, 0
	s_cselect_b32 s17, ttmp7, s5
	s_cselect_b32 s16, ttmp9, s2
	s_lshl_b32 s2, s17, 5
	v_bfe_u32 v1, v0, 10, 10
	s_add_nc_u64 s[18:19], s[0:1], 64
	s_wait_kmcnt 0x0
	v_cmp_gt_i64_e64 s4, s[12:13], s[2:3]
	s_and_b32 vcc_lo, exec_lo, s4
	s_cbranch_vccnz .LBB73_2
; %bb.1:
	v_bfe_u32 v2, v0, 10, 10
	s_add_nc_u64 s[4:5], s[0:1], 64
	s_mov_b32 s6, s3
	s_branch .LBB73_3
.LBB73_2:
	s_mov_b32 s6, -1
                                        ; implicit-def: $sgpr4_sgpr5
                                        ; implicit-def: $vgpr2
.LBB73_3:
	v_and_b32_e32 v0, 0x3ff, v0
	v_mov_b32_e32 v4, 0
	s_and_not1_b32 vcc_lo, exec_lo, s6
	s_mov_b32 s21, 0
	s_cbranch_vccnz .LBB73_9
; %bb.4:
	v_dual_mov_b32 v3, 0 :: v_dual_lshlrev_b32 v2, 5, v1
	s_clause 0x2
	s_load_b32 s20, s[0:1], 0x4c
	s_load_b32 s22, s[0:1], 0x44
	s_load_b256 s[4:11], s[0:1], 0x10
	v_lshl_add_u32 v4, s16, 6, v0
	v_dual_mov_b32 v25, 60 :: v_dual_mov_b32 v11, v3
	v_add_nc_u64_e32 v[6:7], s[2:3], v[2:3]
	v_dual_mov_b32 v12, 4 :: v_dual_mov_b32 v13, 8
	v_dual_mov_b32 v2, 12 :: v_dual_mov_b32 v14, 16
	;; [unrolled: 1-line block ×3, first 2 shown]
	s_delay_alu instid0(VALU_DEP_4)
	v_mul_u64_e32 v[8:9], s[14:15], v[6:7]
	v_dual_mov_b32 v17, 28 :: v_dual_mov_b32 v18, 32
	v_dual_mov_b32 v19, 36 :: v_dual_mov_b32 v20, 40
	;; [unrolled: 1-line block ×3, first 2 shown]
	s_wait_kmcnt 0x0
	s_and_b32 s20, s20, 0xffff
	v_dual_mov_b32 v23, 52 :: v_dual_mov_b32 v24, 56
	v_mad_u32_u24 v10, v1, s20, v0
	v_mov_b32_e32 v5, v3
	s_lshl_b32 s20, s22, 5
	v_dual_mov_b32 v26, 64 :: v_dual_mov_b32 v27, 0x44
	s_delay_alu instid0(VALU_DEP_3) | instskip(NEXT) | instid1(VALU_DEP_3)
	v_and_b32_e32 v10, 31, v10
	v_lshlrev_b64_e32 v[42:43], 1, v[4:5]
	v_mov_b32_e32 v28, 0x48
	v_mov_b32_e32 v29, 0x4c
	;; [unrolled: 1-line block ×3, first 2 shown]
	v_add_nc_u64_e32 v[4:5], v[6:7], v[10:11]
	v_mov_b32_e32 v31, 0x54
	v_mov_b32_e32 v32, 0x58
	;; [unrolled: 1-line block ×11, first 2 shown]
	v_lshl_add_u64 v[6:7], v[8:9], 1, v[42:43]
	v_lshlrev_b64_e32 v[8:9], 2, v[4:5]
	v_mov_b32_e32 v10, 0
	s_mul_u64 s[22:23], s[14:15], s[20:21]
	s_lshl_b64 s[24:25], s[20:21], 2
	s_lshl_b64 s[22:23], s[22:23], 1
	;; [unrolled: 1-line block ×3, first 2 shown]
	s_branch .LBB73_6
.LBB73_5:                               ;   in Loop: Header=BB73_6 Depth=1
	s_wait_xcnt 0x0
	s_or_b32 exec_lo, exec_lo, s28
	v_add_nc_u64_e32 v[44:45], s[6:7], v[6:7]
	v_add_nc_u64_e32 v[46:47], s[4:5], v[6:7]
	s_wait_loadcnt 0x1
	ds_bpermute_b32 v58, v3, v43
	s_wait_loadcnt 0x0
	ds_bpermute_b32 v59, v3, v42
	s_add_nc_u64 s[2:3], s[2:3], s[20:21]
	v_add_nc_u64_e32 v[6:7], s[22:23], v[6:7]
	v_cmp_lt_i64_e64 s28, s[2:3], s[12:13]
	global_load_u16 v48, v[44:45], off
	global_load_u16 v49, v[46:47], off
	s_wait_xcnt 0x1
	v_add_nc_u64_e32 v[44:45], s[26:27], v[44:45]
	s_wait_xcnt 0x0
	v_add_nc_u64_e32 v[46:47], s[26:27], v[46:47]
	v_add_nc_u64_e32 v[8:9], s[24:25], v[8:9]
	v_add_nc_u64_e32 v[4:5], s[20:21], v[4:5]
	global_load_u16 v50, v[44:45], off
	global_load_u16 v51, v[46:47], off
	s_wait_xcnt 0x1
	v_add_nc_u64_e32 v[44:45], s[26:27], v[44:45]
	s_wait_xcnt 0x0
	v_add_nc_u64_e32 v[46:47], s[26:27], v[46:47]
	s_and_b32 vcc_lo, exec_lo, s28
	global_load_u16 v52, v[44:45], off
	global_load_u16 v53, v[46:47], off
	s_wait_xcnt 0x1
	v_add_nc_u64_e32 v[44:45], s[26:27], v[44:45]
	s_wait_xcnt 0x0
	v_add_nc_u64_e32 v[46:47], s[26:27], v[46:47]
	global_load_u16 v54, v[44:45], off
	global_load_u16 v55, v[46:47], off
	s_wait_xcnt 0x1
	v_add_nc_u64_e32 v[44:45], s[26:27], v[44:45]
	s_wait_xcnt 0x0
	v_add_nc_u64_e32 v[46:47], s[26:27], v[46:47]
	global_load_u16 v56, v[44:45], off
	global_load_u16 v57, v[46:47], off
	s_wait_xcnt 0x1
	v_add_nc_u64_e32 v[44:45], s[26:27], v[44:45]
	s_wait_xcnt 0x0
	v_add_nc_u64_e32 v[46:47], s[26:27], v[46:47]
	global_load_u16 v61, v[46:47], off
	s_wait_xcnt 0x0
	v_add_nc_u64_e32 v[46:47], s[26:27], v[46:47]
	s_wait_loadcnt 0xa
	v_cvt_f32_f16_e32 v60, v48
	s_wait_loadcnt 0x9
	v_cvt_f32_f16_e32 v48, v49
	s_wait_dscnt 0x1
	s_delay_alu instid0(VALU_DEP_2)
	v_sub_f32_e32 v49, v60, v58
	ds_bpermute_b32 v58, v12, v43
	global_load_u16 v60, v[44:45], off
	s_wait_xcnt 0x0
	v_add_nc_u64_e32 v[44:45], s[26:27], v[44:45]
	s_wait_loadcnt 0x5
	v_cvt_f32_f16_e32 v54, v54
	v_mul_f32_e32 v49, v49, v48
	s_wait_loadcnt 0x3
	v_cvt_f32_f16_e32 v56, v56
	s_wait_dscnt 0x1
	s_delay_alu instid0(VALU_DEP_2)
	v_mul_f32_e32 v49, v49, v59
	ds_bpermute_b32 v59, v12, v42
	v_pk_add_f32 v[10:11], v[10:11], v[48:49]
	v_cvt_f32_f16_e32 v49, v50
	v_cvt_f32_f16_e32 v48, v51
	ds_bpermute_b32 v50, v13, v43
	global_load_u16 v51, v[44:45], off
	s_wait_xcnt 0x0
	v_add_nc_u64_e32 v[44:45], s[26:27], v[44:45]
	s_wait_dscnt 0x2
	v_sub_f32_e32 v49, v49, v58
	ds_bpermute_b32 v58, v13, v42
	v_mul_f32_e32 v49, v49, v48
	s_wait_dscnt 0x2
	s_delay_alu instid0(VALU_DEP_1)
	v_mul_f32_e32 v49, v49, v59
	global_load_u16 v59, v[46:47], off
	s_wait_xcnt 0x0
	v_add_nc_u64_e32 v[46:47], s[26:27], v[46:47]
	v_pk_add_f32 v[10:11], v[10:11], v[48:49]
	v_cvt_f32_f16_e32 v49, v52
	v_cvt_f32_f16_e32 v48, v53
	global_load_u16 v52, v[44:45], off
	global_load_u16 v53, v[46:47], off
	s_wait_xcnt 0x1
	v_add_nc_u64_e32 v[44:45], s[26:27], v[44:45]
	s_wait_xcnt 0x0
	v_add_nc_u64_e32 v[46:47], s[26:27], v[46:47]
	s_wait_dscnt 0x1
	v_sub_f32_e32 v49, v49, v50
	ds_bpermute_b32 v50, v2, v43
	v_mul_f32_e32 v49, v49, v48
	s_wait_dscnt 0x1
	s_delay_alu instid0(VALU_DEP_1) | instskip(NEXT) | instid1(VALU_DEP_1)
	v_mul_f32_e32 v49, v49, v58
	v_pk_add_f32 v[10:11], v[10:11], v[48:49]
	ds_bpermute_b32 v49, v2, v42
	v_cvt_f32_f16_e32 v48, v55
	global_load_u16 v55, v[46:47], off
	s_wait_xcnt 0x0
	v_add_nc_u64_e32 v[46:47], s[26:27], v[46:47]
	s_wait_dscnt 0x1
	v_sub_f32_e32 v50, v54, v50
	global_load_u16 v54, v[44:45], off
	s_wait_xcnt 0x0
	v_add_nc_u64_e32 v[44:45], s[26:27], v[44:45]
	v_mul_f32_e32 v50, v50, v48
	s_wait_dscnt 0x0
	s_delay_alu instid0(VALU_DEP_1)
	v_mul_f32_e32 v49, v50, v49
	ds_bpermute_b32 v50, v14, v43
	v_pk_add_f32 v[10:11], v[10:11], v[48:49]
	ds_bpermute_b32 v49, v14, v42
	s_wait_loadcnt 0x8
	v_cvt_f32_f16_e32 v48, v57
	ds_bpermute_b32 v57, v15, v43
	s_wait_dscnt 0x2
	v_sub_f32_e32 v50, v56, v50
	global_load_u16 v56, v[44:45], off
	s_wait_xcnt 0x0
	v_add_nc_u64_e32 v[44:45], s[26:27], v[44:45]
	v_mul_f32_e32 v50, v50, v48
	s_wait_dscnt 0x1
	s_delay_alu instid0(VALU_DEP_1)
	v_mul_f32_e32 v49, v50, v49
	global_load_u16 v50, v[46:47], off
	s_wait_xcnt 0x0
	v_add_nc_u64_e32 v[46:47], s[26:27], v[46:47]
	v_pk_add_f32 v[10:11], v[10:11], v[48:49]
	ds_bpermute_b32 v49, v15, v42
	s_wait_loadcnt 0x9
	v_cvt_f32_f16_e32 v48, v61
	global_load_u16 v61, v[46:47], off
	s_wait_xcnt 0x0
	v_add_nc_u64_e32 v[46:47], s[26:27], v[46:47]
	s_wait_loadcnt 0x9
	v_cvt_f32_f16_e32 v58, v60
	global_load_u16 v60, v[44:45], off
	s_wait_xcnt 0x0
	v_add_nc_u64_e32 v[44:45], s[26:27], v[44:45]
	s_wait_dscnt 0x1
	v_sub_f32_e32 v57, v58, v57
	ds_bpermute_b32 v58, v16, v43
	v_mul_f32_e32 v57, v57, v48
	s_wait_dscnt 0x1
	s_delay_alu instid0(VALU_DEP_1)
	v_mul_f32_e32 v49, v57, v49
	ds_bpermute_b32 v57, v16, v42
	v_pk_add_f32 v[10:11], v[10:11], v[48:49]
	s_wait_loadcnt 0x9
	v_cvt_f32_f16_e32 v49, v51
	ds_bpermute_b32 v51, v17, v43
	s_wait_dscnt 0x2
	v_sub_f32_e32 v49, v49, v58
	ds_bpermute_b32 v58, v17, v42
	s_wait_loadcnt 0x8
	v_cvt_f32_f16_e32 v48, v59
	global_load_u16 v59, v[46:47], off
	s_wait_xcnt 0x0
	v_add_nc_u64_e32 v[46:47], s[26:27], v[46:47]
	v_mul_f32_e32 v49, v49, v48
	s_wait_dscnt 0x2
	s_delay_alu instid0(VALU_DEP_1)
	v_mul_f32_e32 v49, v49, v57
	global_load_u16 v57, v[44:45], off
	s_wait_xcnt 0x0
	v_add_nc_u64_e32 v[44:45], s[26:27], v[44:45]
	v_pk_add_f32 v[10:11], v[10:11], v[48:49]
	s_wait_loadcnt 0x9
	v_cvt_f32_f16_e32 v49, v52
	s_wait_loadcnt 0x8
	v_cvt_f32_f16_e32 v48, v53
	ds_bpermute_b32 v53, v18, v42
	global_load_u16 v52, v[44:45], off
	s_wait_xcnt 0x0
	v_add_nc_u64_e32 v[44:45], s[26:27], v[44:45]
	s_wait_dscnt 0x2
	v_sub_f32_e32 v49, v49, v51
	ds_bpermute_b32 v51, v18, v43
	v_mul_f32_e32 v49, v49, v48
	s_wait_dscnt 0x2
	s_delay_alu instid0(VALU_DEP_1)
	v_mul_f32_e32 v49, v49, v58
	global_load_u16 v58, v[46:47], off
	s_wait_xcnt 0x0
	v_add_nc_u64_e32 v[46:47], s[26:27], v[46:47]
	v_pk_add_f32 v[10:11], v[10:11], v[48:49]
	s_wait_loadcnt 0x8
	v_cvt_f32_f16_e32 v49, v54
	v_cvt_f32_f16_e32 v48, v55
	s_wait_dscnt 0x0
	s_delay_alu instid0(VALU_DEP_2) | instskip(SKIP_2) | instid1(VALU_DEP_1)
	v_sub_f32_e32 v49, v49, v51
	ds_bpermute_b32 v51, v19, v43
	v_mul_f32_e32 v49, v49, v48
	v_mul_f32_e32 v49, v49, v53
	global_load_u16 v53, v[44:45], off
	global_load_u16 v54, v[46:47], off
	s_wait_xcnt 0x1
	v_add_nc_u64_e32 v[44:45], s[26:27], v[44:45]
	s_wait_xcnt 0x0
	v_add_nc_u64_e32 v[46:47], s[26:27], v[46:47]
	v_pk_add_f32 v[10:11], v[10:11], v[48:49]
	ds_bpermute_b32 v49, v19, v42
	s_wait_loadcnt 0x9
	v_cvt_f32_f16_e32 v55, v56
	s_wait_loadcnt 0x8
	v_cvt_f32_f16_e32 v48, v50
	s_wait_dscnt 0x1
	s_delay_alu instid0(VALU_DEP_2)
	v_sub_f32_e32 v50, v55, v51
	global_load_u16 v51, v[44:45], off
	ds_bpermute_b32 v55, v20, v43
	s_wait_xcnt 0x0
	v_add_nc_u64_e32 v[44:45], s[26:27], v[44:45]
	v_mul_f32_e32 v50, v50, v48
	s_wait_dscnt 0x1
	s_delay_alu instid0(VALU_DEP_1)
	v_mul_f32_e32 v49, v50, v49
	global_load_u16 v50, v[46:47], off
	s_wait_xcnt 0x0
	v_add_nc_u64_e32 v[46:47], s[26:27], v[46:47]
	v_pk_add_f32 v[10:11], v[10:11], v[48:49]
	ds_bpermute_b32 v49, v20, v42
	s_wait_loadcnt 0x9
	v_cvt_f32_f16_e32 v48, v61
	global_load_u16 v61, v[46:47], off
	s_wait_xcnt 0x0
	v_add_nc_u64_e32 v[46:47], s[26:27], v[46:47]
	s_wait_loadcnt 0x9
	v_cvt_f32_f16_e32 v56, v60
	global_load_u16 v60, v[44:45], off
	s_wait_xcnt 0x0
	v_add_nc_u64_e32 v[44:45], s[26:27], v[44:45]
	s_wait_dscnt 0x1
	v_sub_f32_e32 v55, v56, v55
	ds_bpermute_b32 v56, v21, v43
	v_mul_f32_e32 v55, v55, v48
	s_wait_dscnt 0x1
	s_delay_alu instid0(VALU_DEP_1)
	v_mul_f32_e32 v49, v55, v49
	ds_bpermute_b32 v55, v21, v42
	v_pk_add_f32 v[10:11], v[10:11], v[48:49]
	s_wait_loadcnt 0x9
	v_cvt_f32_f16_e32 v48, v59
	global_load_u16 v59, v[46:47], off
	s_wait_xcnt 0x0
	v_add_nc_u64_e32 v[46:47], s[26:27], v[46:47]
	s_wait_loadcnt 0x9
	v_cvt_f32_f16_e32 v57, v57
	s_wait_dscnt 0x1
	s_delay_alu instid0(VALU_DEP_1)
	v_sub_f32_e32 v49, v57, v56
	ds_bpermute_b32 v56, v22, v43
	global_load_u16 v57, v[44:45], off
	s_wait_xcnt 0x0
	v_add_nc_u64_e32 v[44:45], s[26:27], v[44:45]
	v_mul_f32_e32 v49, v49, v48
	s_wait_dscnt 0x1
	s_delay_alu instid0(VALU_DEP_1)
	v_mul_f32_e32 v49, v49, v55
	ds_bpermute_b32 v55, v22, v42
	v_pk_add_f32 v[10:11], v[10:11], v[48:49]
	s_wait_loadcnt 0x9
	v_cvt_f32_f16_e32 v49, v52
	s_wait_loadcnt 0x8
	v_cvt_f32_f16_e32 v48, v58
	ds_bpermute_b32 v52, v23, v43
	global_load_u16 v58, v[46:47], off
	s_wait_xcnt 0x0
	v_add_nc_u64_e32 v[46:47], s[26:27], v[46:47]
	s_wait_dscnt 0x2
	v_sub_f32_e32 v49, v49, v56
	global_load_u16 v56, v[44:45], off
	s_wait_xcnt 0x0
	v_add_nc_u64_e32 v[44:45], s[26:27], v[44:45]
	v_mul_f32_e32 v49, v49, v48
	s_wait_dscnt 0x1
	s_delay_alu instid0(VALU_DEP_1)
	v_mul_f32_e32 v49, v49, v55
	ds_bpermute_b32 v55, v23, v42
	v_pk_add_f32 v[10:11], v[10:11], v[48:49]
	s_wait_loadcnt 0x9
	v_cvt_f32_f16_e32 v49, v53
	s_wait_loadcnt 0x8
	v_cvt_f32_f16_e32 v48, v54
	global_load_u16 v53, v[44:45], off
	global_load_u16 v54, v[46:47], off
	s_wait_xcnt 0x1
	v_add_nc_u64_e32 v[44:45], s[26:27], v[44:45]
	s_wait_xcnt 0x0
	v_add_nc_u64_e32 v[46:47], s[26:27], v[46:47]
	s_wait_dscnt 0x1
	v_sub_f32_e32 v49, v49, v52
	ds_bpermute_b32 v52, v24, v43
	v_mul_f32_e32 v49, v49, v48
	s_wait_dscnt 0x1
	s_delay_alu instid0(VALU_DEP_1)
	v_mul_f32_e32 v49, v49, v55
	global_load_u16 v55, v[46:47], off
	s_wait_xcnt 0x0
	v_add_nc_u64_e32 v[46:47], s[26:27], v[46:47]
	v_pk_add_f32 v[10:11], v[10:11], v[48:49]
	ds_bpermute_b32 v49, v24, v42
	s_wait_loadcnt 0xa
	v_cvt_f32_f16_e32 v51, v51
	s_wait_loadcnt 0x9
	v_cvt_f32_f16_e32 v48, v50
	s_wait_dscnt 0x1
	s_delay_alu instid0(VALU_DEP_2)
	v_sub_f32_e32 v50, v51, v52
	global_load_u16 v52, v[44:45], off
	s_wait_xcnt 0x0
	v_add_nc_u64_e32 v[44:45], s[26:27], v[44:45]
	v_mul_f32_e32 v50, v50, v48
	s_wait_dscnt 0x0
	s_delay_alu instid0(VALU_DEP_1)
	v_mul_f32_e32 v49, v50, v49
	ds_bpermute_b32 v50, v25, v43
	v_pk_add_f32 v[10:11], v[10:11], v[48:49]
	ds_bpermute_b32 v49, v25, v42
	s_wait_loadcnt 0x9
	v_cvt_f32_f16_e32 v48, v61
	s_wait_loadcnt 0x8
	v_cvt_f32_f16_e32 v51, v60
	ds_bpermute_b32 v60, v26, v42
	s_wait_dscnt 0x2
	v_sub_f32_e32 v50, v51, v50
	ds_bpermute_b32 v51, v26, v43
	v_mul_f32_e32 v50, v50, v48
	s_wait_dscnt 0x2
	s_delay_alu instid0(VALU_DEP_1) | instskip(NEXT) | instid1(VALU_DEP_1)
	v_mul_f32_e32 v49, v50, v49
	v_pk_add_f32 v[10:11], v[10:11], v[48:49]
	ds_bpermute_b32 v49, v27, v42
	s_wait_loadcnt 0x7
	v_cvt_f32_f16_e32 v50, v59
	global_load_u16 v59, v[44:45], off
	s_wait_xcnt 0x0
	v_add_nc_u64_e32 v[44:45], s[26:27], v[44:45]
	s_wait_loadcnt 0x7
	v_cvt_f32_f16_e32 v57, v57
	s_wait_dscnt 0x1
	s_delay_alu instid0(VALU_DEP_1) | instskip(SKIP_2) | instid1(VALU_DEP_1)
	v_sub_f32_e32 v51, v57, v51
	ds_bpermute_b32 v57, v27, v43
	v_mul_f32_e32 v48, v51, v50
	v_mul_f32_e32 v51, v48, v60
	global_load_u16 v60, v[46:47], off
	s_wait_xcnt 0x0
	v_add_nc_u64_e32 v[46:47], s[26:27], v[46:47]
	s_wait_loadcnt 0x7
	v_cvt_f32_f16_e32 v48, v58
	global_load_u16 v58, v[44:45], off
	s_wait_loadcnt 0x7
	v_cvt_f32_f16_e32 v56, v56
	v_pk_add_f32 v[10:11], v[10:11], v[50:51]
	ds_bpermute_b32 v51, v28, v42
	s_wait_xcnt 0x0
	v_add_nc_u64_e32 v[44:45], s[26:27], v[44:45]
	s_wait_dscnt 0x1
	v_sub_f32_e32 v56, v56, v57
	ds_bpermute_b32 v57, v28, v43
	v_mul_f32_e32 v50, v56, v48
	global_load_u16 v56, v[46:47], off
	s_wait_xcnt 0x0
	v_add_nc_u64_e32 v[46:47], s[26:27], v[46:47]
	s_wait_loadcnt 0x7
	v_cvt_f32_f16_e32 v53, v53
	v_mul_f32_e32 v49, v50, v49
	s_wait_loadcnt 0x6
	v_cvt_f32_f16_e32 v50, v54
	ds_bpermute_b32 v54, v29, v43
	v_pk_add_f32 v[10:11], v[10:11], v[48:49]
	ds_bpermute_b32 v49, v29, v42
	s_wait_dscnt 0x2
	v_sub_f32_e32 v53, v53, v57
	global_load_u16 v57, v[44:45], off
	s_wait_xcnt 0x0
	v_add_nc_u64_e32 v[44:45], s[26:27], v[44:45]
	v_mul_f32_e32 v48, v53, v50
	global_load_u16 v53, v[46:47], off
	s_wait_xcnt 0x0
	v_add_nc_u64_e32 v[46:47], s[26:27], v[46:47]
	global_load_u16 v61, v[44:45], off
	s_wait_xcnt 0x0
	v_add_nc_u64_e32 v[44:45], s[26:27], v[44:45]
	v_mul_f32_e32 v51, v48, v51
	s_wait_loadcnt 0x8
	v_cvt_f32_f16_e32 v48, v55
	ds_bpermute_b32 v55, v31, v42
	global_load_u16 v62, v[46:47], off
	s_wait_xcnt 0x0
	v_add_nc_u64_e32 v[46:47], s[26:27], v[46:47]
	v_pk_add_f32 v[10:11], v[10:11], v[50:51]
	ds_bpermute_b32 v51, v31, v43
	s_wait_loadcnt 0x8
	v_cvt_f32_f16_e32 v50, v52
	global_load_u16 v52, v[44:45], off
	s_wait_xcnt 0x0
	v_add_nc_u64_e32 v[44:45], s[26:27], v[44:45]
	s_wait_dscnt 0x3
	v_sub_f32_e32 v50, v50, v54
	global_load_u16 v54, v[46:47], off
	s_wait_xcnt 0x0
	v_add_nc_u64_e32 v[46:47], s[26:27], v[46:47]
	v_mul_f32_e32 v50, v50, v48
	s_wait_dscnt 0x2
	s_delay_alu instid0(VALU_DEP_1)
	v_mul_f32_e32 v49, v50, v49
	ds_bpermute_b32 v50, v30, v43
	v_pk_add_f32 v[10:11], v[10:11], v[48:49]
	ds_bpermute_b32 v49, v30, v42
	s_wait_loadcnt 0x9
	v_cvt_f32_f16_e32 v48, v59
	ds_bpermute_b32 v59, v33, v42
	s_wait_dscnt 0x2
	v_sub_f32_e32 v50, v48, v50
	s_wait_loadcnt 0x8
	v_cvt_f32_f16_e32 v48, v60
	global_load_u16 v60, v[46:47], off
	s_wait_xcnt 0x0
	v_add_nc_u64_e32 v[46:47], s[26:27], v[46:47]
	v_mul_f32_e32 v50, v50, v48
	s_wait_dscnt 0x1
	s_delay_alu instid0(VALU_DEP_1)
	v_mul_f32_e32 v49, v50, v49
	s_wait_loadcnt 0x8
	v_cvt_f32_f16_e32 v50, v58
	ds_bpermute_b32 v58, v32, v43
	v_pk_add_f32 v[10:11], v[10:11], v[48:49]
	v_sub_f32_e32 v51, v50, v51
	s_wait_loadcnt 0x7
	v_cvt_f32_f16_e32 v50, v56
	ds_bpermute_b32 v49, v33, v43
	ds_bpermute_b32 v56, v32, v42
	v_mul_f32_e32 v51, v51, v50
	s_delay_alu instid0(VALU_DEP_1)
	v_mul_f32_e32 v51, v51, v55
	global_load_u16 v55, v[44:45], off
	s_wait_xcnt 0x0
	v_add_nc_u64_e32 v[44:45], s[26:27], v[44:45]
	s_wait_loadcnt 0x7
	v_cvt_f32_f16_e32 v57, v57
	v_pk_add_f32 v[10:11], v[10:11], v[50:51]
	s_wait_loadcnt 0x6
	v_cvt_f32_f16_e32 v48, v53
	ds_bpermute_b32 v53, v34, v43
	s_wait_dscnt 0x3
	v_sub_f32_e32 v50, v57, v58
	s_wait_loadcnt 0x5
	v_cvt_f32_f16_e32 v51, v61
	global_load_u16 v58, v[46:47], off
	s_wait_dscnt 0x2
	v_dual_mul_f32 v57, v50, v48 :: v_dual_sub_f32 v51, v51, v49
	s_wait_loadcnt 0x5
	v_cvt_f32_f16_e32 v50, v62
	s_wait_dscnt 0x1
	s_delay_alu instid0(VALU_DEP_2)
	v_mul_f32_e32 v49, v57, v56
	global_load_u16 v57, v[44:45], off
	s_wait_xcnt 0x0
	v_add_nc_u64_e32 v[44:45], s[26:27], v[44:45]
	ds_bpermute_b32 v56, v34, v42
	v_mul_f32_e32 v51, v51, v50
	v_pk_add_f32 v[10:11], v[10:11], v[48:49]
	v_add_nc_u64_e32 v[48:49], s[26:27], v[46:47]
	v_add_nc_u64_e32 v[46:47], s[26:27], v[44:45]
	s_wait_loadcnt 0x5
	v_cvt_f32_f16_e32 v52, v52
	v_mul_f32_e32 v51, v51, v59
	global_load_u16 v59, v[48:49], off
	s_wait_dscnt 0x1
	v_sub_f32_e32 v53, v52, v53
	s_wait_loadcnt 0x5
	v_cvt_f32_f16_e32 v52, v54
	global_load_u16 v54, v[44:45], off
	global_load_u16 v61, v[46:47], off
	s_wait_xcnt 0x0
	v_add_nc_u64_e32 v[46:47], s[26:27], v[46:47]
	v_add_nc_u64_e32 v[44:45], s[26:27], v[48:49]
	v_pk_add_f32 v[10:11], v[10:11], v[50:51]
	v_mul_f32_e32 v53, v53, v52
	s_delay_alu instid0(VALU_DEP_4) | instskip(NEXT) | instid1(VALU_DEP_4)
	v_add_nc_u64_e32 v[50:51], s[26:27], v[46:47]
	v_add_nc_u64_e32 v[48:49], s[26:27], v[44:45]
	s_wait_dscnt 0x0
	s_delay_alu instid0(VALU_DEP_3)
	v_mul_f32_e32 v53, v53, v56
	global_load_u16 v56, v[44:45], off
	global_load_u16 v62, v[48:49], off
	;; [unrolled: 1-line block ×3, first 2 shown]
                                        ; kill: killed $vgpr46_vgpr47
                                        ; kill: killed $vgpr44_vgpr45
	global_load_u16 v64, v[50:51], off
	s_wait_xcnt 0x3
	v_add_nc_u64_e32 v[44:45], s[26:27], v[50:51]
	s_wait_xcnt 0x1
	v_add_nc_u64_e32 v[46:47], s[26:27], v[48:49]
	global_load_u16 v48, v[44:45], off
	global_load_u16 v49, v[46:47], off
	s_wait_xcnt 0x1
	v_add_nc_u64_e32 v[44:45], s[26:27], v[46:47]
	v_pk_add_f32 v[10:11], v[10:11], v[52:53]
	ds_bpermute_b32 v52, v37, v43
	s_wait_xcnt 0x0
	ds_bpermute_b32 v47, v36, v43
	ds_bpermute_b32 v51, v36, v42
	;; [unrolled: 1-line block ×3, first 2 shown]
	global_load_u16 v50, v[44:45], off
	s_wait_xcnt 0x0
	ds_bpermute_b32 v44, v35, v43
	ds_bpermute_b32 v45, v35, v42
	s_wait_loadcnt 0xc
	v_cvt_f32_f16_e32 v46, v55
	ds_bpermute_b32 v55, v38, v42
	s_wait_dscnt 0x2
	v_sub_f32_e32 v46, v46, v44
	v_cvt_f32_f16_e32 v44, v60
	s_wait_loadcnt 0x8
	v_cvt_f32_f16_e32 v54, v54
	s_delay_alu instid0(VALU_DEP_1) | instskip(NEXT) | instid1(VALU_DEP_3)
	v_sub_f32_e32 v52, v54, v52
	v_mul_f32_e32 v46, v46, v44
	ds_bpermute_b32 v54, v40, v43
	s_wait_dscnt 0x2
	v_mul_f32_e32 v45, v46, v45
	v_cvt_f32_f16_e32 v46, v57
	ds_bpermute_b32 v57, v39, v42
	v_sub_f32_e32 v47, v46, v47
	v_cvt_f32_f16_e32 v46, v58
	v_pk_add_f32 v[10:11], v[10:11], v[44:45]
	ds_bpermute_b32 v45, v38, v43
	ds_bpermute_b32 v58, v41, v42
	v_mul_f32_e32 v44, v47, v46
	s_wait_loadcnt 0x2
	v_cvt_f32_f16_e32 v48, v48
	s_delay_alu instid0(VALU_DEP_2) | instskip(SKIP_4) | instid1(VALU_DEP_3)
	v_mul_f32_e32 v47, v44, v51
	ds_bpermute_b32 v51, v39, v43
	v_cvt_f32_f16_e32 v44, v59
	v_pk_add_f32 v[10:11], v[10:11], v[46:47]
	v_cvt_f32_f16_e32 v46, v61
	v_mul_f32_e32 v47, v52, v44
	ds_bpermute_b32 v52, v41, v43
	s_wait_dscnt 0x3
	v_sub_f32_e32 v43, v46, v45
	v_cvt_f32_f16_e32 v46, v56
	v_cvt_f32_f16_e32 v56, v63
	v_mul_f32_e32 v45, v47, v53
	ds_bpermute_b32 v53, v40, v42
	v_cvt_f32_f16_e32 v42, v62
	v_pk_add_f32 v[10:11], v[10:11], v[44:45]
	s_wait_dscnt 0x2
	v_sub_f32_e32 v51, v56, v51
	v_cvt_f32_f16_e32 v56, v64
	s_wait_loadcnt 0x1
	v_cvt_f32_f16_e32 v44, v49
	s_delay_alu instid0(VALU_DEP_2) | instskip(NEXT) | instid1(VALU_DEP_1)
	v_sub_f32_e32 v45, v56, v54
	v_dual_mul_f32 v43, v43, v46 :: v_dual_mul_f32 v45, v45, v44
	s_delay_alu instid0(VALU_DEP_1) | instskip(SKIP_1) | instid1(VALU_DEP_1)
	v_mul_f32_e32 v47, v43, v55
	v_mul_f32_e32 v43, v51, v42
	;; [unrolled: 1-line block ×3, first 2 shown]
	s_delay_alu instid0(VALU_DEP_3)
	v_pk_add_f32 v[10:11], v[10:11], v[46:47]
	s_wait_loadcnt 0x0
	v_cvt_f32_f16_e32 v46, v50
	s_wait_dscnt 0x0
	v_dual_sub_f32 v47, v48, v52 :: v_dual_mul_f32 v45, v45, v53
	v_pk_add_f32 v[10:11], v[10:11], v[42:43]
	s_delay_alu instid0(VALU_DEP_2) | instskip(NEXT) | instid1(VALU_DEP_2)
	v_mul_f32_e32 v42, v47, v46
	v_pk_add_f32 v[10:11], v[10:11], v[44:45]
	s_delay_alu instid0(VALU_DEP_2) | instskip(NEXT) | instid1(VALU_DEP_1)
	v_mul_f32_e32 v47, v42, v58
	v_pk_add_f32 v[10:11], v[10:11], v[46:47]
	s_cbranch_vccz .LBB73_8
.LBB73_6:                               ; =>This Inner Loop Header: Depth=1
	v_dual_mov_b32 v42, 0 :: v_dual_mov_b32 v43, 0
	s_mov_b32 s28, exec_lo
	v_cmpx_gt_i64_e64 s[12:13], v[4:5]
	s_cbranch_execz .LBB73_5
; %bb.7:                                ;   in Loop: Header=BB73_6 Depth=1
	v_add_nc_u64_e32 v[44:45], s[8:9], v[8:9]
	v_add_nc_u64_e32 v[46:47], s[10:11], v[8:9]
	global_load_b32 v43, v[44:45], off
	global_load_b32 v42, v[46:47], off
	s_branch .LBB73_5
.LBB73_8:
	s_delay_alu instid0(VALU_DEP_1)
	v_cvt_pk_f16_f32 v4, v10, v11
	v_mov_b32_e32 v2, v1
	s_mov_b64 s[4:5], s[18:19]
.LBB73_9:
	s_load_b128 s[0:3], s[0:1], 0x30
	s_nop 0
	s_load_u16 s4, s[4:5], 0xe
	v_mov_b32_e32 v1, 0
	s_delay_alu instid0(VALU_DEP_1) | instskip(SKIP_1) | instid1(VALU_DEP_1)
	v_mov_b32_e32 v3, v1
	s_wait_kmcnt 0x0
	v_mad_nc_u64_u32 v[2:3], s4, s17, v[2:3]
	s_mov_b32 s17, 0
	s_delay_alu instid0(SALU_CYCLE_1) | instskip(SKIP_2) | instid1(VALU_DEP_2)
	s_lshl_b64 s[4:5], s[16:17], 6
	s_cmp_eq_u64 s[0:1], 0
	v_add_nc_u64_e32 v[0:1], s[4:5], v[0:1]
	v_mul_u64_e32 v[2:3], s[14:15], v[2:3]
	s_cbranch_scc1 .LBB73_11
; %bb.10:
	s_delay_alu instid0(VALU_DEP_1) | instskip(NEXT) | instid1(VALU_DEP_1)
	v_lshl_add_u64 v[6:7], v[2:3], 1, s[0:1]
	v_lshl_add_u64 v[6:7], v[0:1], 1, v[6:7]
	global_store_d16_hi_b16 v[6:7], v4, off
.LBB73_11:
	s_cmp_eq_u64 s[2:3], 0
	s_cbranch_scc1 .LBB73_13
; %bb.12:
	s_delay_alu instid0(VALU_DEP_1) | instskip(NEXT) | instid1(VALU_DEP_1)
	v_lshl_add_u64 v[2:3], v[2:3], 1, s[2:3]
	v_lshl_add_u64 v[0:1], v[0:1], 1, v[2:3]
	global_store_b16 v[0:1], v4, off
.LBB73_13:
	s_sendmsg sendmsg(MSG_DEALLOC_VGPRS)
	s_endpgm
	.section	.rodata,"a",@progbits
	.p2align	6, 0x0
	.amdhsa_kernel _ZN2at6native12_GLOBAL__N_135GammaBetaBackwardCUDAKernelTemplateIN3c104HalfEfLj64ELj1ELj32ELb1ELb1ELb0EEEvllPKT_S7_PKT0_SA_PS5_SB_
		.amdhsa_group_segment_fixed_size 0
		.amdhsa_private_segment_fixed_size 0
		.amdhsa_kernarg_size 320
		.amdhsa_user_sgpr_count 2
		.amdhsa_user_sgpr_dispatch_ptr 0
		.amdhsa_user_sgpr_queue_ptr 0
		.amdhsa_user_sgpr_kernarg_segment_ptr 1
		.amdhsa_user_sgpr_dispatch_id 0
		.amdhsa_user_sgpr_kernarg_preload_length 0
		.amdhsa_user_sgpr_kernarg_preload_offset 0
		.amdhsa_user_sgpr_private_segment_size 0
		.amdhsa_wavefront_size32 1
		.amdhsa_uses_dynamic_stack 0
		.amdhsa_enable_private_segment 0
		.amdhsa_system_sgpr_workgroup_id_x 1
		.amdhsa_system_sgpr_workgroup_id_y 1
		.amdhsa_system_sgpr_workgroup_id_z 0
		.amdhsa_system_sgpr_workgroup_info 0
		.amdhsa_system_vgpr_workitem_id 1
		.amdhsa_next_free_vgpr 65
		.amdhsa_next_free_sgpr 29
		.amdhsa_named_barrier_count 0
		.amdhsa_reserve_vcc 1
		.amdhsa_float_round_mode_32 0
		.amdhsa_float_round_mode_16_64 0
		.amdhsa_float_denorm_mode_32 3
		.amdhsa_float_denorm_mode_16_64 3
		.amdhsa_fp16_overflow 0
		.amdhsa_memory_ordered 1
		.amdhsa_forward_progress 1
		.amdhsa_inst_pref_size 32
		.amdhsa_round_robin_scheduling 0
		.amdhsa_exception_fp_ieee_invalid_op 0
		.amdhsa_exception_fp_denorm_src 0
		.amdhsa_exception_fp_ieee_div_zero 0
		.amdhsa_exception_fp_ieee_overflow 0
		.amdhsa_exception_fp_ieee_underflow 0
		.amdhsa_exception_fp_ieee_inexact 0
		.amdhsa_exception_int_div_zero 0
	.end_amdhsa_kernel
	.section	.text._ZN2at6native12_GLOBAL__N_135GammaBetaBackwardCUDAKernelTemplateIN3c104HalfEfLj64ELj1ELj32ELb1ELb1ELb0EEEvllPKT_S7_PKT0_SA_PS5_SB_,"axG",@progbits,_ZN2at6native12_GLOBAL__N_135GammaBetaBackwardCUDAKernelTemplateIN3c104HalfEfLj64ELj1ELj32ELb1ELb1ELb0EEEvllPKT_S7_PKT0_SA_PS5_SB_,comdat
.Lfunc_end73:
	.size	_ZN2at6native12_GLOBAL__N_135GammaBetaBackwardCUDAKernelTemplateIN3c104HalfEfLj64ELj1ELj32ELb1ELb1ELb0EEEvllPKT_S7_PKT0_SA_PS5_SB_, .Lfunc_end73-_ZN2at6native12_GLOBAL__N_135GammaBetaBackwardCUDAKernelTemplateIN3c104HalfEfLj64ELj1ELj32ELb1ELb1ELb0EEEvllPKT_S7_PKT0_SA_PS5_SB_
                                        ; -- End function
	.set _ZN2at6native12_GLOBAL__N_135GammaBetaBackwardCUDAKernelTemplateIN3c104HalfEfLj64ELj1ELj32ELb1ELb1ELb0EEEvllPKT_S7_PKT0_SA_PS5_SB_.num_vgpr, 65
	.set _ZN2at6native12_GLOBAL__N_135GammaBetaBackwardCUDAKernelTemplateIN3c104HalfEfLj64ELj1ELj32ELb1ELb1ELb0EEEvllPKT_S7_PKT0_SA_PS5_SB_.num_agpr, 0
	.set _ZN2at6native12_GLOBAL__N_135GammaBetaBackwardCUDAKernelTemplateIN3c104HalfEfLj64ELj1ELj32ELb1ELb1ELb0EEEvllPKT_S7_PKT0_SA_PS5_SB_.numbered_sgpr, 29
	.set _ZN2at6native12_GLOBAL__N_135GammaBetaBackwardCUDAKernelTemplateIN3c104HalfEfLj64ELj1ELj32ELb1ELb1ELb0EEEvllPKT_S7_PKT0_SA_PS5_SB_.num_named_barrier, 0
	.set _ZN2at6native12_GLOBAL__N_135GammaBetaBackwardCUDAKernelTemplateIN3c104HalfEfLj64ELj1ELj32ELb1ELb1ELb0EEEvllPKT_S7_PKT0_SA_PS5_SB_.private_seg_size, 0
	.set _ZN2at6native12_GLOBAL__N_135GammaBetaBackwardCUDAKernelTemplateIN3c104HalfEfLj64ELj1ELj32ELb1ELb1ELb0EEEvllPKT_S7_PKT0_SA_PS5_SB_.uses_vcc, 1
	.set _ZN2at6native12_GLOBAL__N_135GammaBetaBackwardCUDAKernelTemplateIN3c104HalfEfLj64ELj1ELj32ELb1ELb1ELb0EEEvllPKT_S7_PKT0_SA_PS5_SB_.uses_flat_scratch, 0
	.set _ZN2at6native12_GLOBAL__N_135GammaBetaBackwardCUDAKernelTemplateIN3c104HalfEfLj64ELj1ELj32ELb1ELb1ELb0EEEvllPKT_S7_PKT0_SA_PS5_SB_.has_dyn_sized_stack, 0
	.set _ZN2at6native12_GLOBAL__N_135GammaBetaBackwardCUDAKernelTemplateIN3c104HalfEfLj64ELj1ELj32ELb1ELb1ELb0EEEvllPKT_S7_PKT0_SA_PS5_SB_.has_recursion, 0
	.set _ZN2at6native12_GLOBAL__N_135GammaBetaBackwardCUDAKernelTemplateIN3c104HalfEfLj64ELj1ELj32ELb1ELb1ELb0EEEvllPKT_S7_PKT0_SA_PS5_SB_.has_indirect_call, 0
	.section	.AMDGPU.csdata,"",@progbits
; Kernel info:
; codeLenInByte = 3980
; TotalNumSgprs: 31
; NumVgprs: 65
; ScratchSize: 0
; MemoryBound: 0
; FloatMode: 240
; IeeeMode: 1
; LDSByteSize: 0 bytes/workgroup (compile time only)
; SGPRBlocks: 0
; VGPRBlocks: 4
; NumSGPRsForWavesPerEU: 31
; NumVGPRsForWavesPerEU: 65
; NamedBarCnt: 0
; Occupancy: 12
; WaveLimiterHint : 0
; COMPUTE_PGM_RSRC2:SCRATCH_EN: 0
; COMPUTE_PGM_RSRC2:USER_SGPR: 2
; COMPUTE_PGM_RSRC2:TRAP_HANDLER: 0
; COMPUTE_PGM_RSRC2:TGID_X_EN: 1
; COMPUTE_PGM_RSRC2:TGID_Y_EN: 1
; COMPUTE_PGM_RSRC2:TGID_Z_EN: 0
; COMPUTE_PGM_RSRC2:TIDIG_COMP_CNT: 1
	.section	.text._ZN2at6native12_GLOBAL__N_135GammaBetaBackwardCUDAKernelTemplateIN3c104HalfEfLj64ELj1ELj32ELb1ELb0ELb0EEEvllPKT_S7_PKT0_SA_PS5_SB_,"axG",@progbits,_ZN2at6native12_GLOBAL__N_135GammaBetaBackwardCUDAKernelTemplateIN3c104HalfEfLj64ELj1ELj32ELb1ELb0ELb0EEEvllPKT_S7_PKT0_SA_PS5_SB_,comdat
	.globl	_ZN2at6native12_GLOBAL__N_135GammaBetaBackwardCUDAKernelTemplateIN3c104HalfEfLj64ELj1ELj32ELb1ELb0ELb0EEEvllPKT_S7_PKT0_SA_PS5_SB_ ; -- Begin function _ZN2at6native12_GLOBAL__N_135GammaBetaBackwardCUDAKernelTemplateIN3c104HalfEfLj64ELj1ELj32ELb1ELb0ELb0EEEvllPKT_S7_PKT0_SA_PS5_SB_
	.p2align	8
	.type	_ZN2at6native12_GLOBAL__N_135GammaBetaBackwardCUDAKernelTemplateIN3c104HalfEfLj64ELj1ELj32ELb1ELb0ELb0EEEvllPKT_S7_PKT0_SA_PS5_SB_,@function
_ZN2at6native12_GLOBAL__N_135GammaBetaBackwardCUDAKernelTemplateIN3c104HalfEfLj64ELj1ELj32ELb1ELb0ELb0EEEvllPKT_S7_PKT0_SA_PS5_SB_: ; @_ZN2at6native12_GLOBAL__N_135GammaBetaBackwardCUDAKernelTemplateIN3c104HalfEfLj64ELj1ELj32ELb1ELb0ELb0EEEvllPKT_S7_PKT0_SA_PS5_SB_
; %bb.0:
	s_load_b256 s[4:11], s[0:1], 0x0
	s_bfe_u32 s3, ttmp6, 0x4000c
	s_bfe_u32 s12, ttmp6, 0x40010
	s_add_co_i32 s3, s3, 1
	s_add_co_i32 s12, s12, 1
	s_and_b32 s2, ttmp6, 15
	s_bfe_u32 s13, ttmp6, 0x40004
	s_mul_i32 s3, ttmp9, s3
	s_mul_i32 s12, ttmp7, s12
	s_getreg_b32 s14, hwreg(HW_REG_IB_STS2, 6, 4)
	s_add_co_i32 s2, s2, s3
	s_add_co_i32 s3, s13, s12
	s_cmp_eq_u32 s14, 0
	s_mov_b32 s19, 0
	s_cselect_b32 s16, ttmp9, s2
	s_cselect_b32 s33, ttmp7, s3
	s_lshl_b32 s3, s16, 6
	s_load_b128 s[12:15], s[0:1], 0x20
	s_or_b32 s18, s3, 63
	s_wait_kmcnt 0x0
	v_cmp_le_i64_e64 s2, s[6:7], s[18:19]
	s_lshl_b32 s18, s33, 5
	s_delay_alu instid0(SALU_CYCLE_1) | instskip(SKIP_2) | instid1(VALU_DEP_1)
	v_cmp_gt_i64_e64 s17, s[4:5], s[18:19]
	s_and_b32 vcc_lo, exec_lo, s2
	v_cndmask_b32_e64 v1, 0, 1, s17
	v_cmp_ne_u32_e64 s2, 1, v1
	s_cbranch_vccz .LBB74_140
; %bb.1:
	s_and_b32 vcc_lo, exec_lo, s2
	s_cbranch_vccnz .LBB74_141
; %bb.2:
	v_bfe_u32 v1, v0, 10, 10
	v_mov_b32_e32 v2, 0
	v_and_b32_e32 v172, 0x3ff, v0
	s_load_b32 s20, s[0:1], 0x44
	s_mov_b32 s21, 0
	s_delay_alu instid0(VALU_DEP_2) | instskip(NEXT) | instid1(VALU_DEP_2)
	v_dual_mov_b32 v37, v2 :: v_dual_lshlrev_b32 v36, 5, v1
	v_dual_mov_b32 v7, v2 :: v_dual_add_nc_u32 v6, s3, v172
	s_mov_b32 s25, s21
	s_set_vgpr_msb 64                       ;  msbs: dst=1 src0=0 src1=0 src2=0
	v_dual_mov_b32 v36 /*v292*/, 0 :: v_dual_mov_b32 v37 /*v293*/, v2
	s_set_vgpr_msb 0                        ;  msbs: dst=0 src0=0 src1=0 src2=0
	v_add_nc_u64_e32 v[4:5], s[18:19], v[36:37]
	v_cmp_gt_i64_e64 s2, s[6:7], v[6:7]
	v_lshlrev_b64_e32 v[38:39], 1, v[6:7]
	s_add_nc_u64 s[22:23], s[0:1], 64
	s_mov_b64 s[28:29], 31
	s_mov_b64 s[30:31], s[18:19]
	v_add_nc_u64_e32 v[10:11], 31, v[4:5]
	v_add_nc_u64_e32 v[12:13], 30, v[4:5]
	;; [unrolled: 1-line block ×7, first 2 shown]
	v_mul_u64_e32 v[10:11], s[6:7], v[10:11]
	v_mul_u64_e32 v[12:13], s[6:7], v[12:13]
	;; [unrolled: 1-line block ×6, first 2 shown]
	v_add_nc_u64_e32 v[28:29], 21, v[4:5]
	v_mul_u64_e32 v[6:7], s[6:7], v[6:7]
	v_add_nc_u64_e32 v[18:19], 27, v[4:5]
	v_add_nc_u64_e32 v[22:23], 25, v[4:5]
	;; [unrolled: 1-line block ×5, first 2 shown]
	v_mul_u64_e32 v[28:29], s[6:7], v[28:29]
	v_add_nc_u64_e32 v[20:21], 26, v[4:5]
	v_mul_u64_e32 v[18:19], s[6:7], v[18:19]
	v_mul_u64_e32 v[22:23], s[6:7], v[22:23]
	;; [unrolled: 1-line block ×7, first 2 shown]
	s_wait_kmcnt 0x0
	s_lshl_b32 s24, s20, 5
	s_delay_alu instid0(SALU_CYCLE_1) | instskip(NEXT) | instid1(SALU_CYCLE_1)
	s_mul_u64 s[26:27], s[6:7], s[24:25]
	s_lshl_b64 s[26:27], s[26:27], 1
	v_lshlrev_b64_e32 v[10:11], 1, v[10:11]
	v_lshlrev_b64_e32 v[12:13], 1, v[12:13]
	;; [unrolled: 1-line block ×5, first 2 shown]
	v_add_nc_u64_e32 v[44:45], s[8:9], v[10:11]
	v_add_nc_u64_e32 v[46:47], s[10:11], v[10:11]
	v_add_nc_u64_e32 v[10:11], 17, v[4:5]
	v_add_nc_u64_e32 v[48:49], s[8:9], v[12:13]
	v_add_nc_u64_e32 v[50:51], s[10:11], v[12:13]
	v_add_nc_u64_e32 v[52:53], s[8:9], v[14:15]
	v_add_nc_u64_e32 v[54:55], s[10:11], v[14:15]
	v_add_nc_u64_e32 v[56:57], s[8:9], v[16:17]
	v_add_nc_u64_e32 v[58:59], s[10:11], v[16:17]
	v_lshlrev_b64_e32 v[12:13], 1, v[24:25]
	v_mul_u64_e32 v[10:11], s[6:7], v[10:11]
	v_add_nc_u64_e32 v[14:15], 16, v[4:5]
	v_lshlrev_b64_e32 v[16:17], 1, v[26:27]
	v_add_nc_u64_e32 v[72:73], s[8:9], v[6:7]
	v_add_nc_u64_e32 v[74:75], s[10:11], v[6:7]
	v_lshlrev_b64_e32 v[6:7], 1, v[28:29]
	v_add_nc_u64_e32 v[76:77], s[8:9], v[12:13]
	v_add_nc_u64_e32 v[78:79], s[10:11], v[12:13]
	v_mul_u64_e32 v[12:13], s[6:7], v[14:15]
	v_add_nc_u64_e32 v[80:81], s[8:9], v[16:17]
	v_add_nc_u64_e32 v[82:83], s[10:11], v[16:17]
	;; [unrolled: 1-line block ×3, first 2 shown]
	v_lshlrev_b64_e32 v[18:19], 1, v[18:19]
	v_lshlrev_b64_e32 v[22:23], 1, v[22:23]
	v_add_nc_u64_e32 v[84:85], s[8:9], v[6:7]
	v_add_nc_u64_e32 v[86:87], s[10:11], v[6:7]
	v_lshlrev_b64_e32 v[6:7], 1, v[32:33]
	v_add_nc_u64_e32 v[14:15], 15, v[4:5]
	v_mul_u64_e32 v[16:17], s[6:7], v[16:17]
	v_add_nc_u64_e32 v[60:61], s[8:9], v[18:19]
	v_add_nc_u64_e32 v[62:63], s[10:11], v[18:19]
	;; [unrolled: 1-line block ×4, first 2 shown]
	v_lshlrev_b64_e32 v[18:19], 1, v[30:31]
	v_lshlrev_b64_e32 v[22:23], 1, v[34:35]
	v_add_nc_u64_e32 v[92:93], s[8:9], v[6:7]
	v_add_nc_u64_e32 v[24:25], 11, v[4:5]
	;; [unrolled: 1-line block ×5, first 2 shown]
	v_lshlrev_b64_e32 v[20:21], 1, v[20:21]
	v_mul_u64_e32 v[14:15], s[6:7], v[14:15]
	v_add_nc_u64_e32 v[88:89], s[8:9], v[18:19]
	v_add_nc_u64_e32 v[90:91], s[10:11], v[18:19]
	;; [unrolled: 1-line block ×4, first 2 shown]
	v_mul_u64_e32 v[24:25], s[6:7], v[24:25]
	v_lshlrev_b64_e32 v[10:11], 1, v[10:11]
	v_add_nc_u64_e32 v[28:29], 8, v[4:5]
	v_mul_u64_e32 v[6:7], s[6:7], v[6:7]
	v_add_nc_u64_e32 v[98:99], s[10:11], v[22:23]
	v_mul_u64_e32 v[22:23], s[6:7], v[26:27]
	v_add_nc_u64_e32 v[26:27], 6, v[4:5]
	v_add_nc_u64_e32 v[64:65], s[8:9], v[20:21]
	;; [unrolled: 1-line block ×4, first 2 shown]
	v_mul_u64_e32 v[18:19], s[6:7], v[18:19]
	v_add_nc_u64_e32 v[30:31], 7, v[4:5]
	v_lshlrev_b64_e32 v[12:13], 1, v[12:13]
	v_mul_u64_e32 v[28:29], s[6:7], v[28:29]
	v_add_nc_u64_e32 v[100:101], s[8:9], v[10:11]
	v_add_nc_u64_e32 v[32:33], 5, v[4:5]
	;; [unrolled: 1-line block ×3, first 2 shown]
	v_mul_u64_e32 v[10:11], s[6:7], v[26:27]
	v_add_nc_u64_e32 v[26:27], 4, v[4:5]
	v_add_nc_u64_e32 v[34:35], 3, v[4:5]
	;; [unrolled: 1-line block ×3, first 2 shown]
	v_mul_u64_e32 v[20:21], s[6:7], v[20:21]
	v_mul_u64_e32 v[30:31], s[6:7], v[30:31]
	v_add_nc_u64_e32 v[104:105], s[8:9], v[12:13]
	v_mul_u64_e32 v[32:33], s[6:7], v[32:33]
	v_add_nc_u64_e32 v[106:107], s[10:11], v[12:13]
	v_lshlrev_b64_e32 v[12:13], 1, v[16:17]
	v_mul_u64_e32 v[16:17], s[6:7], v[26:27]
	v_mul_u64_e32 v[26:27], s[6:7], v[34:35]
	;; [unrolled: 1-line block ×3, first 2 shown]
	v_lshlrev_b64_e32 v[14:15], 1, v[14:15]
	v_lshlrev_b64_e32 v[42:43], 1, v[8:9]
	v_add_nc_u64_e32 v[8:9], s[6:7], v[8:9]
	v_add_nc_u64_e32 v[112:113], s[8:9], v[12:13]
	;; [unrolled: 1-line block ×3, first 2 shown]
	v_lshlrev_b64_e32 v[12:13], 1, v[24:25]
	v_lshlrev_b64_e32 v[6:7], 1, v[6:7]
	v_add_nc_u64_e32 v[108:109], s[8:9], v[14:15]
	v_add_nc_u64_e32 v[110:111], s[10:11], v[14:15]
	v_lshlrev_b64_e32 v[8:9], 1, v[8:9]
	v_add_nc_u64_e32 v[40:41], s[8:9], v[42:43]
	v_add_nc_u64_e32 v[42:43], s[10:11], v[42:43]
	;; [unrolled: 3-line block ×4, first 2 shown]
	v_add_nc_u64_e32 v[164:165], s[8:9], v[8:9]
	v_lshlrev_b64_e32 v[6:7], 1, v[10:11]
	v_add_nc_u64_e32 v[120:121], s[8:9], v[14:15]
	v_add_nc_u64_e32 v[122:123], s[10:11], v[14:15]
	v_lshlrev_b64_e32 v[14:15], 1, v[22:23]
	v_lshlrev_b64_e32 v[20:21], 1, v[20:21]
	v_lshlrev_b64_e32 v[18:19], 1, v[30:31]
	v_add_nc_u64_e32 v[136:137], s[8:9], v[12:13]
	v_add_nc_u64_e32 v[138:139], s[10:11], v[12:13]
	v_lshlrev_b64_e32 v[10:11], 1, v[32:33]
	v_add_nc_u64_e32 v[144:145], s[8:9], v[6:7]
	v_lshlrev_b64_e32 v[12:13], 1, v[16:17]
	;; [unrolled: 2-line block ×3, first 2 shown]
	v_lshlrev_b64_e32 v[4:5], 1, v[4:5]
	v_add_nc_u64_e32 v[116:117], s[8:9], v[20:21]
	v_add_nc_u64_e32 v[118:119], s[10:11], v[20:21]
	;; [unrolled: 1-line block ×15, first 2 shown]
	s_branch .LBB74_5
.LBB74_3:                               ;   in Loop: Header=BB74_5 Depth=1
	s_or_b32 exec_lo, exec_lo, s20
	s_wait_loadcnt 0x1
	ds_bpermute_b32 v202, v2, v168
	ds_bpermute_b32 v204, v2, v168 offset:4
	s_wait_loadcnt 0x0
	ds_bpermute_b32 v203, v2, v169
	ds_bpermute_b32 v207, v2, v168 offset:8
	ds_bpermute_b32 v205, v2, v169 offset:4
	ds_bpermute_b32 v209, v2, v168 offset:12
	ds_bpermute_b32 v206, v2, v169 offset:8
	ds_bpermute_b32 v211, v2, v168 offset:16
	ds_bpermute_b32 v208, v2, v169 offset:12
	ds_bpermute_b32 v213, v2, v168 offset:20
	ds_bpermute_b32 v210, v2, v169 offset:16
	ds_bpermute_b32 v215, v2, v168 offset:24
	ds_bpermute_b32 v212, v2, v169 offset:20
	ds_bpermute_b32 v217, v2, v168 offset:28
	ds_bpermute_b32 v221, v2, v168 offset:36
	ds_bpermute_b32 v214, v2, v169 offset:24
	ds_bpermute_b32 v219, v2, v168 offset:32
	ds_bpermute_b32 v216, v2, v169 offset:28
	ds_bpermute_b32 v223, v2, v168 offset:40
	ds_bpermute_b32 v218, v2, v169 offset:32
	s_wait_dscnt 0x13
	v_dual_sub_f32 v202, v170, v202 :: v_dual_mov_b32 v170, v4
	s_wait_dscnt 0x12
	v_sub_f32_e32 v171, v171, v204
	s_wait_dscnt 0x10
	v_sub_f32_e32 v3, v3, v207
	ds_bpermute_b32 v220, v2, v169 offset:36
	v_dual_mul_f32 v204, v4, v202 :: v_dual_mov_b32 v4, v5
	v_dual_mov_b32 v202, v6 :: v_dual_mul_f32 v5, v5, v171
	s_wait_dscnt 0xf
	s_delay_alu instid0(VALU_DEP_2) | instskip(SKIP_1) | instid1(VALU_DEP_3)
	v_dual_sub_f32 v174, v174, v209 :: v_dual_mul_f32 v171, v204, v203
	v_dual_mov_b32 v204, v7 :: v_dual_mul_f32 v3, v6, v3
	v_dual_mov_b32 v6, v8 :: v_dual_mul_f32 v5, v5, v205
	s_set_vgpr_msb 1                        ;  msbs: dst=0 src0=1 src1=0 src2=0
	s_delay_alu instid0(VALU_DEP_3)
	v_pk_add_f32 v[170:171], v[36:37] /*v[292:293]*/, v[170:171]
	s_wait_dscnt 0xd
	s_set_vgpr_msb 0                        ;  msbs: dst=0 src0=0 src1=0 src2=0
	v_dual_sub_f32 v173, v173, v211 :: v_dual_mul_f32 v7, v7, v174
	s_wait_dscnt 0xb
	v_dual_mul_f32 v203, v3, v206 :: v_dual_sub_f32 v3, v176, v213
	v_pk_add_f32 v[4:5], v[4:5], v[170:171]
	s_delay_alu instid0(VALU_DEP_3) | instskip(SKIP_1) | instid1(VALU_DEP_3)
	v_dual_mov_b32 v170, v9 :: v_dual_mul_f32 v171, v8, v173
	v_dual_mov_b32 v8, v10 :: v_dual_mul_f32 v205, v7, v208
	v_pk_add_f32 v[4:5], v[202:203], v[4:5]
	s_wait_dscnt 0x9
	v_sub_f32_e32 v173, v175, v215
	v_dual_mul_f32 v3, v9, v3 :: v_dual_mul_f32 v7, v171, v210
	ds_bpermute_b32 v222, v2, v169 offset:40
	v_pk_add_f32 v[4:5], v[204:205], v[4:5]
	s_wait_dscnt 0x8
	v_sub_f32_e32 v9, v179, v217
	ds_bpermute_b32 v174, v2, v168 offset:44
	s_wait_dscnt 0x6
	v_dual_mul_f32 v171, v3, v212 :: v_dual_sub_f32 v3, v178, v219
	v_pk_add_f32 v[4:5], v[6:7], v[4:5]
	v_sub_f32_e32 v6, v181, v221
	v_mul_f32_e32 v10, v10, v173
	v_mul_f32_e32 v7, v11, v9
	ds_bpermute_b32 v173, v2, v169 offset:48
	v_pk_add_f32 v[4:5], v[170:171], v[4:5]
	v_mul_f32_e32 v170, v13, v6
	s_wait_dscnt 0x5
	v_dual_mul_f32 v9, v10, v214 :: v_dual_sub_f32 v10, v180, v223
	v_dual_mul_f32 v3, v12, v3 :: v_dual_mul_f32 v7, v7, v216
	s_wait_dscnt 0x3
	v_dual_mov_b32 v6, v11 :: v_dual_mul_f32 v11, v170, v220
	s_delay_alu instid0(VALU_DEP_3)
	v_pk_add_f32 v[4:5], v[8:9], v[4:5]
	ds_bpermute_b32 v171, v2, v168 offset:48
	v_dual_mul_f32 v9, v3, v218 :: v_dual_mov_b32 v8, v12
	v_dual_mul_f32 v3, v14, v10 :: v_dual_mov_b32 v10, v13
	v_pk_add_f32 v[4:5], v[6:7], v[4:5]
	ds_bpermute_b32 v12, v2, v168 offset:52
	ds_bpermute_b32 v170, v2, v168 offset:56
	;; [unrolled: 1-line block ×3, first 2 shown]
	s_wait_dscnt 0x6
	v_dual_mul_f32 v7, v3, v222 :: v_dual_mov_b32 v6, v14
	v_pk_add_f32 v[4:5], v[8:9], v[4:5]
	ds_bpermute_b32 v3, v2, v168 offset:60
	s_wait_dscnt 0x6
	v_sub_f32_e32 v8, v183, v174
	ds_bpermute_b32 v14, v2, v168 offset:64
	v_pk_add_f32 v[4:5], v[10:11], v[4:5]
	ds_bpermute_b32 v10, v2, v169 offset:52
	ds_bpermute_b32 v11, v2, v169 offset:56
	s_wait_dscnt 0x7
	v_dual_sub_f32 v9, v182, v171 :: v_dual_mul_f32 v8, v15, v8
	v_pk_add_f32 v[4:5], v[6:7], v[4:5]
	v_mov_b32_e32 v6, v15
	ds_bpermute_b32 v15, v2, v169 offset:64
	s_wait_dscnt 0x7
	v_dual_mul_f32 v9, v16, v9 :: v_dual_sub_f32 v12, v185, v12
	s_wait_dscnt 0x6
	v_sub_f32_e32 v170, v184, v170
	s_wait_dscnt 0x5
	v_mul_f32_e32 v7, v8, v13
	ds_bpermute_b32 v171, v2, v168 offset:68
	v_mul_f32_e32 v9, v9, v173
	v_dual_mul_f32 v12, v17, v12 :: v_dual_mul_f32 v13, v18, v170
	ds_bpermute_b32 v170, v2, v169 offset:60
	s_wait_dscnt 0x6
	v_dual_sub_f32 v3, v187, v3 :: v_dual_mov_b32 v8, v16
	v_pk_add_f32 v[4:5], v[6:7], v[4:5]
	ds_bpermute_b32 v173, v2, v168 offset:72
	s_wait_dscnt 0x4
	v_dual_mul_f32 v7, v12, v10 :: v_dual_mul_f32 v11, v13, v11
	v_dual_sub_f32 v10, v186, v14 :: v_dual_mul_f32 v3, v19, v3
	v_mov_b32_e32 v6, v17
	v_pk_add_f32 v[4:5], v[8:9], v[4:5]
	ds_bpermute_b32 v12, v2, v168 offset:76
	ds_bpermute_b32 v13, v2, v169 offset:68
	v_dual_mul_f32 v8, v20, v10 :: v_dual_mov_b32 v10, v18
	v_pk_add_f32 v[4:5], v[6:7], v[4:5]
	ds_bpermute_b32 v14, v2, v169 offset:72
	ds_bpermute_b32 v16, v2, v168 offset:80
	s_wait_dscnt 0x7
	v_dual_mul_f32 v9, v8, v15 :: v_dual_mov_b32 v6, v19
	v_pk_add_f32 v[4:5], v[10:11], v[4:5]
	ds_bpermute_b32 v11, v2, v169 offset:76
	s_wait_dscnt 0x6
	v_dual_mul_f32 v7, v3, v170 :: v_dual_sub_f32 v3, v189, v171
	ds_bpermute_b32 v15, v2, v168 offset:84
	s_wait_dscnt 0x6
	v_sub_f32_e32 v10, v188, v173
	ds_bpermute_b32 v17, v2, v169 offset:80
	v_pk_add_f32 v[4:5], v[6:7], v[4:5]
	v_dual_mul_f32 v3, v21, v3 :: v_dual_mov_b32 v8, v20
	s_wait_dscnt 0x6
	v_dual_mul_f32 v10, v22, v10 :: v_dual_sub_f32 v12, v192, v12
	s_wait_dscnt 0x5
	s_delay_alu instid0(VALU_DEP_2) | instskip(SKIP_1) | instid1(VALU_DEP_3)
	v_dual_mov_b32 v6, v21 :: v_dual_mul_f32 v7, v3, v13
	v_pk_add_f32 v[4:5], v[8:9], v[4:5]
	v_dual_mov_b32 v8, v22 :: v_dual_mul_f32 v3, v23, v12
	s_wait_dscnt 0x4
	v_mul_f32_e32 v9, v10, v14
	s_wait_dscnt 0x3
	v_sub_f32_e32 v10, v190, v16
	ds_bpermute_b32 v12, v2, v169 offset:84
	v_pk_add_f32 v[4:5], v[6:7], v[4:5]
	ds_bpermute_b32 v13, v2, v168 offset:88
	ds_bpermute_b32 v14, v2, v168 offset:92
	s_wait_dscnt 0x5
	v_mul_f32_e32 v7, v3, v11
	ds_bpermute_b32 v11, v2, v168 offset:96
	s_wait_dscnt 0x5
	v_dual_mul_f32 v3, v24, v10 :: v_dual_sub_f32 v10, v193, v15
	v_pk_add_f32 v[4:5], v[8:9], v[4:5]
	v_mov_b32_e32 v6, v23
	ds_bpermute_b32 v15, v2, v169 offset:92
	s_wait_dscnt 0x5
	v_dual_mul_f32 v9, v3, v17 :: v_dual_mov_b32 v8, v24
	v_mul_f32_e32 v3, v25, v10
	ds_bpermute_b32 v10, v2, v169 offset:88
	ds_bpermute_b32 v16, v2, v168 offset:100
	v_pk_add_f32 v[4:5], v[6:7], v[4:5]
	ds_bpermute_b32 v17, v2, v168 offset:108
	v_mov_b32_e32 v6, v25
	ds_bpermute_b32 v18, v2, v168 offset:116
	s_wait_dscnt 0x8
	v_mul_f32_e32 v7, v3, v12
	v_pk_add_f32 v[4:5], v[8:9], v[4:5]
	s_wait_dscnt 0x7
	v_sub_f32_e32 v3, v191, v13
	ds_bpermute_b32 v12, v2, v169 offset:96
	ds_bpermute_b32 v13, v2, v168 offset:104
	s_wait_dscnt 0x7
	v_dual_sub_f32 v11, v194, v11 :: v_dual_sub_f32 v8, v195, v14
	v_mul_f32_e32 v3, v26, v3
	ds_bpermute_b32 v14, v2, v169 offset:100
	v_pk_add_f32 v[4:5], v[6:7], v[4:5]
	v_dual_mov_b32 v6, v26 :: v_dual_mul_f32 v8, v27, v8
	s_wait_dscnt 0x6
	v_dual_mul_f32 v7, v3, v10 :: v_dual_mul_f32 v3, v28, v11
	s_wait_dscnt 0x5
	s_delay_alu instid0(VALU_DEP_2)
	v_dual_mul_f32 v9, v8, v15 :: v_dual_sub_f32 v10, v197, v16
	ds_bpermute_b32 v11, v2, v168 offset:112
	ds_bpermute_b32 v15, v2, v169 offset:104
	;; [unrolled: 1-line block ×3, first 2 shown]
	v_pk_add_f32 v[4:5], v[6:7], v[4:5]
	v_dual_mov_b32 v8, v27 :: v_dual_mul_f32 v10, v29, v10
	s_wait_dscnt 0x4
	v_dual_mul_f32 v7, v3, v12 :: v_dual_sub_f32 v3, v196, v13
	v_mov_b32_e32 v6, v28
	s_delay_alu instid0(VALU_DEP_3)
	v_pk_add_f32 v[4:5], v[8:9], v[4:5]
	s_wait_dscnt 0x3
	v_mul_f32_e32 v9, v10, v14
	ds_bpermute_b32 v10, v2, v169 offset:112
	v_dual_sub_f32 v12, v199, v17 :: v_dual_mul_f32 v3, v30, v3
	ds_bpermute_b32 v13, v2, v168 offset:120
	v_pk_add_f32 v[4:5], v[6:7], v[4:5]
	v_dual_mov_b32 v8, v29 :: v_dual_mul_f32 v12, v31, v12
	ds_bpermute_b32 v14, v2, v169 offset:116
	v_mov_b32_e32 v6, v30
	s_wait_dscnt 0x5
	v_sub_f32_e32 v11, v198, v11
	s_wait_dscnt 0x4
	v_mul_f32_e32 v7, v3, v15
	v_pk_add_f32 v[4:5], v[8:9], v[4:5]
	s_wait_dscnt 0x3
	v_mul_f32_e32 v9, v12, v16
	ds_bpermute_b32 v12, v2, v169 offset:120
	v_dual_mul_f32 v3, v32, v11 :: v_dual_sub_f32 v11, v201, v18
	v_pk_add_f32 v[4:5], v[6:7], v[4:5]
	v_dual_mov_b32 v8, v31 :: v_dual_mov_b32 v6, v32
	s_wait_dscnt 0x3
	s_delay_alu instid0(VALU_DEP_3) | instskip(NEXT) | instid1(VALU_DEP_2)
	v_dual_mul_f32 v7, v3, v10 :: v_dual_mul_f32 v10, v33, v11
	v_pk_add_f32 v[8:9], v[8:9], v[4:5]
	s_wait_dscnt 0x2
	v_sub_f32_e32 v5, v200, v13
	ds_bpermute_b32 v3, v2, v169 offset:124
	ds_bpermute_b32 v4, v2, v168 offset:124
	s_wait_dscnt 0x3
	v_mul_f32_e32 v11, v10, v14
	v_pk_add_f32 v[6:7], v[6:7], v[8:9]
	v_dual_mov_b32 v10, v33 :: v_dual_mul_f32 v5, v34, v5
	v_mov_b32_e32 v8, v34
	s_delay_alu instid0(VALU_DEP_2) | instskip(SKIP_1) | instid1(VALU_DEP_3)
	v_pk_add_f32 v[6:7], v[10:11], v[6:7]
	s_wait_dscnt 0x2
	v_mul_f32_e32 v9, v5, v12
	s_delay_alu instid0(VALU_DEP_1)
	v_pk_add_f32 v[170:171], v[8:9], v[6:7]
.LBB74_4:                               ;   in Loop: Header=BB74_5 Depth=1
	s_wait_dscnt 0x0
	v_dual_sub_f32 v5, v177, v4 :: v_dual_mov_b32 v4, v35
	s_add_nc_u64 s[30:31], s[30:31], s[24:25]
	v_add_nc_u64_e32 v[40:41], s[26:27], v[40:41]
	v_cmp_lt_i64_e64 s20, s[30:31], s[4:5]
	s_delay_alu instid0(VALU_DEP_3)
	v_mul_f32_e32 v5, v35, v5
	v_add_nc_u64_e32 v[42:43], s[26:27], v[42:43]
	v_add_nc_u64_e32 v[44:45], s[26:27], v[44:45]
	;; [unrolled: 1-line block ×4, first 2 shown]
	v_mul_f32_e32 v5, v5, v3
	v_add_nc_u64_e32 v[50:51], s[26:27], v[50:51]
	v_add_nc_u64_e32 v[52:53], s[26:27], v[52:53]
	;; [unrolled: 1-line block ×60, first 2 shown]
	s_set_vgpr_msb 64                       ;  msbs: dst=1 src0=0 src1=0 src2=0
	v_pk_add_f32 v[36:37] /*v[292:293]*/, v[170:171], v[4:5]
	s_and_b32 vcc_lo, exec_lo, s20
	s_add_nc_u64 s[28:29], s[28:29], s[24:25]
	s_set_vgpr_msb 0                        ;  msbs: dst=0 src0=0 src1=0 src2=0
	s_cbranch_vccz .LBB74_142
.LBB74_5:                               ; =>This Inner Loop Header: Depth=1
	s_add_nc_u64 s[34:35], s[18:19], s[28:29]
	v_add_nc_u64_e32 v[168:169], s[18:19], v[36:37]
	v_cmp_ge_i64_e64 s20, s[34:35], s[4:5]
                                        ; implicit-def: $vgpr4_vgpr5_vgpr6_vgpr7_vgpr8_vgpr9_vgpr10_vgpr11_vgpr12_vgpr13_vgpr14_vgpr15_vgpr16_vgpr17_vgpr18_vgpr19_vgpr20_vgpr21_vgpr22_vgpr23_vgpr24_vgpr25_vgpr26_vgpr27_vgpr28_vgpr29_vgpr30_vgpr31_vgpr32_vgpr33_vgpr34_vgpr35
                                        ; implicit-def: $vgpr170_vgpr171
                                        ; implicit-def: $vgpr3
                                        ; implicit-def: $vgpr177
                                        ; implicit-def: $vgpr4
	s_and_b32 vcc_lo, exec_lo, s20
	s_mov_b32 s20, -1
	s_cbranch_vccz .LBB74_73
; %bb.6:                                ;   in Loop: Header=BB74_5 Depth=1
	s_load_b32 s20, s[22:23], 0xc
	v_dual_mov_b32 v173, 0 :: v_dual_mov_b32 v171, 0
	v_mov_b32_e32 v170, 0
	s_wait_kmcnt 0x0
	s_and_b32 s20, s20, 0xffff
	s_delay_alu instid0(SALU_CYCLE_1) | instskip(SKIP_2) | instid1(VALU_DEP_2)
	v_mad_u32_u24 v3, v1, s20, v172
	v_mov_b32_e32 v5, v2
	s_mov_b32 s20, exec_lo
	v_and_b32_e32 v4, 31, v3
	s_delay_alu instid0(VALU_DEP_1) | instskip(NEXT) | instid1(VALU_DEP_1)
	v_add_nc_u64_e32 v[4:5], v[168:169], v[4:5]
	v_cmpx_gt_i64_e64 s[4:5], v[4:5]
	s_cbranch_execz .LBB74_8
; %bb.7:                                ;   in Loop: Header=BB74_5 Depth=1
	v_lshlrev_b64_e32 v[4:5], 2, v[4:5]
	s_delay_alu instid0(VALU_DEP_1)
	v_add_nc_u64_e32 v[6:7], s[12:13], v[4:5]
	v_add_nc_u64_e32 v[4:5], s[14:15], v[4:5]
	global_load_b32 v170, v[6:7], off
	global_load_b32 v171, v[4:5], off
.LBB74_8:                               ;   in Loop: Header=BB74_5 Depth=1
	s_wait_xcnt 0x0
	s_or_b32 exec_lo, exec_lo, s20
	v_dual_mov_b32 v31, v2 :: v_dual_mov_b32 v32, v2
	v_dual_mov_b32 v33, v2 :: v_dual_mov_b32 v3, v2
	;; [unrolled: 1-line block ×15, first 2 shown]
	v_mov_b32_e32 v30, v2
	v_cmp_gt_i64_e32 vcc_lo, s[4:5], v[168:169]
	v_mov_b64_e32 v[34:35], v[32:33]
	s_delay_alu instid0(VALU_DEP_3)
	v_mov_b64_e32 v[32:33], v[30:31]
	v_mov_b64_e32 v[30:31], v[28:29]
	v_mov_b64_e32 v[28:29], v[26:27]
	v_mov_b64_e32 v[26:27], v[24:25]
	v_mov_b64_e32 v[24:25], v[22:23]
	v_mov_b64_e32 v[22:23], v[20:21]
	v_mov_b64_e32 v[20:21], v[18:19]
	v_mov_b64_e32 v[18:19], v[16:17]
	v_mov_b64_e32 v[16:17], v[14:15]
	v_mov_b64_e32 v[14:15], v[12:13]
	v_mov_b64_e32 v[12:13], v[10:11]
	v_mov_b64_e32 v[10:11], v[8:9]
	v_mov_b64_e32 v[8:9], v[6:7]
	v_mov_b64_e32 v[6:7], v[4:5]
	v_mov_b64_e32 v[4:5], v[2:3]
	s_and_b32 s34, s2, vcc_lo
	s_delay_alu instid0(SALU_CYCLE_1)
	s_and_saveexec_b32 s20, s34
	s_cbranch_execz .LBB74_10
; %bb.9:                                ;   in Loop: Header=BB74_5 Depth=1
	v_add_nc_u64_e32 v[4:5], v[40:41], v[38:39]
	v_add_nc_u64_e32 v[6:7], v[42:43], v[38:39]
	v_dual_mov_b32 v9, v2 :: v_dual_mov_b32 v10, v2
	v_dual_mov_b32 v11, v2 :: v_dual_mov_b32 v12, v2
	v_dual_mov_b32 v13, v2 :: v_dual_mov_b32 v14, v2
	global_load_u16 v3, v[4:5], off
	global_load_u16 v173, v[6:7], off
	s_wait_xcnt 0x0
	v_dual_mov_b32 v5, v2 :: v_dual_mov_b32 v6, v2
	v_dual_mov_b32 v7, v2 :: v_dual_mov_b32 v8, v2
	;; [unrolled: 1-line block ×12, first 2 shown]
	v_mov_b32_e32 v35, v2
	s_wait_loadcnt 0x1
	v_cvt_f32_f16_e32 v4, v3
	s_wait_loadcnt 0x0
	v_cvt_f32_f16_e64 v173, v173
.LBB74_10:                              ;   in Loop: Header=BB74_5 Depth=1
	s_or_b32 exec_lo, exec_lo, s20
	v_add_nc_u64_e32 v[174:175], 1, v[168:169]
	v_mov_b32_e32 v3, 0
	s_delay_alu instid0(VALU_DEP_2) | instskip(SKIP_2) | instid1(SALU_CYCLE_1)
	v_cmp_gt_i64_e32 vcc_lo, s[4:5], v[174:175]
	v_mov_b32_e32 v174, 0
	s_and_b32 s34, s2, vcc_lo
	s_and_saveexec_b32 s20, s34
	s_cbranch_execz .LBB74_12
; %bb.11:                               ;   in Loop: Header=BB74_5 Depth=1
	v_add_nc_u64_e32 v[174:175], v[164:165], v[38:39]
	v_add_nc_u64_e32 v[176:177], v[166:167], v[38:39]
	global_load_u16 v5, v[174:175], off
	global_load_u16 v178, v[176:177], off
	s_wait_loadcnt 0x1
	v_cvt_f32_f16_e32 v5, v5
	s_wait_loadcnt 0x0
	v_cvt_f32_f16_e64 v174, v178
.LBB74_12:                              ;   in Loop: Header=BB74_5 Depth=1
	s_or_b32 exec_lo, exec_lo, s20
	v_add_nc_u64_e32 v[176:177], 2, v[168:169]
	s_delay_alu instid0(VALU_DEP_1) | instskip(SKIP_1) | instid1(SALU_CYCLE_1)
	v_cmp_gt_i64_e32 vcc_lo, s[4:5], v[176:177]
	s_and_b32 s34, s2, vcc_lo
	s_and_saveexec_b32 s20, s34
	s_cbranch_execz .LBB74_14
; %bb.13:                               ;   in Loop: Header=BB74_5 Depth=1
	v_add_nc_u64_e32 v[176:177], v[160:161], v[38:39]
	v_add_nc_u64_e32 v[178:179], v[162:163], v[38:39]
	global_load_u16 v3, v[176:177], off
	global_load_u16 v175, v[178:179], off
	s_wait_loadcnt 0x1
	v_cvt_f32_f16_e32 v6, v3
	s_wait_loadcnt 0x0
	v_cvt_f32_f16_e64 v3, v175
.LBB74_14:                              ;   in Loop: Header=BB74_5 Depth=1
	s_or_b32 exec_lo, exec_lo, s20
	v_add_nc_u64_e32 v[176:177], 3, v[168:169]
	v_mov_b32_e32 v175, 0
	s_delay_alu instid0(VALU_DEP_2) | instskip(SKIP_2) | instid1(SALU_CYCLE_1)
	v_cmp_gt_i64_e32 vcc_lo, s[4:5], v[176:177]
	v_mov_b32_e32 v176, 0
	s_and_b32 s34, s2, vcc_lo
	s_and_saveexec_b32 s20, s34
	s_cbranch_execz .LBB74_16
; %bb.15:                               ;   in Loop: Header=BB74_5 Depth=1
	v_add_nc_u64_e32 v[176:177], v[156:157], v[38:39]
	v_add_nc_u64_e32 v[178:179], v[158:159], v[38:39]
	global_load_u16 v7, v[176:177], off
	global_load_u16 v180, v[178:179], off
	s_wait_loadcnt 0x1
	v_cvt_f32_f16_e32 v7, v7
	s_wait_loadcnt 0x0
	v_cvt_f32_f16_e64 v176, v180
.LBB74_16:                              ;   in Loop: Header=BB74_5 Depth=1
	s_or_b32 exec_lo, exec_lo, s20
	v_add_nc_u64_e32 v[178:179], 4, v[168:169]
	s_delay_alu instid0(VALU_DEP_1) | instskip(SKIP_1) | instid1(SALU_CYCLE_1)
	v_cmp_gt_i64_e32 vcc_lo, s[4:5], v[178:179]
	s_and_b32 s34, s2, vcc_lo
	s_and_saveexec_b32 s20, s34
	s_cbranch_execz .LBB74_18
; %bb.17:                               ;   in Loop: Header=BB74_5 Depth=1
	v_add_nc_u64_e32 v[178:179], v[152:153], v[38:39]
	v_add_nc_u64_e32 v[180:181], v[154:155], v[38:39]
	global_load_u16 v8, v[178:179], off
	global_load_u16 v175, v[180:181], off
	s_wait_loadcnt 0x1
	v_cvt_f32_f16_e32 v8, v8
	s_wait_loadcnt 0x0
	v_cvt_f32_f16_e64 v175, v175
.LBB74_18:                              ;   in Loop: Header=BB74_5 Depth=1
	s_or_b32 exec_lo, exec_lo, s20
	v_add_nc_u64_e32 v[178:179], 5, v[168:169]
	s_delay_alu instid0(VALU_DEP_1) | instskip(SKIP_2) | instid1(SALU_CYCLE_1)
	v_cmp_gt_i64_e32 vcc_lo, s[4:5], v[178:179]
	v_dual_mov_b32 v178, 0 :: v_dual_mov_b32 v179, 0
	s_and_b32 s34, s2, vcc_lo
	s_and_saveexec_b32 s20, s34
	s_cbranch_execz .LBB74_20
; %bb.19:                               ;   in Loop: Header=BB74_5 Depth=1
	v_add_nc_u64_e32 v[180:181], v[148:149], v[38:39]
	v_add_nc_u64_e32 v[182:183], v[150:151], v[38:39]
	global_load_u16 v9, v[180:181], off
	global_load_u16 v177, v[182:183], off
	s_wait_loadcnt 0x1
	v_cvt_f32_f16_e32 v9, v9
	s_wait_loadcnt 0x0
	v_cvt_f32_f16_e64 v179, v177
.LBB74_20:                              ;   in Loop: Header=BB74_5 Depth=1
	s_or_b32 exec_lo, exec_lo, s20
	v_add_nc_u64_e32 v[180:181], 6, v[168:169]
	s_delay_alu instid0(VALU_DEP_1) | instskip(SKIP_1) | instid1(SALU_CYCLE_1)
	v_cmp_gt_i64_e32 vcc_lo, s[4:5], v[180:181]
	s_and_b32 s34, s2, vcc_lo
	s_and_saveexec_b32 s20, s34
	s_cbranch_execz .LBB74_22
; %bb.21:                               ;   in Loop: Header=BB74_5 Depth=1
	v_add_nc_u64_e32 v[180:181], v[144:145], v[38:39]
	v_add_nc_u64_e32 v[182:183], v[146:147], v[38:39]
	global_load_u16 v10, v[180:181], off
	global_load_u16 v177, v[182:183], off
	s_wait_loadcnt 0x1
	v_cvt_f32_f16_e32 v10, v10
	s_wait_loadcnt 0x0
	v_cvt_f32_f16_e64 v178, v177
.LBB74_22:                              ;   in Loop: Header=BB74_5 Depth=1
	s_or_b32 exec_lo, exec_lo, s20
	v_add_nc_u64_e32 v[180:181], 7, v[168:169]
	s_delay_alu instid0(VALU_DEP_1) | instskip(SKIP_2) | instid1(SALU_CYCLE_1)
	v_cmp_gt_i64_e32 vcc_lo, s[4:5], v[180:181]
	v_dual_mov_b32 v180, 0 :: v_dual_mov_b32 v181, 0
	;; [unrolled: 35-line block ×13, first 2 shown]
	s_and_b32 s34, s2, vcc_lo
	s_and_saveexec_b32 s20, s34
	s_cbranch_execz .LBB74_68
; %bb.67:                               ;   in Loop: Header=BB74_5 Depth=1
	v_add_nc_u64_e32 v[204:205], v[52:53], v[38:39]
	v_add_nc_u64_e32 v[206:207], v[54:55], v[38:39]
	global_load_u16 v33, v[204:205], off
	global_load_u16 v177, v[206:207], off
	s_wait_loadcnt 0x1
	v_cvt_f32_f16_e32 v33, v33
	s_wait_loadcnt 0x0
	v_cvt_f32_f16_e64 v203, v177
.LBB74_68:                              ;   in Loop: Header=BB74_5 Depth=1
	s_or_b32 exec_lo, exec_lo, s20
	v_add_nc_u64_e32 v[204:205], 30, v[168:169]
	s_delay_alu instid0(VALU_DEP_1) | instskip(SKIP_1) | instid1(SALU_CYCLE_1)
	v_cmp_gt_i64_e32 vcc_lo, s[4:5], v[204:205]
	s_and_b32 s34, s2, vcc_lo
	s_and_saveexec_b32 s20, s34
	s_cbranch_execz .LBB74_70
; %bb.69:                               ;   in Loop: Header=BB74_5 Depth=1
	v_add_nc_u64_e32 v[204:205], v[48:49], v[38:39]
	v_add_nc_u64_e32 v[206:207], v[50:51], v[38:39]
	global_load_u16 v34, v[204:205], off
	global_load_u16 v177, v[206:207], off
	s_wait_loadcnt 0x1
	v_cvt_f32_f16_e32 v34, v34
	s_wait_loadcnt 0x0
	v_cvt_f32_f16_e64 v202, v177
.LBB74_70:                              ;   in Loop: Header=BB74_5 Depth=1
	s_or_b32 exec_lo, exec_lo, s20
	v_add_nc_u64_e32 v[204:205], 31, v[168:169]
	v_mov_b32_e32 v177, 0
	s_delay_alu instid0(VALU_DEP_2) | instskip(SKIP_1) | instid1(SALU_CYCLE_1)
	v_cmp_gt_i64_e32 vcc_lo, s[4:5], v[204:205]
	s_and_b32 s34, s2, vcc_lo
	s_and_saveexec_b32 s20, s34
	s_cbranch_execz .LBB74_72
; %bb.71:                               ;   in Loop: Header=BB74_5 Depth=1
	v_add_nc_u64_e32 v[204:205], v[44:45], v[38:39]
	v_add_nc_u64_e32 v[206:207], v[46:47], v[38:39]
	global_load_u16 v35, v[204:205], off
	global_load_u16 v177, v[206:207], off
	s_wait_loadcnt 0x1
	v_cvt_f32_f16_e32 v35, v35
	s_wait_loadcnt 0x0
	v_cvt_f32_f16_e64 v177, v177
.LBB74_72:                              ;   in Loop: Header=BB74_5 Depth=1
	s_or_b32 exec_lo, exec_lo, s20
	s_wait_loadcnt 0x1
	ds_bpermute_b32 v204, v2, v170
	ds_bpermute_b32 v206, v2, v170 offset:4
	s_wait_loadcnt 0x0
	ds_bpermute_b32 v205, v2, v171
	ds_bpermute_b32 v209, v2, v170 offset:8
	ds_bpermute_b32 v207, v2, v171 offset:4
	;; [unrolled: 1-line block ×17, first 2 shown]
	s_wait_dscnt 0x13
	v_dual_sub_f32 v173, v173, v204 :: v_dual_mov_b32 v204, v4
	s_wait_dscnt 0x12
	v_sub_f32_e32 v206, v174, v206
	ds_bpermute_b32 v222, v2, v171 offset:36
	ds_bpermute_b32 v224, v2, v171 offset:40
	v_dual_mul_f32 v173, v4, v173 :: v_dual_mov_b32 v4, v5
	s_wait_dscnt 0x12
	v_dual_mov_b32 v174, v6 :: v_dual_sub_f32 v3, v3, v209
	v_mul_f32_e32 v5, v5, v206
	s_delay_alu instid0(VALU_DEP_3) | instskip(SKIP_3) | instid1(VALU_DEP_2)
	v_dual_mul_f32 v205, v173, v205 :: v_dual_mov_b32 v206, v7
	s_wait_dscnt 0xf
	v_dual_sub_f32 v173, v176, v211 :: v_dual_sub_f32 v176, v175, v213
	v_dual_mul_f32 v3, v6, v3 :: v_dual_mov_b32 v6, v8
	v_dual_mul_f32 v5, v5, v207 :: v_dual_mul_f32 v7, v7, v173
	s_set_vgpr_msb 1                        ;  msbs: dst=0 src0=1 src1=0 src2=0
	v_pk_add_f32 v[204:205], v[36:37] /*v[292:293]*/, v[204:205]
	s_wait_dscnt 0xe
	s_set_vgpr_msb 0                        ;  msbs: dst=0 src0=0 src1=0 src2=0
	v_mul_f32_e32 v175, v3, v208
	s_wait_dscnt 0xc
	v_dual_sub_f32 v3, v179, v215 :: v_dual_mul_f32 v173, v8, v176
	v_dual_mul_f32 v207, v7, v210 :: v_dual_mov_b32 v8, v10
	v_pk_add_f32 v[4:5], v[4:5], v[204:205]
	s_delay_alu instid0(VALU_DEP_3)
	v_dual_mov_b32 v204, v9 :: v_dual_mul_f32 v3, v9, v3
	s_wait_dscnt 0x8
	v_sub_f32_e32 v9, v181, v219
	ds_bpermute_b32 v176, v2, v171 offset:48
	v_pk_add_f32 v[4:5], v[174:175], v[4:5]
	v_dual_sub_f32 v174, v178, v217 :: v_dual_mul_f32 v7, v173, v212
	s_wait_dscnt 0x8
	v_dual_mul_f32 v205, v3, v214 :: v_dual_sub_f32 v3, v180, v221
	s_delay_alu instid0(VALU_DEP_3) | instskip(NEXT) | instid1(VALU_DEP_3)
	v_pk_add_f32 v[4:5], v[206:207], v[4:5]
	v_mul_f32_e32 v10, v10, v174
	ds_bpermute_b32 v173, v2, v170 offset:44
	ds_bpermute_b32 v175, v2, v170 offset:48
	s_mov_b32 s20, 0
	v_pk_add_f32 v[4:5], v[6:7], v[4:5]
	s_wait_dscnt 0x9
	v_sub_f32_e32 v6, v183, v223
	s_wait_dscnt 0x8
	v_dual_mul_f32 v7, v11, v9 :: v_dual_mul_f32 v9, v10, v216
	s_wait_dscnt 0x7
	v_dual_sub_f32 v10, v182, v225 :: v_dual_mul_f32 v3, v12, v3
	v_pk_add_f32 v[4:5], v[204:205], v[4:5]
	v_dual_mul_f32 v174, v13, v6 :: v_dual_mov_b32 v6, v11
	s_wait_dscnt 0x6
	v_mul_f32_e32 v7, v7, v218
	s_delay_alu instid0(VALU_DEP_3)
	v_pk_add_f32 v[4:5], v[8:9], v[4:5]
	s_wait_dscnt 0x4
	v_dual_mul_f32 v9, v3, v220 :: v_dual_mul_f32 v11, v174, v222
	v_mov_b32_e32 v8, v12
	ds_bpermute_b32 v12, v2, v170 offset:52
	ds_bpermute_b32 v174, v2, v170 offset:56
	v_dual_mul_f32 v3, v14, v10 :: v_dual_mov_b32 v10, v13
	v_pk_add_f32 v[4:5], v[6:7], v[4:5]
	ds_bpermute_b32 v13, v2, v171 offset:44
	s_wait_dscnt 0x6
	v_dual_mov_b32 v6, v14 :: v_dual_mul_f32 v7, v3, v224
	ds_bpermute_b32 v3, v2, v170 offset:60
	v_pk_add_f32 v[4:5], v[8:9], v[4:5]
	s_wait_dscnt 0x5
	v_sub_f32_e32 v8, v185, v173
	ds_bpermute_b32 v14, v2, v170 offset:64
	s_wait_dscnt 0x5
	v_sub_f32_e32 v9, v184, v175
	ds_bpermute_b32 v175, v2, v170 offset:72
	v_pk_add_f32 v[4:5], v[10:11], v[4:5]
	ds_bpermute_b32 v10, v2, v171 offset:52
	ds_bpermute_b32 v11, v2, v171 offset:56
	v_dual_mul_f32 v8, v15, v8 :: v_dual_mul_f32 v9, v16, v9
	v_pk_add_f32 v[4:5], v[6:7], v[4:5]
	s_wait_dscnt 0x6
	v_dual_sub_f32 v12, v187, v12 :: v_dual_sub_f32 v173, v186, v174
	v_mov_b32_e32 v6, v15
	ds_bpermute_b32 v15, v2, v171 offset:64
	s_wait_dscnt 0x6
	v_dual_mul_f32 v9, v9, v176 :: v_dual_mul_f32 v7, v8, v13
	v_dual_mul_f32 v12, v17, v12 :: v_dual_mul_f32 v13, v18, v173
	ds_bpermute_b32 v173, v2, v171 offset:60
	ds_bpermute_b32 v174, v2, v170 offset:68
	s_wait_dscnt 0x7
	v_sub_f32_e32 v3, v189, v3
	v_pk_add_f32 v[4:5], v[6:7], v[4:5]
	v_dual_mov_b32 v8, v16 :: v_dual_mov_b32 v6, v17
	ds_bpermute_b32 v16, v2, v170 offset:80
	s_wait_dscnt 0x5
	v_dual_mul_f32 v7, v12, v10 :: v_dual_mul_f32 v3, v19, v3
	s_wait_dscnt 0x4
	v_dual_mul_f32 v11, v13, v11 :: v_dual_sub_f32 v10, v188, v14
	v_pk_add_f32 v[4:5], v[8:9], v[4:5]
	ds_bpermute_b32 v12, v2, v170 offset:76
	ds_bpermute_b32 v13, v2, v171 offset:68
	;; [unrolled: 1-line block ×3, first 2 shown]
	v_dual_mul_f32 v8, v20, v10 :: v_dual_mov_b32 v10, v18
	v_pk_add_f32 v[4:5], v[6:7], v[4:5]
	ds_bpermute_b32 v17, v2, v171 offset:80
	ds_bpermute_b32 v18, v2, v170 offset:116
	s_wait_dscnt 0x7
	v_dual_mul_f32 v7, v3, v173 :: v_dual_mul_f32 v9, v8, v15
	v_pk_add_f32 v[4:5], v[10:11], v[4:5]
	ds_bpermute_b32 v11, v2, v171 offset:76
	ds_bpermute_b32 v15, v2, v170 offset:84
	s_wait_dscnt 0x8
	v_dual_sub_f32 v3, v191, v174 :: v_dual_sub_f32 v10, v190, v175
	v_dual_mov_b32 v6, v19 :: v_dual_mov_b32 v8, v20
	s_delay_alu instid0(VALU_DEP_2) | instskip(NEXT) | instid1(VALU_DEP_2)
	v_dual_mul_f32 v3, v21, v3 :: v_dual_mul_f32 v10, v22, v10
	v_pk_add_f32 v[4:5], v[6:7], v[4:5]
	s_wait_dscnt 0x6
	v_sub_f32_e32 v12, v193, v12
	s_wait_dscnt 0x5
	v_dual_mov_b32 v6, v21 :: v_dual_mul_f32 v7, v3, v13
	ds_bpermute_b32 v13, v2, v170 offset:88
	v_pk_add_f32 v[4:5], v[8:9], v[4:5]
	s_wait_dscnt 0x5
	v_dual_mul_f32 v9, v10, v14 :: v_dual_mul_f32 v3, v23, v12
	v_dual_mov_b32 v8, v22 :: v_dual_sub_f32 v10, v192, v16
	ds_bpermute_b32 v12, v2, v171 offset:84
	ds_bpermute_b32 v14, v2, v170 offset:92
	v_pk_add_f32 v[4:5], v[6:7], v[4:5]
	s_wait_dscnt 0x4
	v_dual_mul_f32 v7, v3, v11 :: v_dual_mul_f32 v3, v24, v10
	s_wait_dscnt 0x3
	v_sub_f32_e32 v10, v195, v15
	ds_bpermute_b32 v11, v2, v170 offset:96
	v_pk_add_f32 v[4:5], v[8:9], v[4:5]
	v_mov_b32_e32 v6, v23
	v_dual_mul_f32 v9, v3, v17 :: v_dual_mov_b32 v8, v24
	v_mul_f32_e32 v3, v25, v10
	ds_bpermute_b32 v10, v2, v171 offset:88
	ds_bpermute_b32 v15, v2, v171 offset:92
	;; [unrolled: 1-line block ×3, first 2 shown]
	v_pk_add_f32 v[4:5], v[6:7], v[4:5]
	ds_bpermute_b32 v17, v2, v170 offset:108
	s_wait_dscnt 0x6
	v_dual_mul_f32 v7, v3, v12 :: v_dual_sub_f32 v3, v194, v13
	v_pk_add_f32 v[4:5], v[8:9], v[4:5]
	s_wait_dscnt 0x5
	v_sub_f32_e32 v8, v197, v14
	ds_bpermute_b32 v12, v2, v171 offset:96
	ds_bpermute_b32 v13, v2, v170 offset:104
	;; [unrolled: 1-line block ×3, first 2 shown]
	v_dual_mul_f32 v3, v26, v3 :: v_dual_mov_b32 v6, v25
	s_wait_dscnt 0x7
	v_dual_mul_f32 v8, v27, v8 :: v_dual_sub_f32 v11, v196, v11
	s_delay_alu instid0(VALU_DEP_2) | instskip(SKIP_1) | instid1(VALU_DEP_2)
	v_pk_add_f32 v[4:5], v[6:7], v[4:5]
	s_wait_dscnt 0x5
	v_dual_mul_f32 v7, v3, v10 :: v_dual_mul_f32 v9, v8, v15
	s_delay_alu instid0(VALU_DEP_3)
	v_dual_mov_b32 v6, v26 :: v_dual_mul_f32 v3, v28, v11
	s_wait_dscnt 0x4
	v_sub_f32_e32 v10, v199, v16
	ds_bpermute_b32 v11, v2, v170 offset:112
	ds_bpermute_b32 v15, v2, v171 offset:104
	ds_bpermute_b32 v16, v2, v171 offset:108
	v_pk_add_f32 v[4:5], v[6:7], v[4:5]
	v_dual_mov_b32 v8, v27 :: v_dual_mul_f32 v10, v29, v10
	s_wait_dscnt 0x4
	v_dual_mul_f32 v7, v3, v12 :: v_dual_sub_f32 v3, v198, v13
	v_mov_b32_e32 v6, v28
	s_delay_alu instid0(VALU_DEP_3)
	v_pk_add_f32 v[4:5], v[8:9], v[4:5]
	s_wait_dscnt 0x3
	v_mul_f32_e32 v9, v10, v14
	ds_bpermute_b32 v10, v2, v171 offset:112
	v_dual_sub_f32 v12, v201, v17 :: v_dual_mul_f32 v3, v30, v3
	ds_bpermute_b32 v13, v2, v170 offset:120
	v_pk_add_f32 v[4:5], v[6:7], v[4:5]
	v_dual_mov_b32 v8, v29 :: v_dual_mul_f32 v12, v31, v12
	ds_bpermute_b32 v14, v2, v171 offset:116
	s_wait_dscnt 0x5
	v_dual_mov_b32 v6, v30 :: v_dual_sub_f32 v11, v200, v11
	s_wait_dscnt 0x4
	v_mul_f32_e32 v7, v3, v15
	v_pk_add_f32 v[4:5], v[8:9], v[4:5]
	s_wait_dscnt 0x3
	v_mul_f32_e32 v9, v12, v16
	ds_bpermute_b32 v12, v2, v171 offset:120
	v_dual_mul_f32 v3, v32, v11 :: v_dual_sub_f32 v11, v203, v18
	v_pk_add_f32 v[4:5], v[6:7], v[4:5]
	v_dual_mov_b32 v8, v31 :: v_dual_mov_b32 v6, v32
	s_wait_dscnt 0x3
	s_delay_alu instid0(VALU_DEP_3) | instskip(NEXT) | instid1(VALU_DEP_2)
	v_dual_mul_f32 v7, v3, v10 :: v_dual_mul_f32 v10, v33, v11
	v_pk_add_f32 v[8:9], v[8:9], v[4:5]
	s_wait_dscnt 0x2
	v_sub_f32_e32 v5, v202, v13
	ds_bpermute_b32 v3, v2, v171 offset:124
	ds_bpermute_b32 v4, v2, v170 offset:124
	s_wait_dscnt 0x3
	v_mul_f32_e32 v11, v10, v14
	v_pk_add_f32 v[6:7], v[6:7], v[8:9]
	v_dual_mov_b32 v10, v33 :: v_dual_mul_f32 v5, v34, v5
	s_wait_dscnt 0x2
	s_delay_alu instid0(VALU_DEP_1) | instskip(NEXT) | instid1(VALU_DEP_2)
	v_dual_mov_b32 v8, v34 :: v_dual_mul_f32 v9, v5, v12
	v_pk_add_f32 v[6:7], v[10:11], v[6:7]
	s_delay_alu instid0(VALU_DEP_1)
	v_pk_add_f32 v[170:171], v[8:9], v[6:7]
.LBB74_73:                              ;   in Loop: Header=BB74_5 Depth=1
	s_and_b32 vcc_lo, exec_lo, s20
	s_cbranch_vccz .LBB74_4
; %bb.74:                               ;   in Loop: Header=BB74_5 Depth=1
	s_load_b32 s20, s[22:23], 0x0
	v_mov_b32_e32 v170, 0
	s_wait_kmcnt 0x0
	s_cmp_lt_u32 s16, s20
	s_cselect_b32 s20, 12, 18
	s_delay_alu instid0(SALU_CYCLE_1)
	s_add_nc_u64 s[34:35], s[22:23], s[20:21]
	s_load_u16 s20, s[34:35], 0x0
	s_wait_dscnt 0x1
	s_wait_kmcnt 0x0
	v_mad_u32_u24 v3, v1, s20, v172
	v_mov_b32_e32 v5, v2
	s_mov_b32 s20, exec_lo
	s_wait_dscnt 0x0
	s_delay_alu instid0(VALU_DEP_2) | instskip(NEXT) | instid1(VALU_DEP_1)
	v_and_b32_e32 v4, 31, v3
	v_add_nc_u64_e32 v[4:5], v[168:169], v[4:5]
	v_dual_mov_b32 v169, 0 :: v_dual_mov_b32 v168, 0
	s_delay_alu instid0(VALU_DEP_2)
	v_cmpx_gt_i64_e64 s[4:5], v[4:5]
	s_cbranch_execz .LBB74_76
; %bb.75:                               ;   in Loop: Header=BB74_5 Depth=1
	v_lshlrev_b64_e32 v[4:5], 2, v[4:5]
	s_delay_alu instid0(VALU_DEP_1)
	v_add_nc_u64_e32 v[6:7], s[12:13], v[4:5]
	v_add_nc_u64_e32 v[4:5], s[14:15], v[4:5]
	global_load_b32 v168, v[6:7], off
	global_load_b32 v169, v[4:5], off
.LBB74_76:                              ;   in Loop: Header=BB74_5 Depth=1
	s_wait_xcnt 0x0
	s_or_b32 exec_lo, exec_lo, s20
	v_dual_mov_b32 v31, v2 :: v_dual_mov_b32 v32, v2
	v_dual_mov_b32 v33, v2 :: v_dual_mov_b32 v3, v2
	;; [unrolled: 1-line block ×15, first 2 shown]
	v_mov_b32_e32 v30, v2
	v_mov_b64_e32 v[34:35], v[32:33]
	s_delay_alu instid0(VALU_DEP_2) | instskip(NEXT) | instid1(VALU_DEP_4)
	v_mov_b64_e32 v[32:33], v[30:31]
	v_mov_b64_e32 v[30:31], v[28:29]
	;; [unrolled: 1-line block ×15, first 2 shown]
	s_and_saveexec_b32 s20, s2
	s_cbranch_execz .LBB74_78
; %bb.77:                               ;   in Loop: Header=BB74_5 Depth=1
	v_add_nc_u64_e32 v[4:5], v[40:41], v[38:39]
	v_add_nc_u64_e32 v[6:7], v[42:43], v[38:39]
	v_dual_mov_b32 v9, v2 :: v_dual_mov_b32 v10, v2
	v_dual_mov_b32 v11, v2 :: v_dual_mov_b32 v12, v2
	;; [unrolled: 1-line block ×3, first 2 shown]
	global_load_u16 v3, v[4:5], off
	global_load_u16 v170, v[6:7], off
	s_wait_xcnt 0x0
	v_dual_mov_b32 v5, v2 :: v_dual_mov_b32 v6, v2
	v_dual_mov_b32 v7, v2 :: v_dual_mov_b32 v8, v2
	;; [unrolled: 1-line block ×12, first 2 shown]
	v_mov_b32_e32 v35, v2
	s_wait_loadcnt 0x1
	v_cvt_f32_f16_e32 v4, v3
	s_wait_loadcnt 0x0
	v_cvt_f32_f16_e64 v170, v170
.LBB74_78:                              ;   in Loop: Header=BB74_5 Depth=1
	s_or_b32 exec_lo, exec_lo, s20
	v_dual_mov_b32 v3, 0 :: v_dual_mov_b32 v171, 0
	s_and_saveexec_b32 s20, s2
	s_cbranch_execz .LBB74_80
; %bb.79:                               ;   in Loop: Header=BB74_5 Depth=1
	v_add_nc_u64_e32 v[174:175], v[164:165], v[38:39]
	v_add_nc_u64_e32 v[176:177], v[166:167], v[38:39]
	global_load_u16 v5, v[174:175], off
	global_load_u16 v171, v[176:177], off
	s_wait_loadcnt 0x1
	v_cvt_f32_f16_e32 v5, v5
	s_wait_loadcnt 0x0
	v_cvt_f32_f16_e64 v171, v171
.LBB74_80:                              ;   in Loop: Header=BB74_5 Depth=1
	s_or_b32 exec_lo, exec_lo, s20
	s_and_saveexec_b32 s20, s2
	s_cbranch_execz .LBB74_82
; %bb.81:                               ;   in Loop: Header=BB74_5 Depth=1
	v_add_nc_u64_e32 v[174:175], v[160:161], v[38:39]
	v_add_nc_u64_e32 v[176:177], v[162:163], v[38:39]
	global_load_u16 v3, v[174:175], off
	global_load_u16 v173, v[176:177], off
	s_wait_loadcnt 0x1
	v_cvt_f32_f16_e32 v6, v3
	s_wait_loadcnt 0x0
	v_cvt_f32_f16_e64 v3, v173
.LBB74_82:                              ;   in Loop: Header=BB74_5 Depth=1
	s_or_b32 exec_lo, exec_lo, s20
	v_dual_mov_b32 v173, 0 :: v_dual_mov_b32 v174, 0
	s_and_saveexec_b32 s20, s2
	s_cbranch_execz .LBB74_84
; %bb.83:                               ;   in Loop: Header=BB74_5 Depth=1
	v_add_nc_u64_e32 v[174:175], v[156:157], v[38:39]
	v_add_nc_u64_e32 v[176:177], v[158:159], v[38:39]
	global_load_u16 v7, v[174:175], off
	global_load_u16 v178, v[176:177], off
	s_wait_loadcnt 0x1
	v_cvt_f32_f16_e32 v7, v7
	s_wait_loadcnt 0x0
	v_cvt_f32_f16_e64 v174, v178
.LBB74_84:                              ;   in Loop: Header=BB74_5 Depth=1
	s_or_b32 exec_lo, exec_lo, s20
	s_and_saveexec_b32 s20, s2
	s_cbranch_execz .LBB74_86
; %bb.85:                               ;   in Loop: Header=BB74_5 Depth=1
	v_add_nc_u64_e32 v[176:177], v[152:153], v[38:39]
	v_add_nc_u64_e32 v[178:179], v[154:155], v[38:39]
	global_load_u16 v8, v[176:177], off
	global_load_u16 v173, v[178:179], off
	s_wait_loadcnt 0x1
	v_cvt_f32_f16_e32 v8, v8
	s_wait_loadcnt 0x0
	v_cvt_f32_f16_e64 v173, v173
.LBB74_86:                              ;   in Loop: Header=BB74_5 Depth=1
	;; [unrolled: 27-line block ×5, first 2 shown]
	s_or_b32 exec_lo, exec_lo, s20
	v_dual_mov_b32 v182, 0 :: v_dual_mov_b32 v183, 0
	s_and_saveexec_b32 s20, s2
	s_cbranch_execz .LBB74_100
; %bb.99:                               ;   in Loop: Header=BB74_5 Depth=1
	v_add_nc_u64_e32 v[184:185], v[124:125], v[38:39]
	v_add_nc_u64_e32 v[186:187], v[126:127], v[38:39]
	global_load_u16 v15, v[184:185], off
	global_load_u16 v177, v[186:187], off
	s_wait_loadcnt 0x1
	v_cvt_f32_f16_e32 v15, v15
	s_wait_loadcnt 0x0
	v_cvt_f32_f16_e64 v183, v177
.LBB74_100:                             ;   in Loop: Header=BB74_5 Depth=1
	s_or_b32 exec_lo, exec_lo, s20
	s_and_saveexec_b32 s20, s2
	s_cbranch_execz .LBB74_102
; %bb.101:                              ;   in Loop: Header=BB74_5 Depth=1
	v_add_nc_u64_e32 v[184:185], v[120:121], v[38:39]
	v_add_nc_u64_e32 v[186:187], v[122:123], v[38:39]
	global_load_u16 v16, v[184:185], off
	global_load_u16 v177, v[186:187], off
	s_wait_loadcnt 0x1
	v_cvt_f32_f16_e32 v16, v16
	s_wait_loadcnt 0x0
	v_cvt_f32_f16_e64 v182, v177
.LBB74_102:                             ;   in Loop: Header=BB74_5 Depth=1
	s_or_b32 exec_lo, exec_lo, s20
	v_dual_mov_b32 v184, 0 :: v_dual_mov_b32 v185, 0
	s_and_saveexec_b32 s20, s2
	s_cbranch_execz .LBB74_104
; %bb.103:                              ;   in Loop: Header=BB74_5 Depth=1
	v_add_nc_u64_e32 v[186:187], v[116:117], v[38:39]
	v_add_nc_u64_e32 v[188:189], v[118:119], v[38:39]
	global_load_u16 v17, v[186:187], off
	global_load_u16 v177, v[188:189], off
	s_wait_loadcnt 0x1
	v_cvt_f32_f16_e32 v17, v17
	s_wait_loadcnt 0x0
	v_cvt_f32_f16_e64 v185, v177
.LBB74_104:                             ;   in Loop: Header=BB74_5 Depth=1
	s_or_b32 exec_lo, exec_lo, s20
	s_and_saveexec_b32 s20, s2
	s_cbranch_execz .LBB74_106
; %bb.105:                              ;   in Loop: Header=BB74_5 Depth=1
	v_add_nc_u64_e32 v[186:187], v[112:113], v[38:39]
	v_add_nc_u64_e32 v[188:189], v[114:115], v[38:39]
	global_load_u16 v18, v[186:187], off
	global_load_u16 v177, v[188:189], off
	s_wait_loadcnt 0x1
	v_cvt_f32_f16_e32 v18, v18
	s_wait_loadcnt 0x0
	v_cvt_f32_f16_e64 v184, v177
.LBB74_106:                             ;   in Loop: Header=BB74_5 Depth=1
	s_or_b32 exec_lo, exec_lo, s20
	v_dual_mov_b32 v186, 0 :: v_dual_mov_b32 v187, 0
	s_and_saveexec_b32 s20, s2
	s_cbranch_execz .LBB74_108
; %bb.107:                              ;   in Loop: Header=BB74_5 Depth=1
	v_add_nc_u64_e32 v[188:189], v[108:109], v[38:39]
	v_add_nc_u64_e32 v[190:191], v[110:111], v[38:39]
	global_load_u16 v19, v[188:189], off
	global_load_u16 v177, v[190:191], off
	s_wait_loadcnt 0x1
	v_cvt_f32_f16_e32 v19, v19
	s_wait_loadcnt 0x0
	v_cvt_f32_f16_e64 v187, v177
.LBB74_108:                             ;   in Loop: Header=BB74_5 Depth=1
	;; [unrolled: 27-line block ×8, first 2 shown]
	s_or_b32 exec_lo, exec_lo, s20
	s_and_saveexec_b32 s20, s2
	s_cbranch_execz .LBB74_134
; %bb.133:                              ;   in Loop: Header=BB74_5 Depth=1
	v_add_nc_u64_e32 v[200:201], v[56:57], v[38:39]
	v_add_nc_u64_e32 v[202:203], v[58:59], v[38:39]
	global_load_u16 v32, v[200:201], off
	global_load_u16 v177, v[202:203], off
	s_wait_loadcnt 0x1
	v_cvt_f32_f16_e32 v32, v32
	s_wait_loadcnt 0x0
	v_cvt_f32_f16_e64 v198, v177
.LBB74_134:                             ;   in Loop: Header=BB74_5 Depth=1
	s_or_b32 exec_lo, exec_lo, s20
	v_dual_mov_b32 v200, 0 :: v_dual_mov_b32 v201, 0
	s_and_saveexec_b32 s20, s2
	s_cbranch_execnz .LBB74_137
; %bb.135:                              ;   in Loop: Header=BB74_5 Depth=1
	s_or_b32 exec_lo, exec_lo, s20
	s_and_saveexec_b32 s20, s2
	s_cbranch_execnz .LBB74_138
.LBB74_136:                             ;   in Loop: Header=BB74_5 Depth=1
	s_or_b32 exec_lo, exec_lo, s20
	v_mov_b32_e32 v177, 0
	s_and_saveexec_b32 s20, s2
	s_cbranch_execz .LBB74_3
	s_branch .LBB74_139
.LBB74_137:                             ;   in Loop: Header=BB74_5 Depth=1
	v_add_nc_u64_e32 v[202:203], v[52:53], v[38:39]
	v_add_nc_u64_e32 v[204:205], v[54:55], v[38:39]
	global_load_u16 v33, v[202:203], off
	global_load_u16 v177, v[204:205], off
	s_wait_loadcnt 0x1
	v_cvt_f32_f16_e32 v33, v33
	s_wait_loadcnt 0x0
	v_cvt_f32_f16_e64 v201, v177
	s_or_b32 exec_lo, exec_lo, s20
	s_and_saveexec_b32 s20, s2
	s_cbranch_execz .LBB74_136
.LBB74_138:                             ;   in Loop: Header=BB74_5 Depth=1
	v_add_nc_u64_e32 v[202:203], v[48:49], v[38:39]
	v_add_nc_u64_e32 v[204:205], v[50:51], v[38:39]
	global_load_u16 v34, v[202:203], off
	global_load_u16 v177, v[204:205], off
	s_wait_loadcnt 0x1
	v_cvt_f32_f16_e32 v34, v34
	s_wait_loadcnt 0x0
	v_cvt_f32_f16_e64 v200, v177
	s_or_b32 exec_lo, exec_lo, s20
	v_mov_b32_e32 v177, 0
	s_and_saveexec_b32 s20, s2
	s_cbranch_execz .LBB74_3
.LBB74_139:                             ;   in Loop: Header=BB74_5 Depth=1
	v_add_nc_u64_e32 v[202:203], v[44:45], v[38:39]
	v_add_nc_u64_e32 v[204:205], v[46:47], v[38:39]
	global_load_u16 v35, v[202:203], off
	global_load_u16 v177, v[204:205], off
	s_wait_loadcnt 0x1
	v_cvt_f32_f16_e32 v35, v35
	s_wait_loadcnt 0x0
	v_cvt_f32_f16_e64 v177, v177
	s_branch .LBB74_3
.LBB74_140:
                                        ; implicit-def: $vgpr292_vgpr293
	s_branch .LBB74_143
.LBB74_141:
	s_set_vgpr_msb 64                       ;  msbs: dst=1 src0=0 src1=0 src2=0
	v_mov_b64_e32 v[36:37] /*v[292:293]*/, 0
.LBB74_142:
	s_set_vgpr_msb 0                        ;  msbs: dst=0 src0=0 src1=0 src2=0
	s_cbranch_execnz .LBB74_219
.LBB74_143:
	s_and_not1_b32 vcc_lo, exec_lo, s17
	s_cbranch_vccnz .LBB74_218
; %bb.144:
	v_bfe_u32 v1, v0, 10, 10
	v_mov_b32_e32 v2, 0
	s_set_vgpr_msb 64                       ;  msbs: dst=1 src0=0 src1=0 src2=0
	v_and_b32_e32 v42 /*v298*/, 0x3ff, v0
	s_load_b32 s2, s[0:1], 0x44
	s_add_nc_u64 s[20:21], s[0:1], 64
	s_set_vgpr_msb 0                        ;  msbs: dst=0 src0=0 src1=0 src2=0
	v_dual_mov_b32 v5, v2 :: v_dual_lshlrev_b32 v4, 6, v1
	v_dual_mov_b32 v145, v2 :: v_dual_lshlrev_b32 v144, 5, v1
	s_set_vgpr_msb 64                       ;  msbs: dst=1 src0=0 src1=0 src2=0
	v_dual_mov_b32 v38 /*v294*/, 0 :: v_dual_mov_b32 v39 /*v295*/, v2
	s_set_vgpr_msb 0                        ;  msbs: dst=0 src0=0 src1=0 src2=0
	v_lshl_add_u64 v[4:5], s[18:19], 1, v[4:5]
	s_delay_alu instid0(VALU_DEP_1)
	v_add_nc_u64_e32 v[6:7], 2, v[4:5]
	v_add_nc_u64_e32 v[8:9], 4, v[4:5]
	;; [unrolled: 1-line block ×7, first 2 shown]
	v_mad_nc_u64_u32 v[36:37], s6, v6, s[8:9]
	v_mul_lo_u32 v3, s6, v7
	v_mul_lo_u32 v7, s7, v6
	v_mad_nc_u64_u32 v[38:39], s6, v6, s[10:11]
	v_mad_nc_u64_u32 v[40:41], s6, v8, s[8:9]
	v_mul_lo_u32 v6, s6, v9
	v_mul_lo_u32 v9, s7, v8
	v_mad_nc_u64_u32 v[44:45], s6, v8, s[10:11]
	v_mad_nc_u64_u32 v[42:43], s6, v10, s[8:9]
	v_mul_lo_u32 v8, s6, v11
	v_mul_lo_u32 v11, s7, v10
	v_mad_nc_u64_u32 v[46:47], s6, v10, s[10:11]
	v_mad_nc_u64_u32 v[48:49], s6, v12, s[8:9]
	v_mul_lo_u32 v10, s6, v13
	v_mul_lo_u32 v13, s7, v12
	v_mad_nc_u64_u32 v[50:51], s6, v12, s[10:11]
	v_mad_nc_u64_u32 v[52:53], s6, v14, s[8:9]
	v_mul_lo_u32 v12, s6, v15
	v_add3_u32 v37, v7, v37, v3
	v_add3_u32 v39, v7, v39, v3
	v_mul_lo_u32 v3, s7, v14
	v_mad_nc_u64_u32 v[54:55], s6, v14, s[10:11]
	v_add3_u32 v41, v9, v41, v6
	v_add3_u32 v45, v9, v45, v6
	v_add_nc_u64_e32 v[6:7], 16, v[4:5]
	v_mul_lo_u32 v14, s7, v16
	v_mad_nc_u64_u32 v[56:57], s6, v16, s[8:9]
	v_mad_nc_u64_u32 v[58:59], s6, v16, s[10:11]
	v_mul_lo_u32 v15, s6, v19
	v_mul_lo_u32 v16, s7, v18
	v_mad_nc_u64_u32 v[60:61], s6, v18, s[8:9]
	v_mad_nc_u64_u32 v[62:63], s6, v18, s[10:11]
	v_add3_u32 v43, v11, v43, v8
	v_add3_u32 v47, v11, v47, v8
	;; [unrolled: 1-line block ×6, first 2 shown]
	v_mul_lo_u32 v3, s6, v7
	v_mul_lo_u32 v12, s7, v6
	v_mad_nc_u64_u32 v[64:65], s6, v6, s[8:9]
	v_add_nc_u64_e32 v[10:11], 20, v[4:5]
	v_mad_nc_u64_u32 v[66:67], s6, v6, s[10:11]
	v_add_nc_u64_e32 v[6:7], 22, v[4:5]
	v_add3_u32 v61, v16, v61, v15
	v_add3_u32 v63, v16, v63, v15
	v_mul_lo_u32 v9, s6, v17
	s_wait_kmcnt 0x0
	s_lshl_b32 s22, s2, 5
	v_mul_lo_u32 v11, s6, v11
	v_mul_lo_u32 v15, s7, v10
	v_mad_nc_u64_u32 v[72:73], s6, v10, s[8:9]
	v_mad_nc_u64_u32 v[74:75], s6, v10, s[10:11]
	v_mul_lo_u32 v10, s6, v7
	v_mul_lo_u32 v16, s7, v6
	v_mad_nc_u64_u32 v[76:77], s6, v6, s[8:9]
	v_mad_nc_u64_u32 v[78:79], s6, v6, s[10:11]
	v_add_nc_u64_e32 v[6:7], 26, v[4:5]
	v_add3_u32 v65, v12, v65, v3
	v_add3_u32 v67, v12, v67, v3
	;; [unrolled: 1-line block ×6, first 2 shown]
	v_mul_lo_u32 v3, s6, v7
	v_mul_lo_u32 v12, s7, v6
	v_add3_u32 v77, v16, v77, v10
	v_add3_u32 v79, v16, v79, v10
	v_mad_nc_u64_u32 v[84:85], s6, v6, s[8:9]
	v_add_nc_u64_e32 v[10:11], 30, v[4:5]
	v_mad_nc_u64_u32 v[86:87], s6, v6, s[10:11]
	v_add_nc_u64_e32 v[6:7], 32, v[4:5]
	v_add_nc_u64_e32 v[8:9], 18, v[4:5]
	s_delay_alu instid0(VALU_DEP_4)
	v_mul_lo_u32 v11, s6, v11
	v_mul_lo_u32 v15, s7, v10
	v_mad_nc_u64_u32 v[92:93], s6, v10, s[8:9]
	v_mad_nc_u64_u32 v[94:95], s6, v10, s[10:11]
	v_mul_lo_u32 v10, s6, v7
	v_mul_lo_u32 v16, s7, v6
	v_mad_nc_u64_u32 v[96:97], s6, v6, s[8:9]
	v_mad_nc_u64_u32 v[98:99], s6, v6, s[10:11]
	v_add_nc_u64_e32 v[6:7], 36, v[4:5]
	v_add3_u32 v85, v12, v85, v3
	v_add3_u32 v87, v12, v87, v3
	v_mul_lo_u32 v13, s6, v9
	v_mul_lo_u32 v14, s7, v8
	v_add3_u32 v93, v15, v93, v11
	v_add3_u32 v95, v15, v95, v11
	v_mul_lo_u32 v3, s6, v7
	v_mul_lo_u32 v12, s7, v6
	v_add3_u32 v97, v16, v97, v10
	v_add3_u32 v99, v16, v99, v10
	v_mad_nc_u64_u32 v[104:105], s6, v6, s[8:9]
	v_add_nc_u64_e32 v[10:11], 40, v[4:5]
	v_mad_nc_u64_u32 v[106:107], s6, v6, s[10:11]
	v_add_nc_u64_e32 v[6:7], 42, v[4:5]
	v_mad_nc_u64_u32 v[68:69], s6, v8, s[8:9]
	v_mad_nc_u64_u32 v[70:71], s6, v8, s[10:11]
	v_add_nc_u64_e32 v[8:9], 24, v[4:5]
	v_mul_lo_u32 v11, s6, v11
	v_mul_lo_u32 v15, s7, v10
	v_mad_nc_u64_u32 v[112:113], s6, v10, s[8:9]
	v_mad_nc_u64_u32 v[114:115], s6, v10, s[10:11]
	v_mul_lo_u32 v10, s6, v7
	v_mul_lo_u32 v16, s7, v6
	v_mad_nc_u64_u32 v[116:117], s6, v6, s[8:9]
	v_mad_nc_u64_u32 v[118:119], s6, v6, s[10:11]
	;; [unrolled: 4-line block ×3, first 2 shown]
	v_add_nc_u64_e32 v[8:9], 28, v[4:5]
	v_add_nc_u64_e32 v[6:7], 46, v[4:5]
	v_add3_u32 v69, v14, v69, v13
	v_add3_u32 v71, v14, v71, v13
	v_add3_u32 v105, v12, v105, v3
	v_add3_u32 v107, v12, v107, v3
	v_add3_u32 v113, v15, v113, v11
	v_mul_lo_u32 v13, s6, v9
	v_mul_lo_u32 v14, s7, v8
	v_mad_nc_u64_u32 v[88:89], s6, v8, s[8:9]
	v_mad_nc_u64_u32 v[90:91], s6, v8, s[10:11]
	v_add_nc_u64_e32 v[8:9], 34, v[4:5]
	v_add3_u32 v115, v15, v115, v11
	v_add3_u32 v117, v16, v117, v10
	v_add3_u32 v119, v16, v119, v10
	v_mul_lo_u32 v3, s6, v7
	v_mul_lo_u32 v12, s7, v6
	v_mad_nc_u64_u32 v[124:125], s6, v6, s[8:9]
	v_add_nc_u64_e32 v[10:11], 50, v[4:5]
	v_mad_nc_u64_u32 v[126:127], s6, v6, s[10:11]
	v_add_nc_u64_e32 v[6:7], 52, v[4:5]
	v_add3_u32 v81, v18, v81, v17
	v_add3_u32 v83, v18, v83, v17
	v_mul_lo_u32 v17, s6, v9
	v_mul_lo_u32 v18, s7, v8
	v_mad_nc_u64_u32 v[100:101], s6, v8, s[8:9]
	v_mad_nc_u64_u32 v[102:103], s6, v8, s[10:11]
	v_add_nc_u64_e32 v[8:9], 38, v[4:5]
	v_mul_lo_u32 v15, s7, v10
	v_mad_nc_u64_u32 v[132:133], s6, v10, s[8:9]
	v_mad_nc_u64_u32 v[134:135], s6, v10, s[10:11]
	v_mul_lo_u32 v10, s6, v7
	v_mul_lo_u32 v16, s7, v6
	v_mad_nc_u64_u32 v[136:137], s6, v6, s[8:9]
	v_mad_nc_u64_u32 v[138:139], s6, v6, s[10:11]
	v_add3_u32 v89, v14, v89, v13
	v_add3_u32 v91, v14, v91, v13
	v_mul_lo_u32 v13, s6, v9
	v_mul_lo_u32 v14, s7, v8
	v_mad_nc_u64_u32 v[108:109], s6, v8, s[8:9]
	v_mad_nc_u64_u32 v[110:111], s6, v8, s[10:11]
	v_add_nc_u64_e32 v[8:9], 44, v[4:5]
	v_add_nc_u64_e32 v[6:7], 56, v[4:5]
	v_add3_u32 v101, v18, v101, v17
	v_add3_u32 v103, v18, v103, v17
	;; [unrolled: 1-line block ×5, first 2 shown]
	v_mul_lo_u32 v17, s6, v9
	v_mul_lo_u32 v18, s7, v8
	v_mad_nc_u64_u32 v[120:121], s6, v8, s[8:9]
	v_mad_nc_u64_u32 v[122:123], s6, v8, s[10:11]
	v_add_nc_u64_e32 v[8:9], 48, v[4:5]
	v_add3_u32 v139, v16, v139, v10
	v_mul_lo_u32 v3, s6, v7
	v_mul_lo_u32 v16, s7, v6
	v_mad_nc_u64_u32 v[146:147], s6, v6, s[8:9]
	v_mad_nc_u64_u32 v[148:149], s6, v6, s[10:11]
	v_add3_u32 v109, v14, v109, v13
	v_add3_u32 v111, v14, v111, v13
	v_mul_lo_u32 v13, s6, v9
	v_mul_lo_u32 v14, s7, v8
	v_mad_nc_u64_u32 v[128:129], s6, v8, s[8:9]
	v_mad_nc_u64_u32 v[130:131], s6, v8, s[10:11]
	v_mul_lo_u32 v11, s6, v11
	v_add_nc_u64_e32 v[8:9], 54, v[4:5]
	v_add3_u32 v121, v18, v121, v17
	v_add3_u32 v147, v16, v147, v3
	;; [unrolled: 1-line block ×3, first 2 shown]
	s_set_vgpr_msb 4                        ;  msbs: dst=0 src0=0 src1=1 src2=0
	v_add_nc_u32_e32 v16, s3, v42 /*v298*/
	s_set_vgpr_msb 0                        ;  msbs: dst=0 src0=0 src1=0 src2=0
	v_add_nc_u64_e32 v[6:7], s[18:19], v[144:145]
	v_add3_u32 v123, v18, v123, v17
	v_mul_lo_u32 v17, s6, v9
	v_mul_lo_u32 v18, s7, v8
	v_mad_nc_u64_u32 v[140:141], s6, v8, s[8:9]
	v_mad_nc_u64_u32 v[142:143], s6, v8, s[10:11]
	v_add_nc_u64_e32 v[8:9], 58, v[4:5]
	v_add3_u32 v129, v14, v129, v13
	v_add3_u32 v131, v14, v131, v13
	;; [unrolled: 1-line block ×4, first 2 shown]
	v_mul_u64_e32 v[14:15], s[6:7], v[6:7]
	v_add_nc_u64_e32 v[10:11], 60, v[4:5]
	v_mul_lo_u32 v19, s6, v9
	v_mul_lo_u32 v20, s7, v8
	v_mad_nc_u64_u32 v[150:151], s6, v8, s[8:9]
	v_mad_nc_u64_u32 v[152:153], s6, v8, s[10:11]
	v_add_nc_u64_e32 v[8:9], 31, v[6:7]
	v_add_nc_u64_e32 v[4:5], 62, v[4:5]
	v_mul_lo_u32 v21, s6, v11
	v_mul_lo_u32 v22, s7, v10
	v_add_nc_u64_e32 v[12:13], 30, v[6:7]
	v_mad_nc_u64_u32 v[154:155], s6, v10, s[8:9]
	v_mad_nc_u64_u32 v[156:157], s6, v10, s[10:11]
	v_mul_u64_e32 v[8:9], s[6:7], v[8:9]
	v_add_nc_u64_e32 v[10:11], 29, v[6:7]
	v_mul_lo_u32 v23, s6, v5
	v_mul_lo_u32 v24, s7, v4
	v_mul_u64_e32 v[12:13], s[6:7], v[12:13]
	v_mad_nc_u64_u32 v[158:159], s6, v4, s[8:9]
	v_mad_nc_u64_u32 v[160:161], s6, v4, s[10:11]
	v_add3_u32 v141, v18, v141, v17
	v_mul_u64_e32 v[4:5], s[6:7], v[10:11]
	v_add_nc_u64_e32 v[10:11], 28, v[6:7]
	v_add3_u32 v143, v18, v143, v17
	v_mov_b32_e32 v17, v2
	v_add3_u32 v151, v20, v151, v19
	v_add3_u32 v153, v20, v153, v19
	v_add_nc_u64_e32 v[18:19], 27, v[6:7]
	v_add3_u32 v155, v22, v155, v21
	v_mul_u64_e32 v[10:11], s[6:7], v[10:11]
	v_lshlrev_b64_e32 v[162:163], 1, v[16:17]
	v_add_nc_u64_e32 v[16:17], 26, v[6:7]
	v_add3_u32 v157, v22, v157, v21
	v_add3_u32 v159, v24, v159, v23
	;; [unrolled: 1-line block ×3, first 2 shown]
	v_mul_u64_e32 v[18:19], s[6:7], v[18:19]
	v_add_nc_u64_e32 v[22:23], 24, v[6:7]
	v_lshlrev_b64_e32 v[24:25], 1, v[14:15]
	v_mul_u64_e32 v[16:17], s[6:7], v[16:17]
	v_add_nc_u64_e32 v[26:27], 23, v[6:7]
	v_add_nc_u64_e32 v[20:21], 25, v[6:7]
	;; [unrolled: 1-line block ×4, first 2 shown]
	v_mul_u64_e32 v[22:23], s[6:7], v[22:23]
	v_add_nc_u64_e32 v[164:165], s[8:9], v[24:25]
	v_add_nc_u64_e32 v[166:167], s[10:11], v[24:25]
	v_mul_u64_e32 v[24:25], s[6:7], v[26:27]
	v_lshlrev_b64_e32 v[8:9], 1, v[8:9]
	v_mul_u64_e32 v[20:21], s[6:7], v[20:21]
	v_add_nc_u64_e32 v[26:27], 20, v[6:7]
	v_lshlrev_b64_e32 v[12:13], 1, v[12:13]
	v_add_nc_u64_e32 v[30:31], 21, v[6:7]
	v_mul_u64_e32 v[28:29], s[6:7], v[28:29]
	v_add_nc_u64_e32 v[34:35], 18, v[6:7]
	v_add_nc_u64_e32 v[168:169], s[8:9], v[8:9]
	;; [unrolled: 1-line block ×3, first 2 shown]
	v_mul_u64_e32 v[26:27], s[6:7], v[26:27]
	v_add_nc_u64_e32 v[170:171], s[10:11], v[8:9]
	v_mul_u64_e32 v[8:9], s[6:7], v[32:33]
	v_lshlrev_b64_e32 v[4:5], 1, v[4:5]
	v_mul_u64_e32 v[30:31], s[6:7], v[30:31]
	v_lshlrev_b64_e32 v[10:11], 1, v[10:11]
	v_add_nc_u64_e32 v[172:173], s[8:9], v[12:13]
	v_mul_u64_e32 v[32:33], s[6:7], v[34:35]
	v_add_nc_u64_e32 v[174:175], s[10:11], v[12:13]
	v_mul_u64_e32 v[12:13], s[6:7], v[178:179]
	v_add_nc_u64_e32 v[176:177], s[8:9], v[4:5]
	v_add_nc_u64_e32 v[178:179], s[10:11], v[4:5]
	;; [unrolled: 1-line block ×3, first 2 shown]
	v_lshlrev_b64_e32 v[18:19], 1, v[18:19]
	v_add_nc_u64_e32 v[180:181], s[8:9], v[10:11]
	v_add_nc_u64_e32 v[182:183], s[10:11], v[10:11]
	v_lshlrev_b64_e32 v[10:11], 1, v[16:17]
	v_add_nc_u64_e32 v[34:35], 15, v[6:7]
	s_mov_b32 s3, 0
	v_mul_u64_e32 v[4:5], s[6:7], v[4:5]
	v_add_nc_u64_e32 v[184:185], s[8:9], v[18:19]
	v_add_nc_u64_e32 v[186:187], s[10:11], v[18:19]
	v_lshlrev_b64_e32 v[18:19], 1, v[22:23]
	v_add_nc_u64_e32 v[188:189], s[8:9], v[10:11]
	v_add_nc_u64_e32 v[190:191], s[10:11], v[10:11]
	v_lshlrev_b64_e32 v[10:11], 1, v[24:25]
	;; [unrolled: 3-line block ×3, first 2 shown]
	v_add_nc_u64_e32 v[196:197], s[8:9], v[18:19]
	v_add_nc_u64_e32 v[198:199], s[10:11], v[18:19]
	v_mul_u64_e32 v[20:21], s[6:7], v[34:35]
	v_add_nc_u64_e32 v[200:201], s[8:9], v[10:11]
	v_mul_u64_e32 v[22:23], s[6:7], v[22:23]
	v_mul_u64_e32 v[24:25], s[6:7], v[24:25]
	v_add_nc_u64_e32 v[192:193], s[8:9], v[16:17]
	v_add_nc_u64_e32 v[194:195], s[10:11], v[16:17]
	v_lshlrev_b64_e32 v[16:17], 1, v[28:29]
	v_add_nc_u64_e32 v[202:203], s[10:11], v[10:11]
	v_lshlrev_b64_e32 v[10:11], 1, v[26:27]
	v_lshlrev_b64_e32 v[8:9], 1, v[8:9]
	v_add_nc_u64_e32 v[26:27], 11, v[6:7]
	v_lshlrev_b64_e32 v[18:19], 1, v[30:31]
	v_lshlrev_b64_e32 v[12:13], 1, v[12:13]
	v_add_nc_u64_e32 v[204:205], s[8:9], v[16:17]
	v_add_nc_u64_e32 v[206:207], s[10:11], v[16:17]
	v_lshlrev_b64_e32 v[16:17], 1, v[32:33]
	v_add_nc_u64_e32 v[212:213], s[8:9], v[10:11]
	v_add_nc_u64_e32 v[214:215], s[10:11], v[10:11]
	v_add_nc_u64_e32 v[216:217], s[8:9], v[8:9]
	v_add_nc_u64_e32 v[10:11], 10, v[6:7]
	v_mul_u64_e32 v[26:27], s[6:7], v[26:27]
	v_add_nc_u64_e32 v[28:29], 9, v[6:7]
	v_add_nc_u64_e32 v[30:31], 8, v[6:7]
	;; [unrolled: 1-line block ×5, first 2 shown]
	v_mul_u64_e32 v[10:11], s[6:7], v[10:11]
	v_add_nc_u64_e32 v[222:223], s[10:11], v[16:17]
	v_mul_u64_e32 v[16:17], s[6:7], v[28:29]
	v_mul_u64_e32 v[28:29], s[6:7], v[30:31]
	v_add_nc_u64_e32 v[30:31], 6, v[6:7]
	v_mul_u64_e32 v[8:9], s[6:7], v[8:9]
	v_add_nc_u64_e32 v[32:33], 5, v[6:7]
	v_add_nc_u64_e32 v[224:225], s[8:9], v[12:13]
	;; [unrolled: 1-line block ×7, first 2 shown]
	v_lshlrev_b64_e32 v[4:5], 1, v[4:5]
	v_mul_u64_e32 v[30:31], s[6:7], v[30:31]
	v_mul_u64_e32 v[32:33], s[6:7], v[32:33]
	v_add_nc_u64_e32 v[34:35], 3, v[6:7]
	v_add_nc_u64_e32 v[6:7], 2, v[6:7]
	v_mul_u64_e32 v[12:13], s[6:7], v[12:13]
	v_mul_u64_e32 v[18:19], s[6:7], v[18:19]
	v_add_nc_u64_e32 v[228:229], s[8:9], v[4:5]
	v_add_nc_u64_e32 v[230:231], s[10:11], v[4:5]
	v_lshlrev_b64_e32 v[4:5], 1, v[22:23]
	v_lshlrev_b64_e32 v[22:23], 1, v[24:25]
	v_mul_u64_e32 v[24:25], s[6:7], v[34:35]
	v_mul_u64_e32 v[6:7], s[6:7], v[6:7]
	v_lshlrev_b64_e32 v[20:21], 1, v[20:21]
	s_mov_b32 s23, s3
	v_add_nc_u64_e32 v[236:237], s[8:9], v[4:5]
	v_add_nc_u64_e32 v[238:239], s[10:11], v[4:5]
	v_lshlrev_b64_e32 v[4:5], 1, v[26:27]
	v_lshlrev_b64_e32 v[10:11], 1, v[10:11]
	v_add_nc_u64_e32 v[232:233], s[8:9], v[20:21]
	v_lshlrev_b64_e32 v[16:17], 1, v[16:17]
	v_add_nc_u64_e32 v[234:235], s[10:11], v[20:21]
	v_add_nc_u64_e32 v[240:241], s[8:9], v[22:23]
	v_lshlrev_b64_e32 v[8:9], 1, v[8:9]
	v_add_nc_u64_e32 v[248:249], s[8:9], v[4:5]
	v_add_nc_u64_e32 v[250:251], s[10:11], v[4:5]
	v_lshlrev_b64_e32 v[4:5], 1, v[28:29]
	v_add_nc_u64_e32 v[252:253], s[8:9], v[10:11]
	v_add_nc_u64_e32 v[254:255], s[10:11], v[10:11]
	v_add_nc_u64_e32 v[242:243], s[10:11], v[22:23]
	s_set_vgpr_msb 64                       ;  msbs: dst=1 src0=0 src1=0 src2=0
	v_add_nc_u64_e32 v[8:9] /*v[264:265]*/, s[8:9], v[8:9]
	v_add_nc_u64_e32 v[10:11] /*v[266:267]*/, s[10:11], v[8:9]
	s_set_vgpr_msb 0                        ;  msbs: dst=0 src0=0 src1=0 src2=0
	v_lshlrev_b64_e32 v[10:11], 1, v[30:31]
	s_set_vgpr_msb 64                       ;  msbs: dst=1 src0=0 src1=0 src2=0
	v_add_nc_u64_e32 v[4:5] /*v[260:261]*/, s[8:9], v[4:5]
	v_add_nc_u64_e32 v[6:7] /*v[262:263]*/, s[10:11], v[4:5]
	s_set_vgpr_msb 0                        ;  msbs: dst=0 src0=0 src1=0 src2=0
	v_lshlrev_b64_e32 v[4:5], 1, v[32:33]
	v_lshlrev_b64_e32 v[8:9], 1, v[12:13]
	v_add_nc_u64_e32 v[12:13], s[6:7], v[14:15]
	v_lshlrev_b64_e32 v[18:19], 1, v[18:19]
	s_set_vgpr_msb 64                       ;  msbs: dst=1 src0=0 src1=0 src2=0
	v_add_nc_u64_e32 v[12:13] /*v[268:269]*/, s[8:9], v[10:11]
	v_add_nc_u64_e32 v[14:15] /*v[270:271]*/, s[10:11], v[10:11]
	;; [unrolled: 1-line block ×3, first 2 shown]
	s_set_vgpr_msb 0                        ;  msbs: dst=0 src0=0 src1=0 src2=0
	v_lshlrev_b64_e32 v[10:11], 1, v[24:25]
	v_lshlrev_b64_e32 v[6:7], 1, v[6:7]
	s_set_vgpr_msb 64                       ;  msbs: dst=1 src0=0 src1=0 src2=0
	v_add_nc_u64_e32 v[16:17] /*v[272:273]*/, s[8:9], v[4:5]
	v_add_nc_u64_e32 v[18:19] /*v[274:275]*/, s[10:11], v[4:5]
	s_set_vgpr_msb 0                        ;  msbs: dst=0 src0=0 src1=0 src2=0
	v_lshlrev_b64_e32 v[4:5], 1, v[12:13]
	v_add_nc_u64_e32 v[244:245], s[8:9], v[18:19]
	v_add_nc_u64_e32 v[246:247], s[10:11], v[18:19]
	s_set_vgpr_msb 64                       ;  msbs: dst=1 src0=0 src1=0 src2=0
	v_add_nc_u64_e32 v[2:3] /*v[258:259]*/, s[10:11], v[16:17]
	v_add_nc_u64_e32 v[20:21] /*v[276:277]*/, s[8:9], v[8:9]
	;; [unrolled: 1-line block ×9, first 2 shown]
	s_mul_u64 s[24:25], s[6:7], s[22:23]
	s_mov_b64 s[10:11], 31
	s_lshl_b64 s[8:9], s[24:25], 1
	s_mov_b64 s[24:25], s[18:19]
	s_set_vgpr_msb 0                        ;  msbs: dst=0 src0=0 src1=0 src2=0
	s_branch .LBB74_147
.LBB74_145:                             ;   in Loop: Header=BB74_147 Depth=1
	s_wait_xcnt 0x0
	s_or_b32 exec_lo, exec_lo, s2
	v_add_nc_u64_e32 v[4:5], v[164:165], v[162:163]
	v_add_nc_u64_e32 v[8:9], v[166:167], v[162:163]
	;; [unrolled: 1-line block ×7, first 2 shown]
	global_load_u16 v4, v[4:5], off
	global_load_u16 v5, v[8:9], off
	s_wait_xcnt 0x0
	v_add_nc_u64_e32 v[8:9], v[36:37], v[162:163]
	v_add_nc_u64_e32 v[20:21], v[58:59], v[162:163]
	;; [unrolled: 1-line block ×7, first 2 shown]
	global_load_u16 v7, v[8:9], off
	v_add_nc_u64_e32 v[32:33], v[82:83], v[162:163]
	v_add_nc_u64_e32 v[34:35], v[86:87], v[162:163]
	s_set_vgpr_msb 64                       ;  msbs: dst=1 src0=0 src1=0 src2=0
	v_add_nc_u64_e32 v[36:37] /*v[292:293]*/, v[90:91], v[162:163]
	v_add_nc_u64_e32 v[40:41] /*v[296:297]*/, v[94:95], v[162:163]
	;; [unrolled: 1-line block ×18, first 2 shown]
	s_wait_loadcnt 0x2
	s_set_vgpr_msb 0                        ;  msbs: dst=0 src0=0 src1=0 src2=0
	v_cvt_f32_f16_e32 v4, v4
	s_wait_loadcnt 0x1
	v_cvt_f32_f16_e32 v5, v5
	s_wait_loadcnt 0x0
	v_cvt_f32_f16_e32 v8, v7
	global_load_u16 v7, v[10:11], off
	s_wait_xcnt 0x0
	v_add_nc_u64_e32 v[10:11], v[40:41], v[162:163]
	global_load_u16 v9, v[10:11], off
	s_wait_loadcnt 0x1
	v_cvt_f32_f16_e32 v7, v7
	s_wait_loadcnt 0x0
	v_cvt_f32_f16_e32 v10, v9
	global_load_u16 v9, v[12:13], off
	s_wait_xcnt 0x0
	v_add_nc_u64_e32 v[12:13], v[42:43], v[162:163]
	s_wait_loadcnt 0x0
	v_cvt_f32_f16_e32 v11, v9
	global_load_u16 v9, v[12:13], off
	s_wait_loadcnt 0x0
	v_cvt_f32_f16_e32 v12, v9
	global_load_u16 v9, v[14:15], off
	s_wait_xcnt 0x0
	v_add_nc_u64_e32 v[14:15], v[48:49], v[162:163]
	s_wait_loadcnt 0x0
	v_cvt_f32_f16_e32 v13, v9
	global_load_u16 v9, v[14:15], off
	s_wait_loadcnt 0x0
	v_cvt_f32_f16_e32 v14, v9
	global_load_u16 v9, v[16:17], off
	s_wait_xcnt 0x0
	v_add_nc_u64_e32 v[16:17], v[52:53], v[162:163]
	s_wait_loadcnt 0x0
	v_cvt_f32_f16_e32 v15, v9
	global_load_u16 v9, v[16:17], off
	s_wait_loadcnt 0x0
	v_cvt_f32_f16_e32 v16, v9
	global_load_u16 v9, v[18:19], off
	s_wait_xcnt 0x0
	v_add_nc_u64_e32 v[18:19], v[56:57], v[162:163]
	s_wait_loadcnt 0x0
	v_cvt_f32_f16_e32 v17, v9
	global_load_u16 v9, v[18:19], off
	s_wait_loadcnt 0x0
	v_cvt_f32_f16_e32 v18, v9
	global_load_u16 v9, v[20:21], off
	s_wait_xcnt 0x0
	v_add_nc_u64_e32 v[20:21], v[60:61], v[162:163]
	s_wait_loadcnt 0x0
	v_cvt_f32_f16_e32 v19, v9
	global_load_u16 v9, v[20:21], off
	s_wait_loadcnt 0x0
	v_cvt_f32_f16_e32 v20, v9
	global_load_u16 v9, v[22:23], off
	s_wait_xcnt 0x0
	v_add_nc_u64_e32 v[22:23], v[64:65], v[162:163]
	s_wait_loadcnt 0x0
	v_cvt_f32_f16_e32 v21, v9
	global_load_u16 v9, v[22:23], off
	s_wait_loadcnt 0x0
	v_cvt_f32_f16_e32 v22, v9
	global_load_u16 v9, v[24:25], off
	s_wait_xcnt 0x0
	v_add_nc_u64_e32 v[24:25], v[68:69], v[162:163]
	s_wait_loadcnt 0x0
	v_cvt_f32_f16_e32 v23, v9
	global_load_u16 v9, v[24:25], off
	s_wait_loadcnt 0x0
	v_cvt_f32_f16_e32 v24, v9
	global_load_u16 v9, v[26:27], off
	s_wait_xcnt 0x0
	v_add_nc_u64_e32 v[26:27], v[72:73], v[162:163]
	s_wait_loadcnt 0x0
	v_cvt_f32_f16_e32 v25, v9
	global_load_u16 v9, v[26:27], off
	s_wait_loadcnt 0x0
	v_cvt_f32_f16_e32 v26, v9
	global_load_u16 v9, v[28:29], off
	s_wait_xcnt 0x0
	v_add_nc_u64_e32 v[28:29], v[76:77], v[162:163]
	s_wait_loadcnt 0x0
	v_cvt_f32_f16_e32 v27, v9
	global_load_u16 v9, v[28:29], off
	s_wait_loadcnt 0x0
	v_cvt_f32_f16_e32 v28, v9
	global_load_u16 v9, v[30:31], off
	s_wait_xcnt 0x0
	v_add_nc_u64_e32 v[30:31], v[80:81], v[162:163]
	s_wait_loadcnt 0x0
	v_cvt_f32_f16_e32 v29, v9
	global_load_u16 v9, v[30:31], off
	s_wait_loadcnt 0x0
	v_cvt_f32_f16_e32 v30, v9
	global_load_u16 v9, v[32:33], off
	s_wait_xcnt 0x0
	v_add_nc_u64_e32 v[32:33], v[84:85], v[162:163]
	s_wait_loadcnt 0x0
	v_cvt_f32_f16_e32 v31, v9
	global_load_u16 v9, v[32:33], off
	s_wait_loadcnt 0x0
	v_cvt_f32_f16_e32 v32, v9
	global_load_u16 v9, v[34:35], off
	s_wait_xcnt 0x0
	v_add_nc_u64_e32 v[34:35], v[88:89], v[162:163]
	s_wait_loadcnt 0x0
	v_cvt_f32_f16_e32 v33, v9
	global_load_u16 v9, v[34:35], off
	s_wait_loadcnt 0x0
	v_cvt_f32_f16_e32 v34, v9
	s_set_vgpr_msb 1                        ;  msbs: dst=0 src0=1 src1=0 src2=0
	global_load_u16 v9, v[36:37] /*v[292:293]*/, off
	s_wait_xcnt 0x0
	s_set_vgpr_msb 64                       ;  msbs: dst=1 src0=0 src1=0 src2=0
	v_add_nc_u64_e32 v[36:37] /*v[292:293]*/, v[92:93], v[162:163]
	s_wait_loadcnt 0x0
	s_set_vgpr_msb 0                        ;  msbs: dst=0 src0=0 src1=0 src2=0
	v_cvt_f32_f16_e32 v35, v9
	s_set_vgpr_msb 1                        ;  msbs: dst=0 src0=1 src1=0 src2=0
	global_load_u16 v9, v[36:37] /*v[292:293]*/, off
	s_wait_loadcnt 0x0
	s_set_vgpr_msb 64                       ;  msbs: dst=1 src0=0 src1=0 src2=0
	v_cvt_f32_f16_e64 v36 /*v292*/, v9
	s_set_vgpr_msb 1                        ;  msbs: dst=0 src0=1 src1=0 src2=0
	global_load_u16 v9, v[40:41] /*v[296:297]*/, off
	s_wait_xcnt 0x0
	s_set_vgpr_msb 64                       ;  msbs: dst=1 src0=0 src1=0 src2=0
	v_add_nc_u64_e32 v[40:41] /*v[296:297]*/, v[96:97], v[162:163]
	s_wait_loadcnt 0x0
	v_cvt_f32_f16_e64 v37 /*v293*/, v9
	s_set_vgpr_msb 1                        ;  msbs: dst=0 src0=1 src1=0 src2=0
	global_load_u16 v9, v[40:41] /*v[296:297]*/, off
	s_wait_loadcnt 0x0
	s_set_vgpr_msb 64                       ;  msbs: dst=1 src0=0 src1=0 src2=0
	v_cvt_f32_f16_e64 v40 /*v296*/, v9
	s_set_vgpr_msb 1                        ;  msbs: dst=0 src0=1 src1=0 src2=0
	global_load_u16 v9, v[44:45] /*v[300:301]*/, off
	s_wait_xcnt 0x0
	s_set_vgpr_msb 64                       ;  msbs: dst=1 src0=0 src1=0 src2=0
	v_add_nc_u64_e32 v[44:45] /*v[300:301]*/, v[100:101], v[162:163]
	s_wait_loadcnt 0x0
	v_cvt_f32_f16_e64 v41 /*v297*/, v9
	s_set_vgpr_msb 1                        ;  msbs: dst=0 src0=1 src1=0 src2=0
	global_load_u16 v9, v[44:45] /*v[300:301]*/, off
	s_wait_xcnt 0x0
	s_set_vgpr_msb 64                       ;  msbs: dst=1 src0=0 src1=0 src2=0
	ds_bpermute_b32 v45 /*v301*/, v2, v6
	s_wait_dscnt 0x0
	s_set_vgpr_msb 4                        ;  msbs: dst=0 src0=0 src1=1 src2=0
	v_sub_f32_e32 v5, v5, v45 /*v301*/
	s_set_vgpr_msb 64                       ;  msbs: dst=1 src0=0 src1=0 src2=0
	ds_bpermute_b32 v45 /*v301*/, v2, v6 offset:4
	s_wait_dscnt 0x0
	s_set_vgpr_msb 4                        ;  msbs: dst=0 src0=0 src1=1 src2=0
	v_sub_f32_e32 v7, v7, v45 /*v301*/
	s_set_vgpr_msb 64                       ;  msbs: dst=1 src0=0 src1=0 src2=0
	ds_bpermute_b32 v45 /*v301*/, v2, v6 offset:8
	s_set_vgpr_msb 0                        ;  msbs: dst=0 src0=0 src1=0 src2=0
	v_mul_f32_e32 v7, v7, v8
	v_mul_f32_e32 v5, v5, v4
	s_wait_dscnt 0x0
	s_set_vgpr_msb 4                        ;  msbs: dst=0 src0=0 src1=1 src2=0
	v_sub_f32_e32 v11, v11, v45 /*v301*/
	s_set_vgpr_msb 64                       ;  msbs: dst=1 src0=0 src1=0 src2=0
	ds_bpermute_b32 v45 /*v301*/, v2, v6 offset:12
	s_wait_dscnt 0x0
	s_set_vgpr_msb 4                        ;  msbs: dst=0 src0=0 src1=1 src2=0
	v_sub_f32_e32 v13, v13, v45 /*v301*/
	s_set_vgpr_msb 64                       ;  msbs: dst=1 src0=0 src1=0 src2=0
	ds_bpermute_b32 v45 /*v301*/, v2, v6 offset:16
	s_set_vgpr_msb 0                        ;  msbs: dst=0 src0=0 src1=0 src2=0
	v_dual_mul_f32 v11, v11, v10 :: v_dual_mul_f32 v13, v13, v12
	s_wait_dscnt 0x0
	s_set_vgpr_msb 4                        ;  msbs: dst=0 src0=0 src1=1 src2=0
	v_sub_f32_e32 v15, v15, v45 /*v301*/
	s_set_vgpr_msb 64                       ;  msbs: dst=1 src0=0 src1=0 src2=0
	ds_bpermute_b32 v45 /*v301*/, v2, v6 offset:20
	s_wait_dscnt 0x0
	s_set_vgpr_msb 4                        ;  msbs: dst=0 src0=0 src1=1 src2=0
	v_sub_f32_e32 v17, v17, v45 /*v301*/
	s_set_vgpr_msb 64                       ;  msbs: dst=1 src0=0 src1=0 src2=0
	ds_bpermute_b32 v45 /*v301*/, v2, v6 offset:24
	s_set_vgpr_msb 0                        ;  msbs: dst=0 src0=0 src1=0 src2=0
	v_dual_mul_f32 v15, v15, v14 :: v_dual_mul_f32 v17, v17, v16
	;; [unrolled: 12-line block ×4, first 2 shown]
	s_wait_dscnt 0x0
	s_set_vgpr_msb 4                        ;  msbs: dst=0 src0=0 src1=1 src2=0
	v_sub_f32_e32 v27, v27, v45 /*v301*/
	s_set_vgpr_msb 0                        ;  msbs: dst=0 src0=0 src1=0 src2=0
	s_delay_alu instid0(VALU_DEP_1)
	v_mul_f32_e32 v27, v27, v26
	s_wait_loadcnt 0x0
	s_set_vgpr_msb 64                       ;  msbs: dst=1 src0=0 src1=0 src2=0
	v_cvt_f32_f16_e64 v44 /*v300*/, v9
	s_set_vgpr_msb 1                        ;  msbs: dst=0 src0=1 src1=0 src2=0
	global_load_u16 v9, v[46:47] /*v[302:303]*/, off
	s_wait_xcnt 0x0
	s_set_vgpr_msb 64                       ;  msbs: dst=1 src0=0 src1=0 src2=0
	v_add_nc_u64_e32 v[46:47] /*v[302:303]*/, v[104:105], v[162:163]
	s_wait_loadcnt 0x0
	v_cvt_f32_f16_e64 v43 /*v299*/, v9
	s_set_vgpr_msb 1                        ;  msbs: dst=0 src0=1 src1=0 src2=0
	global_load_u16 v9, v[46:47] /*v[302:303]*/, off
	s_wait_loadcnt 0x0
	s_set_vgpr_msb 64                       ;  msbs: dst=1 src0=0 src1=0 src2=0
	v_cvt_f32_f16_e64 v46 /*v302*/, v9
	s_set_vgpr_msb 1                        ;  msbs: dst=0 src0=1 src1=0 src2=0
	global_load_u16 v9, v[48:49] /*v[304:305]*/, off
	s_wait_xcnt 0x0
	s_set_vgpr_msb 64                       ;  msbs: dst=1 src0=0 src1=0 src2=0
	v_add_nc_u64_e32 v[48:49] /*v[304:305]*/, v[108:109], v[162:163]
	s_wait_loadcnt 0x0
	v_cvt_f32_f16_e64 v47 /*v303*/, v9
	s_set_vgpr_msb 1                        ;  msbs: dst=0 src0=1 src1=0 src2=0
	global_load_u16 v9, v[48:49] /*v[304:305]*/, off
	;; [unrolled: 12-line block ×14, first 2 shown]
	s_wait_loadcnt 0x0
	s_set_vgpr_msb 64                       ;  msbs: dst=1 src0=0 src1=0 src2=0
	v_cvt_f32_f16_e64 v72 /*v328*/, v9
	s_set_vgpr_msb 1                        ;  msbs: dst=0 src0=1 src1=0 src2=0
	global_load_u16 v9, v[74:75] /*v[330:331]*/, off
	s_wait_loadcnt 0x0
	s_set_vgpr_msb 64                       ;  msbs: dst=1 src0=0 src1=0 src2=0
	v_cvt_f32_f16_e64 v73 /*v329*/, v9
	s_set_vgpr_msb 0                        ;  msbs: dst=0 src0=0 src1=0 src2=0
	ds_bpermute_b32 v9, v2, v3
	s_wait_dscnt 0x0
	v_mul_f32_e32 v5, v5, v9
	ds_bpermute_b32 v9, v2, v3 offset:4
	s_set_vgpr_msb 1                        ;  msbs: dst=0 src0=1 src1=0 src2=0
	v_pk_add_f32 v[4:5], v[38:39] /*v[294:295]*/, v[4:5]
	s_wait_dscnt 0x0
	s_set_vgpr_msb 0                        ;  msbs: dst=0 src0=0 src1=0 src2=0
	v_mul_f32_e32 v9, v7, v9
	ds_bpermute_b32 v7, v2, v3 offset:8
	v_pk_add_f32 v[4:5], v[4:5], v[8:9]
	ds_bpermute_b32 v8, v2, v6 offset:44
	s_wait_dscnt 0x1
	v_mul_f32_e32 v11, v11, v7
	ds_bpermute_b32 v7, v2, v3 offset:12
	s_wait_dscnt 0x1
	v_sub_f32_e32 v8, v29, v8
	v_pk_add_f32 v[4:5], v[4:5], v[10:11]
	s_wait_dscnt 0x0
	s_delay_alu instid0(VALU_DEP_2)
	v_dual_mul_f32 v8, v8, v28 :: v_dual_mul_f32 v13, v13, v7
	ds_bpermute_b32 v7, v2, v3 offset:16
	v_pk_add_f32 v[4:5], v[4:5], v[12:13]
	s_wait_dscnt 0x0
	v_mul_f32_e32 v15, v15, v7
	ds_bpermute_b32 v7, v2, v3 offset:20
	v_pk_add_f32 v[4:5], v[4:5], v[14:15]
	s_wait_dscnt 0x0
	v_mul_f32_e32 v17, v17, v7
	;; [unrolled: 4-line block ×8, first 2 shown]
	ds_bpermute_b32 v8, v2, v6 offset:48
	ds_bpermute_b32 v7, v2, v3 offset:48
	s_wait_dscnt 0x1
	v_sub_f32_e32 v8, v31, v8
	v_pk_add_f32 v[4:5], v[4:5], v[28:29]
	s_delay_alu instid0(VALU_DEP_2) | instskip(SKIP_1) | instid1(VALU_DEP_1)
	v_mul_f32_e32 v8, v8, v30
	s_wait_dscnt 0x0
	v_mul_f32_e32 v31, v8, v7
	ds_bpermute_b32 v8, v2, v6 offset:52
	ds_bpermute_b32 v7, v2, v3 offset:52
	s_wait_dscnt 0x1
	v_sub_f32_e32 v8, v33, v8
	v_pk_add_f32 v[4:5], v[4:5], v[30:31]
	s_delay_alu instid0(VALU_DEP_2) | instskip(SKIP_1) | instid1(VALU_DEP_1)
	v_mul_f32_e32 v8, v8, v32
	s_wait_dscnt 0x0
	v_mul_f32_e32 v33, v8, v7
	;; [unrolled: 9-line block ×3, first 2 shown]
	ds_bpermute_b32 v8, v2, v6 offset:60
	ds_bpermute_b32 v7, v2, v3 offset:60
	v_pk_add_f32 v[4:5], v[4:5], v[34:35]
	s_wait_dscnt 0x1
	s_set_vgpr_msb 1                        ;  msbs: dst=0 src0=1 src1=0 src2=0
	v_sub_f32_e32 v8, v37 /*v293*/, v8
	s_set_vgpr_msb 4                        ;  msbs: dst=0 src0=0 src1=1 src2=0
	s_delay_alu instid0(VALU_DEP_1) | instskip(SKIP_2) | instid1(VALU_DEP_1)
	v_mul_f32_e32 v8, v8, v36 /*v292*/
	s_wait_dscnt 0x0
	s_set_vgpr_msb 64                       ;  msbs: dst=1 src0=0 src1=0 src2=0
	v_mul_f32_e32 v37 /*v293*/, v8, v7
	s_set_vgpr_msb 0                        ;  msbs: dst=0 src0=0 src1=0 src2=0
	ds_bpermute_b32 v8, v2, v6 offset:64
	ds_bpermute_b32 v7, v2, v3 offset:64
	s_wait_dscnt 0x1
	s_set_vgpr_msb 1                        ;  msbs: dst=0 src0=1 src1=0 src2=0
	v_sub_f32_e32 v8, v41 /*v297*/, v8
	s_set_vgpr_msb 4                        ;  msbs: dst=0 src0=0 src1=1 src2=0
	s_delay_alu instid0(VALU_DEP_1) | instskip(SKIP_2) | instid1(VALU_DEP_1)
	v_mul_f32_e32 v8, v8, v40 /*v296*/
	s_wait_dscnt 0x0
	s_set_vgpr_msb 64                       ;  msbs: dst=1 src0=0 src1=0 src2=0
	v_mul_f32_e32 v41 /*v297*/, v8, v7
	s_set_vgpr_msb 0                        ;  msbs: dst=0 src0=0 src1=0 src2=0
	ds_bpermute_b32 v8, v2, v6 offset:68
	ds_bpermute_b32 v7, v2, v3 offset:68
	s_set_vgpr_msb 4                        ;  msbs: dst=0 src0=0 src1=1 src2=0
	v_pk_add_f32 v[4:5], v[4:5], v[36:37] /*v[292:293]*/
	s_delay_alu instid0(VALU_DEP_1) | instskip(SKIP_4) | instid1(VALU_DEP_1)
	v_pk_add_f32 v[4:5], v[4:5], v[40:41] /*v[296:297]*/
	s_wait_dscnt 0x1
	s_set_vgpr_msb 1                        ;  msbs: dst=0 src0=1 src1=0 src2=0
	v_sub_f32_e32 v8, v43 /*v299*/, v8
	s_set_vgpr_msb 4                        ;  msbs: dst=0 src0=0 src1=1 src2=0
	v_mul_f32_e32 v8, v8, v44 /*v300*/
	s_wait_dscnt 0x0
	s_set_vgpr_msb 64                       ;  msbs: dst=1 src0=0 src1=0 src2=0
	s_delay_alu instid0(VALU_DEP_1)
	v_mul_f32_e32 v45 /*v301*/, v8, v7
	s_set_vgpr_msb 0                        ;  msbs: dst=0 src0=0 src1=0 src2=0
	ds_bpermute_b32 v8, v2, v6 offset:72
	ds_bpermute_b32 v7, v2, v3 offset:72
	s_wait_dscnt 0x1
	s_set_vgpr_msb 1                        ;  msbs: dst=0 src0=1 src1=0 src2=0
	v_sub_f32_e32 v8, v47 /*v303*/, v8
	s_set_vgpr_msb 4                        ;  msbs: dst=0 src0=0 src1=1 src2=0
	s_delay_alu instid0(VALU_DEP_1) | instskip(SKIP_2) | instid1(VALU_DEP_1)
	v_mul_f32_e32 v8, v8, v46 /*v302*/
	s_wait_dscnt 0x0
	s_set_vgpr_msb 64                       ;  msbs: dst=1 src0=0 src1=0 src2=0
	v_mul_f32_e32 v47 /*v303*/, v8, v7
	s_set_vgpr_msb 0                        ;  msbs: dst=0 src0=0 src1=0 src2=0
	ds_bpermute_b32 v8, v2, v6 offset:76
	ds_bpermute_b32 v7, v2, v3 offset:76
	s_set_vgpr_msb 4                        ;  msbs: dst=0 src0=0 src1=1 src2=0
	v_pk_add_f32 v[4:5], v[4:5], v[44:45] /*v[300:301]*/
	s_delay_alu instid0(VALU_DEP_1) | instskip(SKIP_4) | instid1(VALU_DEP_1)
	v_pk_add_f32 v[4:5], v[4:5], v[46:47] /*v[302:303]*/
	s_wait_dscnt 0x1
	s_set_vgpr_msb 1                        ;  msbs: dst=0 src0=1 src1=0 src2=0
	v_sub_f32_e32 v8, v49 /*v305*/, v8
	s_set_vgpr_msb 4                        ;  msbs: dst=0 src0=0 src1=1 src2=0
	v_mul_f32_e32 v8, v8, v48 /*v304*/
	s_wait_dscnt 0x0
	s_set_vgpr_msb 64                       ;  msbs: dst=1 src0=0 src1=0 src2=0
	s_delay_alu instid0(VALU_DEP_1)
	;; [unrolled: 28-line block ×7, first 2 shown]
	v_mul_f32_e32 v69 /*v325*/, v8, v7
	s_set_vgpr_msb 0                        ;  msbs: dst=0 src0=0 src1=0 src2=0
	ds_bpermute_b32 v8, v2, v6 offset:120
	ds_bpermute_b32 v6, v2, v6 offset:124
	;; [unrolled: 1-line block ×4, first 2 shown]
	s_wait_dscnt 0x2
	s_set_vgpr_msb 1                        ;  msbs: dst=0 src0=1 src1=0 src2=0
	v_dual_sub_f32 v8, v71 /*v327*/, v8 :: v_dual_sub_f32 v6, v73 /*v329*/, v6
	s_set_vgpr_msb 4                        ;  msbs: dst=0 src0=0 src1=1 src2=0
	s_delay_alu instid0(VALU_DEP_1) | instskip(SKIP_2) | instid1(VALU_DEP_1)
	v_dual_mul_f32 v8, v8, v70 /*v326*/ :: v_dual_mul_f32 v6, v6, v72 /*v328*/
	s_wait_dscnt 0x1
	s_set_vgpr_msb 64                       ;  msbs: dst=1 src0=0 src1=0 src2=0
	v_mul_f32_e32 v71 /*v327*/, v8, v7
	s_set_vgpr_msb 4                        ;  msbs: dst=0 src0=0 src1=1 src2=0
	v_pk_add_f32 v[4:5], v[4:5], v[68:69] /*v[324:325]*/
	s_wait_dscnt 0x0
	s_set_vgpr_msb 64                       ;  msbs: dst=1 src0=0 src1=0 src2=0
	v_mul_f32_e32 v73 /*v329*/, v6, v3
	s_set_vgpr_msb 4                        ;  msbs: dst=0 src0=0 src1=1 src2=0
	v_pk_add_f32 v[4:5], v[4:5], v[70:71] /*v[326:327]*/
	s_set_vgpr_msb 0x44                     ;  msbs: dst=1 src0=0 src1=1 src2=0
	s_delay_alu instid0(VALU_DEP_1)
	v_pk_add_f32 v[36:37] /*v[292:293]*/, v[4:5], v[72:73] /*v[328:329]*/
.LBB74_146:                             ;   in Loop: Header=BB74_147 Depth=1
	s_add_nc_u64 s[24:25], s[24:25], s[22:23]
	s_set_vgpr_msb 0                        ;  msbs: dst=0 src0=0 src1=0 src2=0
	v_add_nc_u64_e32 v[164:165], s[8:9], v[164:165]
	v_cmp_ge_i64_e64 s2, s[24:25], s[4:5]
	v_add_nc_u64_e32 v[166:167], s[8:9], v[166:167]
	v_add_nc_u64_e32 v[36:37], s[8:9], v[36:37]
	;; [unrolled: 1-line block ×108, first 2 shown]
	s_set_vgpr_msb 0x44                     ;  msbs: dst=1 src0=0 src1=1 src2=0
	v_add_nc_u64_e32 v[0:1] /*v[256:257]*/, s[8:9], v[0:1] /*v[256:257]*/
	v_add_nc_u64_e32 v[2:3] /*v[258:259]*/, s[8:9], v[2:3] /*v[258:259]*/
	;; [unrolled: 1-line block ×18, first 2 shown]
	s_set_vgpr_msb 0x41                     ;  msbs: dst=1 src0=1 src1=0 src2=0
	v_dual_mov_b32 v38 /*v294*/, v36 /*v292*/ :: v_dual_mov_b32 v39 /*v295*/, v37 /*v293*/
	s_and_b32 vcc_lo, exec_lo, s2
	s_add_nc_u64 s[10:11], s[10:11], s[22:23]
	s_set_vgpr_msb 0                        ;  msbs: dst=0 src0=0 src1=0 src2=0
	s_cbranch_vccnz .LBB74_219
.LBB74_147:                             ; =>This Inner Loop Header: Depth=1
	s_add_nc_u64 s[26:27], s[18:19], s[10:11]
	s_set_vgpr_msb 64                       ;  msbs: dst=1 src0=0 src1=0 src2=0
	v_add_nc_u64_e32 v[40:41] /*v[296:297]*/, s[18:19], v[144:145]
	v_cmp_ge_i64_e64 s2, s[26:27], s[4:5]
                                        ; implicit-def: $vgpr292_vgpr293
	s_and_b32 vcc_lo, exec_lo, s2
	s_mov_b32 s2, -1
	s_set_vgpr_msb 0                        ;  msbs: dst=0 src0=0 src1=0 src2=0
	s_cbranch_vccz .LBB74_215
; %bb.148:                              ;   in Loop: Header=BB74_147 Depth=1
	s_load_b32 s2, s[20:21], 0xc
	s_set_vgpr_msb 64                       ;  msbs: dst=1 src0=0 src1=0 src2=0
	v_dual_mov_b32 v43 /*v299*/, 0 :: v_dual_mov_b32 v37 /*v293*/, 0
	v_mov_b32_e32 v36 /*v292*/, 0
	s_wait_kmcnt 0x0
	s_and_b32 s2, s2, 0xffff
	s_set_vgpr_msb 16                       ;  msbs: dst=0 src0=0 src1=0 src2=1
	v_mad_u32_u24 v3, v1, s2, v42 /*v298*/
	v_mov_b32_e32 v5, v2
	s_mov_b32 s2, exec_lo
	s_delay_alu instid0(VALU_DEP_2) | instskip(SKIP_1) | instid1(VALU_DEP_1)
	v_and_b32_e32 v4, 31, v3
	s_set_vgpr_msb 1                        ;  msbs: dst=0 src0=1 src1=0 src2=0
	v_add_nc_u64_e32 v[4:5], v[40:41] /*v[296:297]*/, v[4:5]
	s_delay_alu instid0(VALU_DEP_1)
	v_cmpx_gt_i64_e64 s[4:5], v[4:5]
	s_set_vgpr_msb 0                        ;  msbs: dst=0 src0=0 src1=0 src2=0
	s_cbranch_execz .LBB74_150
; %bb.149:                              ;   in Loop: Header=BB74_147 Depth=1
	v_lshlrev_b64_e32 v[4:5], 2, v[4:5]
	s_delay_alu instid0(VALU_DEP_1)
	v_add_nc_u64_e32 v[6:7], s[12:13], v[4:5]
	v_add_nc_u64_e32 v[4:5], s[14:15], v[4:5]
	s_set_vgpr_msb 64                       ;  msbs: dst=1 src0=0 src1=0 src2=0
	global_load_b32 v36 /*v292*/, v[6:7], off
	global_load_b32 v37 /*v293*/, v[4:5], off
.LBB74_150:                             ;   in Loop: Header=BB74_147 Depth=1
	s_wait_xcnt 0x0
	s_or_b32 exec_lo, exec_lo, s2
	s_set_vgpr_msb 4                        ;  msbs: dst=0 src0=0 src1=1 src2=0
	v_dual_mov_b32 v31, v2 :: v_dual_mov_b32 v32, v2
	v_dual_mov_b32 v33, v2 :: v_dual_mov_b32 v3, v2
	;; [unrolled: 1-line block ×15, first 2 shown]
	v_mov_b32_e32 v30, v2
	v_mov_b64_e32 v[34:35], v[32:33]
	s_delay_alu instid0(VALU_DEP_2) | instskip(NEXT) | instid1(VALU_DEP_4)
	v_mov_b64_e32 v[32:33], v[30:31]
	v_mov_b64_e32 v[30:31], v[28:29]
	;; [unrolled: 1-line block ×15, first 2 shown]
	s_mov_b32 s2, exec_lo
	v_cmpx_gt_i64_e64 s[4:5], v[40:41] /*v[296:297]*/
	s_set_vgpr_msb 0                        ;  msbs: dst=0 src0=0 src1=0 src2=0
	s_cbranch_execz .LBB74_152
; %bb.151:                              ;   in Loop: Header=BB74_147 Depth=1
	v_add_nc_u64_e32 v[4:5], v[164:165], v[162:163]
	v_add_nc_u64_e32 v[6:7], v[166:167], v[162:163]
	v_dual_mov_b32 v9, v2 :: v_dual_mov_b32 v10, v2
	v_dual_mov_b32 v11, v2 :: v_dual_mov_b32 v12, v2
	v_dual_mov_b32 v13, v2 :: v_dual_mov_b32 v14, v2
	global_load_u16 v3, v[4:5], off
	s_set_vgpr_msb 64                       ;  msbs: dst=1 src0=0 src1=0 src2=0
	global_load_u16 v43 /*v299*/, v[6:7], off
	s_wait_xcnt 0x0
	s_set_vgpr_msb 0                        ;  msbs: dst=0 src0=0 src1=0 src2=0
	v_dual_mov_b32 v5, v2 :: v_dual_mov_b32 v6, v2
	v_dual_mov_b32 v7, v2 :: v_dual_mov_b32 v8, v2
	;; [unrolled: 1-line block ×12, first 2 shown]
	v_mov_b32_e32 v35, v2
	s_wait_loadcnt 0x1
	v_cvt_f32_f16_e32 v4, v3
	s_wait_loadcnt 0x0
	s_set_vgpr_msb 0x41                     ;  msbs: dst=1 src0=1 src1=0 src2=0
	v_cvt_f32_f16_e64 v43 /*v299*/, v43 /*v299*/
.LBB74_152:                             ;   in Loop: Header=BB74_147 Depth=1
	s_or_b32 exec_lo, exec_lo, s2
	s_set_vgpr_msb 0x44                     ;  msbs: dst=1 src0=0 src1=1 src2=0
	v_add_nc_u64_e32 v[44:45] /*v[300:301]*/, 1, v[40:41] /*v[296:297]*/
	s_set_vgpr_msb 4                        ;  msbs: dst=0 src0=0 src1=1 src2=0
	v_mov_b32_e32 v3, 0
	s_delay_alu instid0(VALU_DEP_2)
	v_cmp_gt_i64_e32 vcc_lo, s[4:5], v[44:45] /*v[300:301]*/
	s_set_vgpr_msb 64                       ;  msbs: dst=1 src0=0 src1=0 src2=0
	v_mov_b32_e32 v44 /*v300*/, 0
	s_and_saveexec_b32 s2, vcc_lo
	s_set_vgpr_msb 0                        ;  msbs: dst=0 src0=0 src1=0 src2=0
	s_cbranch_execz .LBB74_154
; %bb.153:                              ;   in Loop: Header=BB74_147 Depth=1
	s_set_vgpr_msb 0x41                     ;  msbs: dst=1 src0=1 src1=0 src2=0
	v_add_nc_u64_e32 v[44:45] /*v[300:301]*/, v[32:33] /*v[288:289]*/, v[162:163]
	v_add_nc_u64_e32 v[46:47] /*v[302:303]*/, v[34:35] /*v[290:291]*/, v[162:163]
	s_set_vgpr_msb 1                        ;  msbs: dst=0 src0=1 src1=0 src2=0
	global_load_u16 v5, v[44:45] /*v[300:301]*/, off
	s_set_vgpr_msb 0x41                     ;  msbs: dst=1 src0=1 src1=0 src2=0
	global_load_u16 v48 /*v304*/, v[46:47] /*v[302:303]*/, off
	s_wait_loadcnt 0x1
	s_set_vgpr_msb 0                        ;  msbs: dst=0 src0=0 src1=0 src2=0
	v_cvt_f32_f16_e32 v5, v5
	s_wait_loadcnt 0x0
	s_set_vgpr_msb 0x41                     ;  msbs: dst=1 src0=1 src1=0 src2=0
	v_cvt_f32_f16_e64 v44 /*v300*/, v48 /*v304*/
.LBB74_154:                             ;   in Loop: Header=BB74_147 Depth=1
	s_or_b32 exec_lo, exec_lo, s2
	s_set_vgpr_msb 0x44                     ;  msbs: dst=1 src0=0 src1=1 src2=0
	v_add_nc_u64_e32 v[46:47] /*v[302:303]*/, 2, v[40:41] /*v[296:297]*/
	s_mov_b32 s2, exec_lo
	s_delay_alu instid0(VALU_DEP_1)
	v_cmpx_gt_i64_e64 s[4:5], v[46:47] /*v[302:303]*/
	s_set_vgpr_msb 0                        ;  msbs: dst=0 src0=0 src1=0 src2=0
	s_cbranch_execz .LBB74_156
; %bb.155:                              ;   in Loop: Header=BB74_147 Depth=1
	s_set_vgpr_msb 0x41                     ;  msbs: dst=1 src0=1 src1=0 src2=0
	v_add_nc_u64_e32 v[46:47] /*v[302:303]*/, v[28:29] /*v[284:285]*/, v[162:163]
	v_add_nc_u64_e32 v[48:49] /*v[304:305]*/, v[30:31] /*v[286:287]*/, v[162:163]
	s_set_vgpr_msb 1                        ;  msbs: dst=0 src0=1 src1=0 src2=0
	global_load_u16 v3, v[46:47] /*v[302:303]*/, off
	s_set_vgpr_msb 0x41                     ;  msbs: dst=1 src0=1 src1=0 src2=0
	global_load_u16 v45 /*v301*/, v[48:49] /*v[304:305]*/, off
	s_wait_loadcnt 0x1
	s_set_vgpr_msb 0                        ;  msbs: dst=0 src0=0 src1=0 src2=0
	v_cvt_f32_f16_e32 v6, v3
	s_wait_loadcnt 0x0
	s_set_vgpr_msb 1                        ;  msbs: dst=0 src0=1 src1=0 src2=0
	v_cvt_f32_f16_e64 v3, v45 /*v301*/
.LBB74_156:                             ;   in Loop: Header=BB74_147 Depth=1
	s_or_b32 exec_lo, exec_lo, s2
	s_set_vgpr_msb 0x44                     ;  msbs: dst=1 src0=0 src1=1 src2=0
	v_add_nc_u64_e32 v[46:47] /*v[302:303]*/, 3, v[40:41] /*v[296:297]*/
	v_mov_b32_e32 v45 /*v301*/, 0
	s_delay_alu instid0(VALU_DEP_2)
	v_cmp_gt_i64_e32 vcc_lo, s[4:5], v[46:47] /*v[302:303]*/
	v_mov_b32_e32 v46 /*v302*/, 0
	s_and_saveexec_b32 s2, vcc_lo
	s_set_vgpr_msb 0                        ;  msbs: dst=0 src0=0 src1=0 src2=0
	s_cbranch_execz .LBB74_158
; %bb.157:                              ;   in Loop: Header=BB74_147 Depth=1
	s_set_vgpr_msb 0x41                     ;  msbs: dst=1 src0=1 src1=0 src2=0
	v_add_nc_u64_e32 v[46:47] /*v[302:303]*/, v[24:25] /*v[280:281]*/, v[162:163]
	v_add_nc_u64_e32 v[48:49] /*v[304:305]*/, v[26:27] /*v[282:283]*/, v[162:163]
	s_set_vgpr_msb 1                        ;  msbs: dst=0 src0=1 src1=0 src2=0
	global_load_u16 v7, v[46:47] /*v[302:303]*/, off
	s_set_vgpr_msb 0x41                     ;  msbs: dst=1 src0=1 src1=0 src2=0
	global_load_u16 v50 /*v306*/, v[48:49] /*v[304:305]*/, off
	s_wait_loadcnt 0x1
	s_set_vgpr_msb 0                        ;  msbs: dst=0 src0=0 src1=0 src2=0
	v_cvt_f32_f16_e32 v7, v7
	s_wait_loadcnt 0x0
	s_set_vgpr_msb 0x41                     ;  msbs: dst=1 src0=1 src1=0 src2=0
	v_cvt_f32_f16_e64 v46 /*v302*/, v50 /*v306*/
.LBB74_158:                             ;   in Loop: Header=BB74_147 Depth=1
	s_or_b32 exec_lo, exec_lo, s2
	s_set_vgpr_msb 0x44                     ;  msbs: dst=1 src0=0 src1=1 src2=0
	v_add_nc_u64_e32 v[48:49] /*v[304:305]*/, 4, v[40:41] /*v[296:297]*/
	s_mov_b32 s2, exec_lo
	s_delay_alu instid0(VALU_DEP_1)
	v_cmpx_gt_i64_e64 s[4:5], v[48:49] /*v[304:305]*/
	s_set_vgpr_msb 0                        ;  msbs: dst=0 src0=0 src1=0 src2=0
	s_cbranch_execz .LBB74_160
; %bb.159:                              ;   in Loop: Header=BB74_147 Depth=1
	s_set_vgpr_msb 0x41                     ;  msbs: dst=1 src0=1 src1=0 src2=0
	v_add_nc_u64_e32 v[48:49] /*v[304:305]*/, v[20:21] /*v[276:277]*/, v[162:163]
	v_add_nc_u64_e32 v[50:51] /*v[306:307]*/, v[22:23] /*v[278:279]*/, v[162:163]
	s_set_vgpr_msb 1                        ;  msbs: dst=0 src0=1 src1=0 src2=0
	global_load_u16 v8, v[48:49] /*v[304:305]*/, off
	s_set_vgpr_msb 0x41                     ;  msbs: dst=1 src0=1 src1=0 src2=0
	global_load_u16 v45 /*v301*/, v[50:51] /*v[306:307]*/, off
	s_wait_loadcnt 0x1
	s_set_vgpr_msb 0                        ;  msbs: dst=0 src0=0 src1=0 src2=0
	v_cvt_f32_f16_e32 v8, v8
	s_wait_loadcnt 0x0
	s_set_vgpr_msb 0x41                     ;  msbs: dst=1 src0=1 src1=0 src2=0
	v_cvt_f32_f16_e64 v45 /*v301*/, v45 /*v301*/
.LBB74_160:                             ;   in Loop: Header=BB74_147 Depth=1
	s_or_b32 exec_lo, exec_lo, s2
	s_set_vgpr_msb 0x44                     ;  msbs: dst=1 src0=0 src1=1 src2=0
	v_add_nc_u64_e32 v[48:49] /*v[304:305]*/, 5, v[40:41] /*v[296:297]*/
	v_mov_b32_e32 v47 /*v303*/, 0
	s_delay_alu instid0(VALU_DEP_2)
	v_cmp_gt_i64_e32 vcc_lo, s[4:5], v[48:49] /*v[304:305]*/
	v_mov_b32_e32 v48 /*v304*/, 0
	s_and_saveexec_b32 s2, vcc_lo
	s_set_vgpr_msb 0                        ;  msbs: dst=0 src0=0 src1=0 src2=0
	s_cbranch_execz .LBB74_162
; %bb.161:                              ;   in Loop: Header=BB74_147 Depth=1
	s_set_vgpr_msb 0x41                     ;  msbs: dst=1 src0=1 src1=0 src2=0
	v_add_nc_u64_e32 v[48:49] /*v[304:305]*/, v[16:17] /*v[272:273]*/, v[162:163]
	v_add_nc_u64_e32 v[50:51] /*v[306:307]*/, v[18:19] /*v[274:275]*/, v[162:163]
	s_set_vgpr_msb 1                        ;  msbs: dst=0 src0=1 src1=0 src2=0
	global_load_u16 v9, v[48:49] /*v[304:305]*/, off
	s_set_vgpr_msb 0x41                     ;  msbs: dst=1 src0=1 src1=0 src2=0
	global_load_u16 v52 /*v308*/, v[50:51] /*v[306:307]*/, off
	s_wait_loadcnt 0x1
	s_set_vgpr_msb 0                        ;  msbs: dst=0 src0=0 src1=0 src2=0
	v_cvt_f32_f16_e32 v9, v9
	s_wait_loadcnt 0x0
	s_set_vgpr_msb 0x41                     ;  msbs: dst=1 src0=1 src1=0 src2=0
	v_cvt_f32_f16_e64 v48 /*v304*/, v52 /*v308*/
.LBB74_162:                             ;   in Loop: Header=BB74_147 Depth=1
	s_or_b32 exec_lo, exec_lo, s2
	s_set_vgpr_msb 0x44                     ;  msbs: dst=1 src0=0 src1=1 src2=0
	v_add_nc_u64_e32 v[50:51] /*v[306:307]*/, 6, v[40:41] /*v[296:297]*/
	s_mov_b32 s2, exec_lo
	s_delay_alu instid0(VALU_DEP_1)
	v_cmpx_gt_i64_e64 s[4:5], v[50:51] /*v[306:307]*/
	s_set_vgpr_msb 0                        ;  msbs: dst=0 src0=0 src1=0 src2=0
	s_cbranch_execz .LBB74_164
; %bb.163:                              ;   in Loop: Header=BB74_147 Depth=1
	s_set_vgpr_msb 0x41                     ;  msbs: dst=1 src0=1 src1=0 src2=0
	v_add_nc_u64_e32 v[50:51] /*v[306:307]*/, v[12:13] /*v[268:269]*/, v[162:163]
	v_add_nc_u64_e32 v[52:53] /*v[308:309]*/, v[14:15] /*v[270:271]*/, v[162:163]
	s_set_vgpr_msb 1                        ;  msbs: dst=0 src0=1 src1=0 src2=0
	global_load_u16 v10, v[50:51] /*v[306:307]*/, off
	s_set_vgpr_msb 0x41                     ;  msbs: dst=1 src0=1 src1=0 src2=0
	global_load_u16 v47 /*v303*/, v[52:53] /*v[308:309]*/, off
	s_wait_loadcnt 0x1
	s_set_vgpr_msb 0                        ;  msbs: dst=0 src0=0 src1=0 src2=0
	v_cvt_f32_f16_e32 v10, v10
	s_wait_loadcnt 0x0
	s_set_vgpr_msb 0x41                     ;  msbs: dst=1 src0=1 src1=0 src2=0
	v_cvt_f32_f16_e64 v47 /*v303*/, v47 /*v303*/
.LBB74_164:                             ;   in Loop: Header=BB74_147 Depth=1
	s_or_b32 exec_lo, exec_lo, s2
	s_set_vgpr_msb 0x44                     ;  msbs: dst=1 src0=0 src1=1 src2=0
	v_add_nc_u64_e32 v[50:51] /*v[306:307]*/, 7, v[40:41] /*v[296:297]*/
	s_delay_alu instid0(VALU_DEP_1)
	v_cmp_gt_i64_e32 vcc_lo, s[4:5], v[50:51] /*v[306:307]*/
	v_dual_mov_b32 v50 /*v306*/, 0 :: v_dual_mov_b32 v51 /*v307*/, 0
	s_and_saveexec_b32 s2, vcc_lo
	s_set_vgpr_msb 0                        ;  msbs: dst=0 src0=0 src1=0 src2=0
	s_cbranch_execz .LBB74_166
; %bb.165:                              ;   in Loop: Header=BB74_147 Depth=1
	s_set_vgpr_msb 0x41                     ;  msbs: dst=1 src0=1 src1=0 src2=0
	v_add_nc_u64_e32 v[52:53] /*v[308:309]*/, v[8:9] /*v[264:265]*/, v[162:163]
	v_add_nc_u64_e32 v[54:55] /*v[310:311]*/, v[10:11] /*v[266:267]*/, v[162:163]
	s_set_vgpr_msb 1                        ;  msbs: dst=0 src0=1 src1=0 src2=0
	global_load_u16 v11, v[52:53] /*v[308:309]*/, off
	s_set_vgpr_msb 0x41                     ;  msbs: dst=1 src0=1 src1=0 src2=0
	global_load_u16 v49 /*v305*/, v[54:55] /*v[310:311]*/, off
	s_wait_loadcnt 0x1
	s_set_vgpr_msb 0                        ;  msbs: dst=0 src0=0 src1=0 src2=0
	v_cvt_f32_f16_e32 v11, v11
	s_wait_loadcnt 0x0
	s_set_vgpr_msb 0x41                     ;  msbs: dst=1 src0=1 src1=0 src2=0
	v_cvt_f32_f16_e64 v51 /*v307*/, v49 /*v305*/
.LBB74_166:                             ;   in Loop: Header=BB74_147 Depth=1
	s_or_b32 exec_lo, exec_lo, s2
	s_set_vgpr_msb 0x44                     ;  msbs: dst=1 src0=0 src1=1 src2=0
	v_add_nc_u64_e32 v[52:53] /*v[308:309]*/, 8, v[40:41] /*v[296:297]*/
	s_mov_b32 s2, exec_lo
	s_delay_alu instid0(VALU_DEP_1)
	v_cmpx_gt_i64_e64 s[4:5], v[52:53] /*v[308:309]*/
	s_set_vgpr_msb 0                        ;  msbs: dst=0 src0=0 src1=0 src2=0
	s_cbranch_execz .LBB74_168
; %bb.167:                              ;   in Loop: Header=BB74_147 Depth=1
	s_set_vgpr_msb 0x41                     ;  msbs: dst=1 src0=1 src1=0 src2=0
	v_add_nc_u64_e32 v[52:53] /*v[308:309]*/, v[4:5] /*v[260:261]*/, v[162:163]
	v_add_nc_u64_e32 v[54:55] /*v[310:311]*/, v[6:7] /*v[262:263]*/, v[162:163]
	s_set_vgpr_msb 1                        ;  msbs: dst=0 src0=1 src1=0 src2=0
	global_load_u16 v12, v[52:53] /*v[308:309]*/, off
	s_set_vgpr_msb 0x41                     ;  msbs: dst=1 src0=1 src1=0 src2=0
	global_load_u16 v49 /*v305*/, v[54:55] /*v[310:311]*/, off
	s_wait_loadcnt 0x1
	s_set_vgpr_msb 0                        ;  msbs: dst=0 src0=0 src1=0 src2=0
	v_cvt_f32_f16_e32 v12, v12
	s_wait_loadcnt 0x0
	s_set_vgpr_msb 0x41                     ;  msbs: dst=1 src0=1 src1=0 src2=0
	v_cvt_f32_f16_e64 v50 /*v306*/, v49 /*v305*/
.LBB74_168:                             ;   in Loop: Header=BB74_147 Depth=1
	s_or_b32 exec_lo, exec_lo, s2
	s_set_vgpr_msb 0x44                     ;  msbs: dst=1 src0=0 src1=1 src2=0
	v_add_nc_u64_e32 v[52:53] /*v[308:309]*/, 9, v[40:41] /*v[296:297]*/
	v_dual_mov_b32 v54 /*v310*/, 0 :: v_dual_mov_b32 v56 /*v312*/, 0
	s_mov_b32 s2, exec_lo
	s_delay_alu instid0(VALU_DEP_2)
	v_cmpx_gt_i64_e64 s[4:5], v[52:53] /*v[308:309]*/
	s_set_vgpr_msb 0                        ;  msbs: dst=0 src0=0 src1=0 src2=0
	s_cbranch_execz .LBB74_170
; %bb.169:                              ;   in Loop: Header=BB74_147 Depth=1
	s_set_vgpr_msb 0x41                     ;  msbs: dst=1 src0=1 src1=0 src2=0
	v_add_nc_u64_e32 v[52:53] /*v[308:309]*/, v[0:1] /*v[256:257]*/, v[162:163]
	v_add_nc_u64_e32 v[56:57] /*v[312:313]*/, v[2:3] /*v[258:259]*/, v[162:163]
	s_set_vgpr_msb 1                        ;  msbs: dst=0 src0=1 src1=0 src2=0
	global_load_u16 v13, v[52:53] /*v[308:309]*/, off
	s_set_vgpr_msb 0x41                     ;  msbs: dst=1 src0=1 src1=0 src2=0
	global_load_u16 v49 /*v305*/, v[56:57] /*v[312:313]*/, off
	s_wait_loadcnt 0x1
	s_set_vgpr_msb 0                        ;  msbs: dst=0 src0=0 src1=0 src2=0
	v_cvt_f32_f16_e32 v13, v13
	s_wait_loadcnt 0x0
	s_set_vgpr_msb 0x41                     ;  msbs: dst=1 src0=1 src1=0 src2=0
	v_cvt_f32_f16_e64 v56 /*v312*/, v49 /*v305*/
.LBB74_170:                             ;   in Loop: Header=BB74_147 Depth=1
	s_or_b32 exec_lo, exec_lo, s2
	s_set_vgpr_msb 0x44                     ;  msbs: dst=1 src0=0 src1=1 src2=0
	v_add_nc_u64_e32 v[52:53] /*v[308:309]*/, 10, v[40:41] /*v[296:297]*/
	s_mov_b32 s2, exec_lo
	s_delay_alu instid0(VALU_DEP_1)
	v_cmpx_gt_i64_e64 s[4:5], v[52:53] /*v[308:309]*/
	s_set_vgpr_msb 0                        ;  msbs: dst=0 src0=0 src1=0 src2=0
	s_cbranch_execz .LBB74_172
; %bb.171:                              ;   in Loop: Header=BB74_147 Depth=1
	s_set_vgpr_msb 64                       ;  msbs: dst=1 src0=0 src1=0 src2=0
	v_add_nc_u64_e32 v[52:53] /*v[308:309]*/, v[252:253], v[162:163]
	v_add_nc_u64_e32 v[54:55] /*v[310:311]*/, v[254:255], v[162:163]
	s_set_vgpr_msb 1                        ;  msbs: dst=0 src0=1 src1=0 src2=0
	global_load_u16 v14, v[52:53] /*v[308:309]*/, off
	s_set_vgpr_msb 0x41                     ;  msbs: dst=1 src0=1 src1=0 src2=0
	global_load_u16 v49 /*v305*/, v[54:55] /*v[310:311]*/, off
	s_wait_loadcnt 0x1
	s_set_vgpr_msb 0                        ;  msbs: dst=0 src0=0 src1=0 src2=0
	v_cvt_f32_f16_e32 v14, v14
	s_wait_loadcnt 0x0
	s_set_vgpr_msb 0x41                     ;  msbs: dst=1 src0=1 src1=0 src2=0
	v_cvt_f32_f16_e64 v54 /*v310*/, v49 /*v305*/
.LBB74_172:                             ;   in Loop: Header=BB74_147 Depth=1
	s_or_b32 exec_lo, exec_lo, s2
	s_set_vgpr_msb 0x44                     ;  msbs: dst=1 src0=0 src1=1 src2=0
	v_add_nc_u64_e32 v[52:53] /*v[308:309]*/, 11, v[40:41] /*v[296:297]*/
	v_mov_b32_e32 v49 /*v305*/, 0
	s_delay_alu instid0(VALU_DEP_2)
	v_cmp_gt_i64_e32 vcc_lo, s[4:5], v[52:53] /*v[308:309]*/
	v_mov_b32_e32 v52 /*v308*/, 0
	s_and_saveexec_b32 s2, vcc_lo
	s_set_vgpr_msb 0                        ;  msbs: dst=0 src0=0 src1=0 src2=0
	s_cbranch_execz .LBB74_174
; %bb.173:                              ;   in Loop: Header=BB74_147 Depth=1
	s_set_vgpr_msb 64                       ;  msbs: dst=1 src0=0 src1=0 src2=0
	v_add_nc_u64_e32 v[52:53] /*v[308:309]*/, v[248:249], v[162:163]
	v_add_nc_u64_e32 v[58:59] /*v[314:315]*/, v[250:251], v[162:163]
	s_set_vgpr_msb 1                        ;  msbs: dst=0 src0=1 src1=0 src2=0
	global_load_u16 v15, v[52:53] /*v[308:309]*/, off
	s_set_vgpr_msb 0x41                     ;  msbs: dst=1 src0=1 src1=0 src2=0
	global_load_u16 v55 /*v311*/, v[58:59] /*v[314:315]*/, off
	s_wait_loadcnt 0x1
	s_set_vgpr_msb 0                        ;  msbs: dst=0 src0=0 src1=0 src2=0
	v_cvt_f32_f16_e32 v15, v15
	s_wait_loadcnt 0x0
	s_set_vgpr_msb 0x41                     ;  msbs: dst=1 src0=1 src1=0 src2=0
	v_cvt_f32_f16_e64 v52 /*v308*/, v55 /*v311*/
.LBB74_174:                             ;   in Loop: Header=BB74_147 Depth=1
	s_or_b32 exec_lo, exec_lo, s2
	s_set_vgpr_msb 0x44                     ;  msbs: dst=1 src0=0 src1=1 src2=0
	v_add_nc_u64_e32 v[58:59] /*v[314:315]*/, 12, v[40:41] /*v[296:297]*/
	s_mov_b32 s2, exec_lo
	s_delay_alu instid0(VALU_DEP_1)
	v_cmpx_gt_i64_e64 s[4:5], v[58:59] /*v[314:315]*/
	s_set_vgpr_msb 0                        ;  msbs: dst=0 src0=0 src1=0 src2=0
	s_cbranch_execz .LBB74_176
; %bb.175:                              ;   in Loop: Header=BB74_147 Depth=1
	s_set_vgpr_msb 64                       ;  msbs: dst=1 src0=0 src1=0 src2=0
	v_add_nc_u64_e32 v[58:59] /*v[314:315]*/, v[244:245], v[162:163]
	v_add_nc_u64_e32 v[60:61] /*v[316:317]*/, v[246:247], v[162:163]
	s_set_vgpr_msb 1                        ;  msbs: dst=0 src0=1 src1=0 src2=0
	global_load_u16 v16, v[58:59] /*v[314:315]*/, off
	s_set_vgpr_msb 0x41                     ;  msbs: dst=1 src0=1 src1=0 src2=0
	global_load_u16 v49 /*v305*/, v[60:61] /*v[316:317]*/, off
	s_wait_loadcnt 0x1
	s_set_vgpr_msb 0                        ;  msbs: dst=0 src0=0 src1=0 src2=0
	v_cvt_f32_f16_e32 v16, v16
	s_wait_loadcnt 0x0
	s_set_vgpr_msb 0x41                     ;  msbs: dst=1 src0=1 src1=0 src2=0
	v_cvt_f32_f16_e64 v49 /*v305*/, v49 /*v305*/
.LBB74_176:                             ;   in Loop: Header=BB74_147 Depth=1
	s_or_b32 exec_lo, exec_lo, s2
	s_set_vgpr_msb 0x44                     ;  msbs: dst=1 src0=0 src1=1 src2=0
	v_add_nc_u64_e32 v[58:59] /*v[314:315]*/, 13, v[40:41] /*v[296:297]*/
	v_dual_mov_b32 v53 /*v309*/, 0 :: v_dual_mov_b32 v55 /*v311*/, 0
	s_mov_b32 s2, exec_lo
	s_delay_alu instid0(VALU_DEP_2)
	v_cmpx_gt_i64_e64 s[4:5], v[58:59] /*v[314:315]*/
	s_set_vgpr_msb 0                        ;  msbs: dst=0 src0=0 src1=0 src2=0
	s_cbranch_execz .LBB74_178
; %bb.177:                              ;   in Loop: Header=BB74_147 Depth=1
	s_set_vgpr_msb 64                       ;  msbs: dst=1 src0=0 src1=0 src2=0
	v_add_nc_u64_e32 v[58:59] /*v[314:315]*/, v[240:241], v[162:163]
	v_add_nc_u64_e32 v[60:61] /*v[316:317]*/, v[242:243], v[162:163]
	s_set_vgpr_msb 1                        ;  msbs: dst=0 src0=1 src1=0 src2=0
	global_load_u16 v17, v[58:59] /*v[314:315]*/, off
	s_set_vgpr_msb 0x41                     ;  msbs: dst=1 src0=1 src1=0 src2=0
	global_load_u16 v55 /*v311*/, v[60:61] /*v[316:317]*/, off
	s_wait_loadcnt 0x1
	s_set_vgpr_msb 0                        ;  msbs: dst=0 src0=0 src1=0 src2=0
	v_cvt_f32_f16_e32 v17, v17
	s_wait_loadcnt 0x0
	s_set_vgpr_msb 0x41                     ;  msbs: dst=1 src0=1 src1=0 src2=0
	v_cvt_f32_f16_e64 v55 /*v311*/, v55 /*v311*/
.LBB74_178:                             ;   in Loop: Header=BB74_147 Depth=1
	s_or_b32 exec_lo, exec_lo, s2
	s_set_vgpr_msb 0x44                     ;  msbs: dst=1 src0=0 src1=1 src2=0
	v_add_nc_u64_e32 v[58:59] /*v[314:315]*/, 14, v[40:41] /*v[296:297]*/
	s_mov_b32 s2, exec_lo
	s_delay_alu instid0(VALU_DEP_1)
	v_cmpx_gt_i64_e64 s[4:5], v[58:59] /*v[314:315]*/
	s_set_vgpr_msb 0                        ;  msbs: dst=0 src0=0 src1=0 src2=0
	s_cbranch_execz .LBB74_180
; %bb.179:                              ;   in Loop: Header=BB74_147 Depth=1
	s_set_vgpr_msb 64                       ;  msbs: dst=1 src0=0 src1=0 src2=0
	v_add_nc_u64_e32 v[58:59] /*v[314:315]*/, v[236:237], v[162:163]
	v_add_nc_u64_e32 v[60:61] /*v[316:317]*/, v[238:239], v[162:163]
	s_set_vgpr_msb 1                        ;  msbs: dst=0 src0=1 src1=0 src2=0
	global_load_u16 v18, v[58:59] /*v[314:315]*/, off
	s_set_vgpr_msb 0x41                     ;  msbs: dst=1 src0=1 src1=0 src2=0
	global_load_u16 v53 /*v309*/, v[60:61] /*v[316:317]*/, off
	s_wait_loadcnt 0x1
	s_set_vgpr_msb 0                        ;  msbs: dst=0 src0=0 src1=0 src2=0
	v_cvt_f32_f16_e32 v18, v18
	s_wait_loadcnt 0x0
	s_set_vgpr_msb 0x41                     ;  msbs: dst=1 src0=1 src1=0 src2=0
	v_cvt_f32_f16_e64 v53 /*v309*/, v53 /*v309*/
.LBB74_180:                             ;   in Loop: Header=BB74_147 Depth=1
	s_or_b32 exec_lo, exec_lo, s2
	s_set_vgpr_msb 0x44                     ;  msbs: dst=1 src0=0 src1=1 src2=0
	v_add_nc_u64_e32 v[58:59] /*v[314:315]*/, 15, v[40:41] /*v[296:297]*/
	v_mov_b32_e32 v57 /*v313*/, 0
	s_delay_alu instid0(VALU_DEP_2)
	v_cmp_gt_i64_e32 vcc_lo, s[4:5], v[58:59] /*v[314:315]*/
	v_mov_b32_e32 v58 /*v314*/, 0
	s_and_saveexec_b32 s2, vcc_lo
	s_set_vgpr_msb 0                        ;  msbs: dst=0 src0=0 src1=0 src2=0
	s_cbranch_execz .LBB74_182
; %bb.181:                              ;   in Loop: Header=BB74_147 Depth=1
	s_set_vgpr_msb 64                       ;  msbs: dst=1 src0=0 src1=0 src2=0
	v_add_nc_u64_e32 v[58:59] /*v[314:315]*/, v[232:233], v[162:163]
	v_add_nc_u64_e32 v[60:61] /*v[316:317]*/, v[234:235], v[162:163]
	s_set_vgpr_msb 1                        ;  msbs: dst=0 src0=1 src1=0 src2=0
	global_load_u16 v19, v[58:59] /*v[314:315]*/, off
	s_set_vgpr_msb 0x41                     ;  msbs: dst=1 src0=1 src1=0 src2=0
	global_load_u16 v62 /*v318*/, v[60:61] /*v[316:317]*/, off
	s_wait_loadcnt 0x1
	s_set_vgpr_msb 0                        ;  msbs: dst=0 src0=0 src1=0 src2=0
	v_cvt_f32_f16_e32 v19, v19
	s_wait_loadcnt 0x0
	s_set_vgpr_msb 0x41                     ;  msbs: dst=1 src0=1 src1=0 src2=0
	v_cvt_f32_f16_e64 v58 /*v314*/, v62 /*v318*/
.LBB74_182:                             ;   in Loop: Header=BB74_147 Depth=1
	s_or_b32 exec_lo, exec_lo, s2
	s_set_vgpr_msb 0x44                     ;  msbs: dst=1 src0=0 src1=1 src2=0
	v_add_nc_u64_e32 v[60:61] /*v[316:317]*/, 16, v[40:41] /*v[296:297]*/
	s_mov_b32 s2, exec_lo
	s_delay_alu instid0(VALU_DEP_1)
	v_cmpx_gt_i64_e64 s[4:5], v[60:61] /*v[316:317]*/
	s_set_vgpr_msb 0                        ;  msbs: dst=0 src0=0 src1=0 src2=0
	s_cbranch_execz .LBB74_184
; %bb.183:                              ;   in Loop: Header=BB74_147 Depth=1
	s_set_vgpr_msb 64                       ;  msbs: dst=1 src0=0 src1=0 src2=0
	v_add_nc_u64_e32 v[60:61] /*v[316:317]*/, v[228:229], v[162:163]
	v_add_nc_u64_e32 v[62:63] /*v[318:319]*/, v[230:231], v[162:163]
	s_set_vgpr_msb 1                        ;  msbs: dst=0 src0=1 src1=0 src2=0
	global_load_u16 v20, v[60:61] /*v[316:317]*/, off
	s_set_vgpr_msb 0x41                     ;  msbs: dst=1 src0=1 src1=0 src2=0
	global_load_u16 v57 /*v313*/, v[62:63] /*v[318:319]*/, off
	s_wait_loadcnt 0x1
	s_set_vgpr_msb 0                        ;  msbs: dst=0 src0=0 src1=0 src2=0
	v_cvt_f32_f16_e32 v20, v20
	s_wait_loadcnt 0x0
	s_set_vgpr_msb 0x41                     ;  msbs: dst=1 src0=1 src1=0 src2=0
	v_cvt_f32_f16_e64 v57 /*v313*/, v57 /*v313*/
.LBB74_184:                             ;   in Loop: Header=BB74_147 Depth=1
	s_or_b32 exec_lo, exec_lo, s2
	s_set_vgpr_msb 0x44                     ;  msbs: dst=1 src0=0 src1=1 src2=0
	v_add_nc_u64_e32 v[60:61] /*v[316:317]*/, 17, v[40:41] /*v[296:297]*/
	v_mov_b32_e32 v59 /*v315*/, 0
	s_delay_alu instid0(VALU_DEP_2)
	v_cmp_gt_i64_e32 vcc_lo, s[4:5], v[60:61] /*v[316:317]*/
	v_mov_b32_e32 v61 /*v317*/, 0
	s_and_saveexec_b32 s2, vcc_lo
	s_set_vgpr_msb 0                        ;  msbs: dst=0 src0=0 src1=0 src2=0
	s_cbranch_execz .LBB74_186
; %bb.185:                              ;   in Loop: Header=BB74_147 Depth=1
	s_set_vgpr_msb 64                       ;  msbs: dst=1 src0=0 src1=0 src2=0
	v_add_nc_u64_e32 v[60:61] /*v[316:317]*/, v[224:225], v[162:163]
	v_add_nc_u64_e32 v[62:63] /*v[318:319]*/, v[226:227], v[162:163]
	s_set_vgpr_msb 1                        ;  msbs: dst=0 src0=1 src1=0 src2=0
	global_load_u16 v21, v[60:61] /*v[316:317]*/, off
	s_set_vgpr_msb 0x41                     ;  msbs: dst=1 src0=1 src1=0 src2=0
	global_load_u16 v64 /*v320*/, v[62:63] /*v[318:319]*/, off
	s_wait_loadcnt 0x1
	s_set_vgpr_msb 0                        ;  msbs: dst=0 src0=0 src1=0 src2=0
	v_cvt_f32_f16_e32 v21, v21
	s_wait_loadcnt 0x0
	s_set_vgpr_msb 0x41                     ;  msbs: dst=1 src0=1 src1=0 src2=0
	v_cvt_f32_f16_e64 v61 /*v317*/, v64 /*v320*/
.LBB74_186:                             ;   in Loop: Header=BB74_147 Depth=1
	s_or_b32 exec_lo, exec_lo, s2
	s_set_vgpr_msb 0x44                     ;  msbs: dst=1 src0=0 src1=1 src2=0
	v_add_nc_u64_e32 v[62:63] /*v[318:319]*/, 18, v[40:41] /*v[296:297]*/
	s_mov_b32 s2, exec_lo
	s_delay_alu instid0(VALU_DEP_1)
	v_cmpx_gt_i64_e64 s[4:5], v[62:63] /*v[318:319]*/
	s_set_vgpr_msb 0                        ;  msbs: dst=0 src0=0 src1=0 src2=0
	s_cbranch_execz .LBB74_188
; %bb.187:                              ;   in Loop: Header=BB74_147 Depth=1
	s_set_vgpr_msb 64                       ;  msbs: dst=1 src0=0 src1=0 src2=0
	v_add_nc_u64_e32 v[62:63] /*v[318:319]*/, v[220:221], v[162:163]
	v_add_nc_u64_e32 v[64:65] /*v[320:321]*/, v[222:223], v[162:163]
	s_set_vgpr_msb 1                        ;  msbs: dst=0 src0=1 src1=0 src2=0
	global_load_u16 v22, v[62:63] /*v[318:319]*/, off
	s_set_vgpr_msb 0x41                     ;  msbs: dst=1 src0=1 src1=0 src2=0
	global_load_u16 v59 /*v315*/, v[64:65] /*v[320:321]*/, off
	s_wait_loadcnt 0x1
	s_set_vgpr_msb 0                        ;  msbs: dst=0 src0=0 src1=0 src2=0
	v_cvt_f32_f16_e32 v22, v22
	s_wait_loadcnt 0x0
	s_set_vgpr_msb 0x41                     ;  msbs: dst=1 src0=1 src1=0 src2=0
	v_cvt_f32_f16_e64 v59 /*v315*/, v59 /*v315*/
.LBB74_188:                             ;   in Loop: Header=BB74_147 Depth=1
	s_or_b32 exec_lo, exec_lo, s2
	s_set_vgpr_msb 0x44                     ;  msbs: dst=1 src0=0 src1=1 src2=0
	v_add_nc_u64_e32 v[62:63] /*v[318:319]*/, 19, v[40:41] /*v[296:297]*/
	v_dual_mov_b32 v64 /*v320*/, 0 :: v_dual_mov_b32 v65 /*v321*/, 0
	s_mov_b32 s2, exec_lo
	s_delay_alu instid0(VALU_DEP_2)
	v_cmpx_gt_i64_e64 s[4:5], v[62:63] /*v[318:319]*/
	s_set_vgpr_msb 0                        ;  msbs: dst=0 src0=0 src1=0 src2=0
	s_cbranch_execz .LBB74_190
; %bb.189:                              ;   in Loop: Header=BB74_147 Depth=1
	s_set_vgpr_msb 64                       ;  msbs: dst=1 src0=0 src1=0 src2=0
	v_add_nc_u64_e32 v[62:63] /*v[318:319]*/, v[216:217], v[162:163]
	v_add_nc_u64_e32 v[66:67] /*v[322:323]*/, v[218:219], v[162:163]
	s_set_vgpr_msb 1                        ;  msbs: dst=0 src0=1 src1=0 src2=0
	global_load_u16 v23, v[62:63] /*v[318:319]*/, off
	s_set_vgpr_msb 0x41                     ;  msbs: dst=1 src0=1 src1=0 src2=0
	global_load_u16 v60 /*v316*/, v[66:67] /*v[322:323]*/, off
	s_wait_loadcnt 0x1
	s_set_vgpr_msb 0                        ;  msbs: dst=0 src0=0 src1=0 src2=0
	v_cvt_f32_f16_e32 v23, v23
	s_wait_loadcnt 0x0
	s_set_vgpr_msb 0x41                     ;  msbs: dst=1 src0=1 src1=0 src2=0
	v_cvt_f32_f16_e64 v65 /*v321*/, v60 /*v316*/
.LBB74_190:                             ;   in Loop: Header=BB74_147 Depth=1
	s_or_b32 exec_lo, exec_lo, s2
	s_set_vgpr_msb 0x44                     ;  msbs: dst=1 src0=0 src1=1 src2=0
	v_add_nc_u64_e32 v[62:63] /*v[318:319]*/, 20, v[40:41] /*v[296:297]*/
	s_mov_b32 s2, exec_lo
	s_delay_alu instid0(VALU_DEP_1)
	v_cmpx_gt_i64_e64 s[4:5], v[62:63] /*v[318:319]*/
	s_set_vgpr_msb 0                        ;  msbs: dst=0 src0=0 src1=0 src2=0
	s_cbranch_execz .LBB74_192
; %bb.191:                              ;   in Loop: Header=BB74_147 Depth=1
	s_set_vgpr_msb 64                       ;  msbs: dst=1 src0=0 src1=0 src2=0
	v_add_nc_u64_e32 v[62:63] /*v[318:319]*/, v[212:213], v[162:163]
	v_add_nc_u64_e32 v[66:67] /*v[322:323]*/, v[214:215], v[162:163]
	s_set_vgpr_msb 1                        ;  msbs: dst=0 src0=1 src1=0 src2=0
	global_load_u16 v24, v[62:63] /*v[318:319]*/, off
	s_set_vgpr_msb 0x41                     ;  msbs: dst=1 src0=1 src1=0 src2=0
	global_load_u16 v60 /*v316*/, v[66:67] /*v[322:323]*/, off
	s_wait_loadcnt 0x1
	s_set_vgpr_msb 0                        ;  msbs: dst=0 src0=0 src1=0 src2=0
	v_cvt_f32_f16_e32 v24, v24
	s_wait_loadcnt 0x0
	s_set_vgpr_msb 0x41                     ;  msbs: dst=1 src0=1 src1=0 src2=0
	v_cvt_f32_f16_e64 v64 /*v320*/, v60 /*v316*/
.LBB74_192:                             ;   in Loop: Header=BB74_147 Depth=1
	s_or_b32 exec_lo, exec_lo, s2
	s_set_vgpr_msb 0x44                     ;  msbs: dst=1 src0=0 src1=1 src2=0
	v_add_nc_u64_e32 v[62:63] /*v[318:319]*/, 21, v[40:41] /*v[296:297]*/
	v_dual_mov_b32 v60 /*v316*/, 0 :: v_dual_mov_b32 v71 /*v327*/, 0
	s_mov_b32 s2, exec_lo
	s_delay_alu instid0(VALU_DEP_2)
	v_cmpx_gt_i64_e64 s[4:5], v[62:63] /*v[318:319]*/
	s_set_vgpr_msb 0                        ;  msbs: dst=0 src0=0 src1=0 src2=0
	s_cbranch_execz .LBB74_194
; %bb.193:                              ;   in Loop: Header=BB74_147 Depth=1
	s_set_vgpr_msb 64                       ;  msbs: dst=1 src0=0 src1=0 src2=0
	v_add_nc_u64_e32 v[62:63] /*v[318:319]*/, v[208:209], v[162:163]
	v_add_nc_u64_e32 v[66:67] /*v[322:323]*/, v[210:211], v[162:163]
	s_set_vgpr_msb 1                        ;  msbs: dst=0 src0=1 src1=0 src2=0
	global_load_u16 v25, v[62:63] /*v[318:319]*/, off
	s_set_vgpr_msb 0x41                     ;  msbs: dst=1 src0=1 src1=0 src2=0
	global_load_u16 v68 /*v324*/, v[66:67] /*v[322:323]*/, off
	s_wait_loadcnt 0x1
	s_set_vgpr_msb 0                        ;  msbs: dst=0 src0=0 src1=0 src2=0
	v_cvt_f32_f16_e32 v25, v25
	s_wait_loadcnt 0x0
	s_set_vgpr_msb 0x41                     ;  msbs: dst=1 src0=1 src1=0 src2=0
	v_cvt_f32_f16_e64 v71 /*v327*/, v68 /*v324*/
.LBB74_194:                             ;   in Loop: Header=BB74_147 Depth=1
	s_or_b32 exec_lo, exec_lo, s2
	s_set_vgpr_msb 0x44                     ;  msbs: dst=1 src0=0 src1=1 src2=0
	v_add_nc_u64_e32 v[62:63] /*v[318:319]*/, 22, v[40:41] /*v[296:297]*/
	s_mov_b32 s2, exec_lo
	s_delay_alu instid0(VALU_DEP_1)
	v_cmpx_gt_i64_e64 s[4:5], v[62:63] /*v[318:319]*/
	s_set_vgpr_msb 0                        ;  msbs: dst=0 src0=0 src1=0 src2=0
	s_cbranch_execz .LBB74_196
; %bb.195:                              ;   in Loop: Header=BB74_147 Depth=1
	s_set_vgpr_msb 64                       ;  msbs: dst=1 src0=0 src1=0 src2=0
	v_add_nc_u64_e32 v[62:63] /*v[318:319]*/, v[204:205], v[162:163]
	v_add_nc_u64_e32 v[66:67] /*v[322:323]*/, v[206:207], v[162:163]
	s_set_vgpr_msb 1                        ;  msbs: dst=0 src0=1 src1=0 src2=0
	global_load_u16 v26, v[62:63] /*v[318:319]*/, off
	s_set_vgpr_msb 0x41                     ;  msbs: dst=1 src0=1 src1=0 src2=0
	global_load_u16 v60 /*v316*/, v[66:67] /*v[322:323]*/, off
	s_wait_loadcnt 0x1
	s_set_vgpr_msb 0                        ;  msbs: dst=0 src0=0 src1=0 src2=0
	v_cvt_f32_f16_e32 v26, v26
	s_wait_loadcnt 0x0
	s_set_vgpr_msb 0x41                     ;  msbs: dst=1 src0=1 src1=0 src2=0
	v_cvt_f32_f16_e64 v60 /*v316*/, v60 /*v316*/
.LBB74_196:                             ;   in Loop: Header=BB74_147 Depth=1
	s_or_b32 exec_lo, exec_lo, s2
	s_set_vgpr_msb 0x44                     ;  msbs: dst=1 src0=0 src1=1 src2=0
	v_add_nc_u64_e32 v[62:63] /*v[318:319]*/, 23, v[40:41] /*v[296:297]*/
	s_delay_alu instid0(VALU_DEP_1)
	v_cmp_gt_i64_e32 vcc_lo, s[4:5], v[62:63] /*v[318:319]*/
	v_dual_mov_b32 v62 /*v318*/, 0 :: v_dual_mov_b32 v63 /*v319*/, 0
	s_and_saveexec_b32 s2, vcc_lo
	s_set_vgpr_msb 0                        ;  msbs: dst=0 src0=0 src1=0 src2=0
	s_cbranch_execz .LBB74_198
; %bb.197:                              ;   in Loop: Header=BB74_147 Depth=1
	s_set_vgpr_msb 64                       ;  msbs: dst=1 src0=0 src1=0 src2=0
	v_add_nc_u64_e32 v[66:67] /*v[322:323]*/, v[200:201], v[162:163]
	v_add_nc_u64_e32 v[68:69] /*v[324:325]*/, v[202:203], v[162:163]
	s_set_vgpr_msb 1                        ;  msbs: dst=0 src0=1 src1=0 src2=0
	global_load_u16 v27, v[66:67] /*v[322:323]*/, off
	s_set_vgpr_msb 0x41                     ;  msbs: dst=1 src0=1 src1=0 src2=0
	global_load_u16 v63 /*v319*/, v[68:69] /*v[324:325]*/, off
	s_wait_loadcnt 0x1
	s_set_vgpr_msb 0                        ;  msbs: dst=0 src0=0 src1=0 src2=0
	v_cvt_f32_f16_e32 v27, v27
	s_wait_loadcnt 0x0
	s_set_vgpr_msb 0x41                     ;  msbs: dst=1 src0=1 src1=0 src2=0
	v_cvt_f32_f16_e64 v63 /*v319*/, v63 /*v319*/
.LBB74_198:                             ;   in Loop: Header=BB74_147 Depth=1
	s_or_b32 exec_lo, exec_lo, s2
	s_set_vgpr_msb 0x44                     ;  msbs: dst=1 src0=0 src1=1 src2=0
	v_add_nc_u64_e32 v[66:67] /*v[322:323]*/, 24, v[40:41] /*v[296:297]*/
	s_mov_b32 s2, exec_lo
	s_delay_alu instid0(VALU_DEP_1)
	v_cmpx_gt_i64_e64 s[4:5], v[66:67] /*v[322:323]*/
	s_set_vgpr_msb 0                        ;  msbs: dst=0 src0=0 src1=0 src2=0
	s_cbranch_execz .LBB74_200
; %bb.199:                              ;   in Loop: Header=BB74_147 Depth=1
	s_set_vgpr_msb 64                       ;  msbs: dst=1 src0=0 src1=0 src2=0
	v_add_nc_u64_e32 v[66:67] /*v[322:323]*/, v[196:197], v[162:163]
	v_add_nc_u64_e32 v[68:69] /*v[324:325]*/, v[198:199], v[162:163]
	s_set_vgpr_msb 1                        ;  msbs: dst=0 src0=1 src1=0 src2=0
	global_load_u16 v28, v[66:67] /*v[322:323]*/, off
	s_set_vgpr_msb 0x41                     ;  msbs: dst=1 src0=1 src1=0 src2=0
	global_load_u16 v62 /*v318*/, v[68:69] /*v[324:325]*/, off
	s_wait_loadcnt 0x1
	s_set_vgpr_msb 0                        ;  msbs: dst=0 src0=0 src1=0 src2=0
	v_cvt_f32_f16_e32 v28, v28
	s_wait_loadcnt 0x0
	s_set_vgpr_msb 0x41                     ;  msbs: dst=1 src0=1 src1=0 src2=0
	v_cvt_f32_f16_e64 v62 /*v318*/, v62 /*v318*/
.LBB74_200:                             ;   in Loop: Header=BB74_147 Depth=1
	s_or_b32 exec_lo, exec_lo, s2
	s_set_vgpr_msb 0x44                     ;  msbs: dst=1 src0=0 src1=1 src2=0
	v_add_nc_u64_e32 v[66:67] /*v[322:323]*/, 25, v[40:41] /*v[296:297]*/
	s_delay_alu instid0(VALU_DEP_1)
	v_cmp_gt_i64_e32 vcc_lo, s[4:5], v[66:67] /*v[322:323]*/
	v_dual_mov_b32 v66 /*v322*/, 0 :: v_dual_mov_b32 v67 /*v323*/, 0
	s_and_saveexec_b32 s2, vcc_lo
	;; [unrolled: 47-line block ×4, first 2 shown]
	s_set_vgpr_msb 0                        ;  msbs: dst=0 src0=0 src1=0 src2=0
	s_cbranch_execz .LBB74_210
; %bb.209:                              ;   in Loop: Header=BB74_147 Depth=1
	s_set_vgpr_msb 64                       ;  msbs: dst=1 src0=0 src1=0 src2=0
	v_add_nc_u64_e32 v[74:75] /*v[330:331]*/, v[176:177], v[162:163]
	v_add_nc_u64_e32 v[76:77] /*v[332:333]*/, v[178:179], v[162:163]
	s_set_vgpr_msb 1                        ;  msbs: dst=0 src0=1 src1=0 src2=0
	global_load_u16 v33, v[74:75] /*v[330:331]*/, off
	s_set_vgpr_msb 0x41                     ;  msbs: dst=1 src0=1 src1=0 src2=0
	global_load_u16 v70 /*v326*/, v[76:77] /*v[332:333]*/, off
	s_wait_loadcnt 0x1
	s_set_vgpr_msb 0                        ;  msbs: dst=0 src0=0 src1=0 src2=0
	v_cvt_f32_f16_e32 v33, v33
	s_wait_loadcnt 0x0
	s_set_vgpr_msb 0x41                     ;  msbs: dst=1 src0=1 src1=0 src2=0
	v_cvt_f32_f16_e64 v73 /*v329*/, v70 /*v326*/
.LBB74_210:                             ;   in Loop: Header=BB74_147 Depth=1
	s_or_b32 exec_lo, exec_lo, s2
	s_set_vgpr_msb 0x44                     ;  msbs: dst=1 src0=0 src1=1 src2=0
	v_add_nc_u64_e32 v[74:75] /*v[330:331]*/, 30, v[40:41] /*v[296:297]*/
	s_mov_b32 s2, exec_lo
	s_delay_alu instid0(VALU_DEP_1)
	v_cmpx_gt_i64_e64 s[4:5], v[74:75] /*v[330:331]*/
	s_set_vgpr_msb 0                        ;  msbs: dst=0 src0=0 src1=0 src2=0
	s_cbranch_execz .LBB74_212
; %bb.211:                              ;   in Loop: Header=BB74_147 Depth=1
	s_set_vgpr_msb 64                       ;  msbs: dst=1 src0=0 src1=0 src2=0
	v_add_nc_u64_e32 v[74:75] /*v[330:331]*/, v[172:173], v[162:163]
	v_add_nc_u64_e32 v[76:77] /*v[332:333]*/, v[174:175], v[162:163]
	s_set_vgpr_msb 1                        ;  msbs: dst=0 src0=1 src1=0 src2=0
	global_load_u16 v34, v[74:75] /*v[330:331]*/, off
	s_set_vgpr_msb 0x41                     ;  msbs: dst=1 src0=1 src1=0 src2=0
	global_load_u16 v70 /*v326*/, v[76:77] /*v[332:333]*/, off
	s_wait_loadcnt 0x1
	s_set_vgpr_msb 0                        ;  msbs: dst=0 src0=0 src1=0 src2=0
	v_cvt_f32_f16_e32 v34, v34
	s_wait_loadcnt 0x0
	s_set_vgpr_msb 0x41                     ;  msbs: dst=1 src0=1 src1=0 src2=0
	v_cvt_f32_f16_e64 v72 /*v328*/, v70 /*v326*/
.LBB74_212:                             ;   in Loop: Header=BB74_147 Depth=1
	s_or_b32 exec_lo, exec_lo, s2
	s_set_vgpr_msb 0x44                     ;  msbs: dst=1 src0=0 src1=1 src2=0
	v_add_nc_u64_e32 v[74:75] /*v[330:331]*/, 31, v[40:41] /*v[296:297]*/
	v_mov_b32_e32 v70 /*v326*/, 0
	s_mov_b32 s2, exec_lo
	s_delay_alu instid0(VALU_DEP_2)
	v_cmpx_gt_i64_e64 s[4:5], v[74:75] /*v[330:331]*/
	s_set_vgpr_msb 0                        ;  msbs: dst=0 src0=0 src1=0 src2=0
	s_cbranch_execz .LBB74_214
; %bb.213:                              ;   in Loop: Header=BB74_147 Depth=1
	s_set_vgpr_msb 64                       ;  msbs: dst=1 src0=0 src1=0 src2=0
	v_add_nc_u64_e32 v[74:75] /*v[330:331]*/, v[168:169], v[162:163]
	v_add_nc_u64_e32 v[76:77] /*v[332:333]*/, v[170:171], v[162:163]
	s_set_vgpr_msb 1                        ;  msbs: dst=0 src0=1 src1=0 src2=0
	global_load_u16 v35, v[74:75] /*v[330:331]*/, off
	s_set_vgpr_msb 0x41                     ;  msbs: dst=1 src0=1 src1=0 src2=0
	global_load_u16 v70 /*v326*/, v[76:77] /*v[332:333]*/, off
	s_wait_loadcnt 0x1
	s_set_vgpr_msb 0                        ;  msbs: dst=0 src0=0 src1=0 src2=0
	v_cvt_f32_f16_e32 v35, v35
	s_wait_loadcnt 0x0
	s_set_vgpr_msb 0x41                     ;  msbs: dst=1 src0=1 src1=0 src2=0
	v_cvt_f32_f16_e64 v70 /*v326*/, v70 /*v326*/
.LBB74_214:                             ;   in Loop: Header=BB74_147 Depth=1
	s_or_b32 exec_lo, exec_lo, s2
	s_wait_loadcnt 0x1
	s_set_vgpr_msb 0x44                     ;  msbs: dst=1 src0=0 src1=1 src2=0
	ds_bpermute_b32 v75 /*v331*/, v2, v36 /*v292*/
	s_wait_loadcnt 0x0
	ds_bpermute_b32 v74 /*v330*/, v2, v37 /*v293*/
	v_dual_mov_b32 v78 /*v334*/, v6 :: v_dual_mov_b32 v84 /*v340*/, v12
	v_dual_mov_b32 v86 /*v342*/, v13 :: v_dual_mov_b32 v88 /*v344*/, v14
	s_mov_b32 s2, 0
	v_dual_mov_b32 v80 /*v336*/, v7 :: v_dual_mov_b32 v76 /*v332*/, v5
	v_mov_b32_e32 v82 /*v338*/, v9
	s_wait_dscnt 0x1
	s_set_vgpr_msb 0x45                     ;  msbs: dst=1 src0=1 src1=1 src2=0
	v_sub_f32_e32 v43 /*v299*/, v43 /*v299*/, v75 /*v331*/
	s_set_vgpr_msb 0x44                     ;  msbs: dst=1 src0=0 src1=1 src2=0
	s_delay_alu instid0(VALU_DEP_1) | instskip(SKIP_2) | instid1(VALU_DEP_1)
	v_mul_f32_e32 v43 /*v299*/, v4, v43 /*v299*/
	s_wait_dscnt 0x0
	s_set_vgpr_msb 0x45                     ;  msbs: dst=1 src0=1 src1=1 src2=0
	v_mul_f32_e32 v75 /*v331*/, v43 /*v299*/, v74 /*v330*/
	s_set_vgpr_msb 0x44                     ;  msbs: dst=1 src0=0 src1=1 src2=0
	ds_bpermute_b32 v74 /*v330*/, v2, v36 /*v292*/ offset:4
	ds_bpermute_b32 v43 /*v299*/, v2, v37 /*v293*/ offset:4
	s_wait_dscnt 0x1
	s_set_vgpr_msb 0x45                     ;  msbs: dst=1 src0=1 src1=1 src2=0
	v_sub_f32_e32 v44 /*v300*/, v44 /*v300*/, v74 /*v330*/
	s_set_vgpr_msb 0x44                     ;  msbs: dst=1 src0=0 src1=1 src2=0
	s_delay_alu instid0(VALU_DEP_1) | instskip(SKIP_2) | instid1(VALU_DEP_1)
	v_dual_mov_b32 v74 /*v330*/, v4 :: v_dual_mul_f32 v44 /*v300*/, v5, v44 /*v300*/
	s_wait_dscnt 0x0
	s_set_vgpr_msb 0x45                     ;  msbs: dst=1 src0=1 src1=1 src2=0
	v_mul_f32_e32 v77 /*v333*/, v44 /*v300*/, v43 /*v299*/
	s_set_vgpr_msb 0x44                     ;  msbs: dst=1 src0=0 src1=1 src2=0
	ds_bpermute_b32 v44 /*v300*/, v2, v36 /*v292*/ offset:8
	ds_bpermute_b32 v43 /*v299*/, v2, v37 /*v293*/ offset:8
	s_set_vgpr_msb 0x45                     ;  msbs: dst=1 src0=1 src1=1 src2=0
	v_pk_add_f32 v[74:75] /*v[330:331]*/, v[38:39] /*v[294:295]*/, v[74:75] /*v[330:331]*/
	s_set_vgpr_msb 5                        ;  msbs: dst=0 src0=1 src1=1 src2=0
	s_delay_alu instid0(VALU_DEP_1)
	v_pk_add_f32 v[4:5], v[76:77] /*v[332:333]*/, v[74:75] /*v[330:331]*/
	s_wait_dscnt 0x1
	s_set_vgpr_msb 4                        ;  msbs: dst=0 src0=0 src1=1 src2=0
	v_sub_f32_e32 v3, v3, v44 /*v300*/
	s_set_vgpr_msb 64                       ;  msbs: dst=1 src0=0 src1=0 src2=0
	v_mov_b32_e32 v44 /*v300*/, v8
	s_set_vgpr_msb 0                        ;  msbs: dst=0 src0=0 src1=0 src2=0
	s_delay_alu instid0(VALU_DEP_2)
	v_mul_f32_e32 v3, v6, v3
	s_set_vgpr_msb 4                        ;  msbs: dst=0 src0=0 src1=1 src2=0
	ds_bpermute_b32 v6, v2, v36 /*v292*/ offset:44
	s_wait_dscnt 0x0
	s_set_vgpr_msb 1                        ;  msbs: dst=0 src0=1 src1=0 src2=0
	v_sub_f32_e32 v6, v52 /*v308*/, v6
	s_set_vgpr_msb 64                       ;  msbs: dst=1 src0=0 src1=0 src2=0
	v_mov_b32_e32 v52 /*v308*/, v23
	s_set_vgpr_msb 0                        ;  msbs: dst=0 src0=0 src1=0 src2=0
	s_delay_alu instid0(VALU_DEP_2)
	v_mul_f32_e32 v6, v15, v6
	s_set_vgpr_msb 0x44                     ;  msbs: dst=1 src0=0 src1=1 src2=0
	v_mul_f32_e32 v79 /*v335*/, v3, v43 /*v299*/
	ds_bpermute_b32 v43 /*v299*/, v2, v36 /*v292*/ offset:12
	s_set_vgpr_msb 4                        ;  msbs: dst=0 src0=0 src1=1 src2=0
	ds_bpermute_b32 v3, v2, v37 /*v293*/ offset:12
	s_wait_dscnt 0x1
	s_set_vgpr_msb 0x45                     ;  msbs: dst=1 src0=1 src1=1 src2=0
	v_sub_f32_e32 v43 /*v299*/, v46 /*v302*/, v43 /*v299*/
	s_set_vgpr_msb 0x44                     ;  msbs: dst=1 src0=0 src1=1 src2=0
	s_delay_alu instid0(VALU_DEP_1) | instskip(SKIP_2) | instid1(VALU_DEP_1)
	v_dual_mov_b32 v46 /*v302*/, v10 :: v_dual_mul_f32 v43 /*v299*/, v7, v43 /*v299*/
	s_wait_dscnt 0x0
	s_set_vgpr_msb 0x41                     ;  msbs: dst=1 src0=1 src1=0 src2=0
	v_mul_f32_e32 v81 /*v337*/, v43 /*v299*/, v3
	s_set_vgpr_msb 0x44                     ;  msbs: dst=1 src0=0 src1=1 src2=0
	ds_bpermute_b32 v43 /*v299*/, v2, v36 /*v292*/ offset:16
	s_set_vgpr_msb 4                        ;  msbs: dst=0 src0=0 src1=1 src2=0
	ds_bpermute_b32 v3, v2, v37 /*v293*/ offset:16
	s_wait_dscnt 0x1
	s_set_vgpr_msb 0x45                     ;  msbs: dst=1 src0=1 src1=1 src2=0
	v_sub_f32_e32 v43 /*v299*/, v45 /*v301*/, v43 /*v299*/
	s_set_vgpr_msb 0x44                     ;  msbs: dst=1 src0=0 src1=1 src2=0
	s_delay_alu instid0(VALU_DEP_1)
	v_mul_f32_e32 v43 /*v299*/, v8, v43 /*v299*/
	s_set_vgpr_msb 1                        ;  msbs: dst=0 src0=1 src1=0 src2=0
	v_pk_add_f32 v[4:5], v[78:79] /*v[334:335]*/, v[4:5]
	s_set_vgpr_msb 0                        ;  msbs: dst=0 src0=0 src1=0 src2=0
	v_mov_b32_e32 v8, v16
	s_wait_dscnt 0x0
	s_set_vgpr_msb 0x41                     ;  msbs: dst=1 src0=1 src1=0 src2=0
	v_mul_f32_e32 v45 /*v301*/, v43 /*v299*/, v3
	s_set_vgpr_msb 0x44                     ;  msbs: dst=1 src0=0 src1=1 src2=0
	ds_bpermute_b32 v43 /*v299*/, v2, v36 /*v292*/ offset:20
	s_set_vgpr_msb 4                        ;  msbs: dst=0 src0=0 src1=1 src2=0
	ds_bpermute_b32 v3, v2, v37 /*v293*/ offset:20
	s_set_vgpr_msb 1                        ;  msbs: dst=0 src0=1 src1=0 src2=0
	v_pk_add_f32 v[4:5], v[80:81] /*v[336:337]*/, v[4:5]
	s_delay_alu instid0(VALU_DEP_1)
	v_pk_add_f32 v[4:5], v[44:45] /*v[300:301]*/, v[4:5]
	s_set_vgpr_msb 64                       ;  msbs: dst=1 src0=0 src1=0 src2=0
	v_mov_b32_e32 v44 /*v300*/, v19
	s_wait_dscnt 0x1
	s_set_vgpr_msb 0x45                     ;  msbs: dst=1 src0=1 src1=1 src2=0
	v_sub_f32_e32 v43 /*v299*/, v48 /*v304*/, v43 /*v299*/
	s_set_vgpr_msb 0x44                     ;  msbs: dst=1 src0=0 src1=1 src2=0
	v_mov_b32_e32 v48 /*v304*/, v21
	s_delay_alu instid0(VALU_DEP_2) | instskip(SKIP_2) | instid1(VALU_DEP_1)
	v_mul_f32_e32 v43 /*v299*/, v9, v43 /*v299*/
	s_wait_dscnt 0x0
	s_set_vgpr_msb 0x41                     ;  msbs: dst=1 src0=1 src1=0 src2=0
	v_mul_f32_e32 v83 /*v339*/, v43 /*v299*/, v3
	s_set_vgpr_msb 0x44                     ;  msbs: dst=1 src0=0 src1=1 src2=0
	ds_bpermute_b32 v43 /*v299*/, v2, v36 /*v292*/ offset:24
	s_set_vgpr_msb 4                        ;  msbs: dst=0 src0=0 src1=1 src2=0
	ds_bpermute_b32 v3, v2, v37 /*v293*/ offset:24
	s_wait_dscnt 0x1
	s_set_vgpr_msb 0x45                     ;  msbs: dst=1 src0=1 src1=1 src2=0
	v_sub_f32_e32 v43 /*v299*/, v47 /*v303*/, v43 /*v299*/
	s_set_vgpr_msb 0x44                     ;  msbs: dst=1 src0=0 src1=1 src2=0
	s_delay_alu instid0(VALU_DEP_1)
	v_mul_f32_e32 v43 /*v299*/, v10, v43 /*v299*/
	s_set_vgpr_msb 0                        ;  msbs: dst=0 src0=0 src1=0 src2=0
	v_mov_b32_e32 v10, v17
	s_wait_dscnt 0x0
	s_set_vgpr_msb 0x41                     ;  msbs: dst=1 src0=1 src1=0 src2=0
	v_mul_f32_e32 v47 /*v303*/, v43 /*v299*/, v3
	s_set_vgpr_msb 0x44                     ;  msbs: dst=1 src0=0 src1=1 src2=0
	ds_bpermute_b32 v43 /*v299*/, v2, v36 /*v292*/ offset:28
	s_set_vgpr_msb 4                        ;  msbs: dst=0 src0=0 src1=1 src2=0
	ds_bpermute_b32 v3, v2, v37 /*v293*/ offset:28
	s_set_vgpr_msb 1                        ;  msbs: dst=0 src0=1 src1=0 src2=0
	v_pk_add_f32 v[4:5], v[82:83] /*v[338:339]*/, v[4:5]
	s_delay_alu instid0(VALU_DEP_1)
	v_pk_add_f32 v[4:5], v[46:47] /*v[302:303]*/, v[4:5]
	s_set_vgpr_msb 64                       ;  msbs: dst=1 src0=0 src1=0 src2=0
	v_mov_b32_e32 v46 /*v302*/, v20
	s_wait_dscnt 0x1
	s_set_vgpr_msb 0x45                     ;  msbs: dst=1 src0=1 src1=1 src2=0
	v_sub_f32_e32 v43 /*v299*/, v51 /*v307*/, v43 /*v299*/
	s_set_vgpr_msb 0x44                     ;  msbs: dst=1 src0=0 src1=1 src2=0
	s_delay_alu instid0(VALU_DEP_1) | instskip(SKIP_2) | instid1(VALU_DEP_1)
	v_mul_f32_e32 v43 /*v299*/, v11, v43 /*v299*/
	s_wait_dscnt 0x0
	s_set_vgpr_msb 0x41                     ;  msbs: dst=1 src0=1 src1=0 src2=0
	v_mul_f32_e32 v51 /*v307*/, v43 /*v299*/, v3
	s_set_vgpr_msb 0x44                     ;  msbs: dst=1 src0=0 src1=1 src2=0
	ds_bpermute_b32 v43 /*v299*/, v2, v36 /*v292*/ offset:32
	s_set_vgpr_msb 4                        ;  msbs: dst=0 src0=0 src1=1 src2=0
	ds_bpermute_b32 v3, v2, v37 /*v293*/ offset:32
	s_wait_dscnt 0x1
	s_set_vgpr_msb 0x45                     ;  msbs: dst=1 src0=1 src1=1 src2=0
	v_sub_f32_e32 v43 /*v299*/, v50 /*v306*/, v43 /*v299*/
	s_set_vgpr_msb 0x44                     ;  msbs: dst=1 src0=0 src1=1 src2=0
	s_delay_alu instid0(VALU_DEP_1)
	v_dual_mov_b32 v50 /*v306*/, v11 :: v_dual_mul_f32 v43 /*v299*/, v12, v43 /*v299*/
	s_set_vgpr_msb 0                        ;  msbs: dst=0 src0=0 src1=0 src2=0
	v_mov_b32_e32 v12, v18
	s_wait_dscnt 0x0
	s_set_vgpr_msb 0x41                     ;  msbs: dst=1 src0=1 src1=0 src2=0
	v_mul_f32_e32 v85 /*v341*/, v43 /*v299*/, v3
	s_set_vgpr_msb 0x44                     ;  msbs: dst=1 src0=0 src1=1 src2=0
	ds_bpermute_b32 v43 /*v299*/, v2, v36 /*v292*/ offset:36
	s_set_vgpr_msb 4                        ;  msbs: dst=0 src0=0 src1=1 src2=0
	ds_bpermute_b32 v3, v2, v37 /*v293*/ offset:36
	s_set_vgpr_msb 1                        ;  msbs: dst=0 src0=1 src1=0 src2=0
	v_pk_add_f32 v[4:5], v[50:51] /*v[306:307]*/, v[4:5]
	s_set_vgpr_msb 64                       ;  msbs: dst=1 src0=0 src1=0 src2=0
	v_mov_b32_e32 v50 /*v306*/, v22
	s_set_vgpr_msb 1                        ;  msbs: dst=0 src0=1 src1=0 src2=0
	s_delay_alu instid0(VALU_DEP_2)
	v_pk_add_f32 v[4:5], v[84:85] /*v[340:341]*/, v[4:5]
	s_wait_dscnt 0x1
	s_set_vgpr_msb 0x45                     ;  msbs: dst=1 src0=1 src1=1 src2=0
	v_sub_f32_e32 v43 /*v299*/, v56 /*v312*/, v43 /*v299*/
	s_set_vgpr_msb 0x44                     ;  msbs: dst=1 src0=0 src1=1 src2=0
	v_mov_b32_e32 v56 /*v312*/, v25
	s_delay_alu instid0(VALU_DEP_2) | instskip(SKIP_2) | instid1(VALU_DEP_1)
	v_mul_f32_e32 v43 /*v299*/, v13, v43 /*v299*/
	s_wait_dscnt 0x0
	s_set_vgpr_msb 0x41                     ;  msbs: dst=1 src0=1 src1=0 src2=0
	v_mul_f32_e32 v87 /*v343*/, v43 /*v299*/, v3
	s_set_vgpr_msb 0x44                     ;  msbs: dst=1 src0=0 src1=1 src2=0
	ds_bpermute_b32 v43 /*v299*/, v2, v36 /*v292*/ offset:40
	s_set_vgpr_msb 4                        ;  msbs: dst=0 src0=0 src1=1 src2=0
	ds_bpermute_b32 v3, v2, v37 /*v293*/ offset:40
	s_wait_dscnt 0x1
	s_set_vgpr_msb 0x45                     ;  msbs: dst=1 src0=1 src1=1 src2=0
	v_sub_f32_e32 v43 /*v299*/, v54 /*v310*/, v43 /*v299*/
	s_set_vgpr_msb 0x44                     ;  msbs: dst=1 src0=0 src1=1 src2=0
	s_delay_alu instid0(VALU_DEP_1)
	v_dual_mov_b32 v54 /*v310*/, v24 :: v_dual_mul_f32 v43 /*v299*/, v14, v43 /*v299*/
	s_set_vgpr_msb 0                        ;  msbs: dst=0 src0=0 src1=0 src2=0
	v_mov_b32_e32 v14, v30
	s_wait_dscnt 0x0
	s_set_vgpr_msb 0x41                     ;  msbs: dst=1 src0=1 src1=0 src2=0
	v_mul_f32_e32 v89 /*v345*/, v43 /*v299*/, v3
	s_set_vgpr_msb 4                        ;  msbs: dst=0 src0=0 src1=1 src2=0
	ds_bpermute_b32 v3, v2, v37 /*v293*/ offset:44
	s_set_vgpr_msb 1                        ;  msbs: dst=0 src0=1 src1=0 src2=0
	v_pk_add_f32 v[4:5], v[86:87] /*v[342:343]*/, v[4:5]
	s_delay_alu instid0(VALU_DEP_1)
	v_pk_add_f32 v[4:5], v[88:89] /*v[344:345]*/, v[4:5]
	s_wait_dscnt 0x0
	s_set_vgpr_msb 0                        ;  msbs: dst=0 src0=0 src1=0 src2=0
	v_mul_f32_e32 v7, v6, v3
	s_set_vgpr_msb 4                        ;  msbs: dst=0 src0=0 src1=1 src2=0
	ds_bpermute_b32 v6, v2, v36 /*v292*/ offset:48
	ds_bpermute_b32 v3, v2, v37 /*v293*/ offset:48
	s_wait_dscnt 0x1
	s_set_vgpr_msb 1                        ;  msbs: dst=0 src0=1 src1=0 src2=0
	v_sub_f32_e32 v6, v49 /*v305*/, v6
	s_set_vgpr_msb 0                        ;  msbs: dst=0 src0=0 src1=0 src2=0
	s_delay_alu instid0(VALU_DEP_1) | instskip(SKIP_1) | instid1(VALU_DEP_1)
	v_dual_mul_f32 v6, v16, v6 :: v_dual_mov_b32 v16, v31
	s_wait_dscnt 0x0
	v_mul_f32_e32 v9, v6, v3
	s_set_vgpr_msb 4                        ;  msbs: dst=0 src0=0 src1=1 src2=0
	ds_bpermute_b32 v6, v2, v36 /*v292*/ offset:52
	ds_bpermute_b32 v3, v2, v37 /*v293*/ offset:52
	s_wait_dscnt 0x1
	s_set_vgpr_msb 1                        ;  msbs: dst=0 src0=1 src1=0 src2=0
	v_sub_f32_e32 v6, v55 /*v311*/, v6
	s_set_vgpr_msb 0                        ;  msbs: dst=0 src0=0 src1=0 src2=0
	s_delay_alu instid0(VALU_DEP_1) | instskip(SKIP_1) | instid1(VALU_DEP_1)
	v_mul_f32_e32 v6, v17, v6
	s_wait_dscnt 0x0
	v_mul_f32_e32 v11, v6, v3
	s_set_vgpr_msb 4                        ;  msbs: dst=0 src0=0 src1=1 src2=0
	ds_bpermute_b32 v6, v2, v36 /*v292*/ offset:56
	ds_bpermute_b32 v3, v2, v37 /*v293*/ offset:56
	s_wait_dscnt 0x1
	s_set_vgpr_msb 1                        ;  msbs: dst=0 src0=1 src1=0 src2=0
	v_sub_f32_e32 v6, v53 /*v309*/, v6
	s_set_vgpr_msb 0                        ;  msbs: dst=0 src0=0 src1=0 src2=0
	s_delay_alu instid0(VALU_DEP_1) | instskip(SKIP_1) | instid1(VALU_DEP_1)
	v_dual_mul_f32 v6, v18, v6 :: v_dual_mov_b32 v18, v32
	s_wait_dscnt 0x0
	v_mul_f32_e32 v13, v6, v3
	s_set_vgpr_msb 4                        ;  msbs: dst=0 src0=0 src1=1 src2=0
	ds_bpermute_b32 v6, v2, v36 /*v292*/ offset:60
	ds_bpermute_b32 v3, v2, v37 /*v293*/ offset:60
	s_wait_dscnt 0x1
	s_set_vgpr_msb 1                        ;  msbs: dst=0 src0=1 src1=0 src2=0
	v_sub_f32_e32 v6, v58 /*v314*/, v6
	s_set_vgpr_msb 0                        ;  msbs: dst=0 src0=0 src1=0 src2=0
	s_delay_alu instid0(VALU_DEP_1) | instskip(SKIP_2) | instid1(VALU_DEP_1)
	v_mul_f32_e32 v6, v19, v6
	s_wait_dscnt 0x0
	s_set_vgpr_msb 64                       ;  msbs: dst=1 src0=0 src1=0 src2=0
	v_mul_f32_e32 v45 /*v301*/, v6, v3
	s_set_vgpr_msb 4                        ;  msbs: dst=0 src0=0 src1=1 src2=0
	ds_bpermute_b32 v6, v2, v36 /*v292*/ offset:64
	ds_bpermute_b32 v3, v2, v37 /*v293*/ offset:64
	s_wait_dscnt 0x1
	s_set_vgpr_msb 1                        ;  msbs: dst=0 src0=1 src1=0 src2=0
	v_sub_f32_e32 v6, v57 /*v313*/, v6
	s_set_vgpr_msb 0                        ;  msbs: dst=0 src0=0 src1=0 src2=0
	s_delay_alu instid0(VALU_DEP_1) | instskip(SKIP_2) | instid1(VALU_DEP_1)
	v_dual_mul_f32 v6, v20, v6 :: v_dual_mov_b32 v20, v33
	s_wait_dscnt 0x0
	s_set_vgpr_msb 64                       ;  msbs: dst=1 src0=0 src1=0 src2=0
	v_mul_f32_e32 v47 /*v303*/, v6, v3
	s_set_vgpr_msb 4                        ;  msbs: dst=0 src0=0 src1=1 src2=0
	ds_bpermute_b32 v6, v2, v36 /*v292*/ offset:68
	ds_bpermute_b32 v3, v2, v37 /*v293*/ offset:68
	s_wait_dscnt 0x1
	s_set_vgpr_msb 1                        ;  msbs: dst=0 src0=1 src1=0 src2=0
	v_sub_f32_e32 v6, v61 /*v317*/, v6
	s_set_vgpr_msb 0                        ;  msbs: dst=0 src0=0 src1=0 src2=0
	s_delay_alu instid0(VALU_DEP_1) | instskip(SKIP_2) | instid1(VALU_DEP_1)
	v_mul_f32_e32 v6, v21, v6
	s_wait_dscnt 0x0
	s_set_vgpr_msb 64                       ;  msbs: dst=1 src0=0 src1=0 src2=0
	v_mul_f32_e32 v49 /*v305*/, v6, v3
	s_set_vgpr_msb 4                        ;  msbs: dst=0 src0=0 src1=1 src2=0
	ds_bpermute_b32 v6, v2, v36 /*v292*/ offset:72
	ds_bpermute_b32 v3, v2, v37 /*v293*/ offset:72
	s_wait_dscnt 0x1
	s_set_vgpr_msb 1                        ;  msbs: dst=0 src0=1 src1=0 src2=0
	v_sub_f32_e32 v6, v59 /*v315*/, v6
	s_set_vgpr_msb 0                        ;  msbs: dst=0 src0=0 src1=0 src2=0
	s_delay_alu instid0(VALU_DEP_1) | instskip(SKIP_3) | instid1(VALU_DEP_2)
	v_mul_f32_e32 v6, v22, v6
	v_mov_b32_e32 v22, v34
	s_wait_dscnt 0x0
	s_set_vgpr_msb 64                       ;  msbs: dst=1 src0=0 src1=0 src2=0
	v_mul_f32_e32 v51 /*v307*/, v6, v3
	s_set_vgpr_msb 4                        ;  msbs: dst=0 src0=0 src1=1 src2=0
	ds_bpermute_b32 v6, v2, v36 /*v292*/ offset:76
	ds_bpermute_b32 v3, v2, v37 /*v293*/ offset:76
	s_wait_dscnt 0x1
	s_set_vgpr_msb 1                        ;  msbs: dst=0 src0=1 src1=0 src2=0
	v_sub_f32_e32 v6, v65 /*v321*/, v6
	s_set_vgpr_msb 0                        ;  msbs: dst=0 src0=0 src1=0 src2=0
	s_delay_alu instid0(VALU_DEP_1) | instskip(SKIP_2) | instid1(VALU_DEP_1)
	v_mul_f32_e32 v6, v23, v6
	s_wait_dscnt 0x0
	s_set_vgpr_msb 64                       ;  msbs: dst=1 src0=0 src1=0 src2=0
	v_mul_f32_e32 v53 /*v309*/, v6, v3
	s_set_vgpr_msb 4                        ;  msbs: dst=0 src0=0 src1=1 src2=0
	ds_bpermute_b32 v6, v2, v36 /*v292*/ offset:80
	ds_bpermute_b32 v3, v2, v37 /*v293*/ offset:80
	s_wait_dscnt 0x1
	s_set_vgpr_msb 1                        ;  msbs: dst=0 src0=1 src1=0 src2=0
	v_sub_f32_e32 v6, v64 /*v320*/, v6
	s_set_vgpr_msb 0                        ;  msbs: dst=0 src0=0 src1=0 src2=0
	s_delay_alu instid0(VALU_DEP_1) | instskip(SKIP_2) | instid1(VALU_DEP_1)
	v_mul_f32_e32 v6, v24, v6
	;; [unrolled: 12-line block ×3, first 2 shown]
	s_wait_dscnt 0x0
	s_set_vgpr_msb 64                       ;  msbs: dst=1 src0=0 src1=0 src2=0
	v_mul_f32_e32 v57 /*v313*/, v6, v3
	s_set_vgpr_msb 4                        ;  msbs: dst=0 src0=0 src1=1 src2=0
	v_mov_b32_e32 v6, v15
	ds_bpermute_b32 v3, v2, v37 /*v293*/ offset:88
	s_set_vgpr_msb 0                        ;  msbs: dst=0 src0=0 src1=0 src2=0
	v_pk_add_f32 v[4:5], v[6:7], v[4:5]
	s_set_vgpr_msb 4                        ;  msbs: dst=0 src0=0 src1=1 src2=0
	ds_bpermute_b32 v6, v2, v36 /*v292*/ offset:88
	s_set_vgpr_msb 0                        ;  msbs: dst=0 src0=0 src1=0 src2=0
	v_pk_add_f32 v[4:5], v[8:9], v[4:5]
	v_mov_b32_e32 v8, v27
	s_delay_alu instid0(VALU_DEP_2) | instskip(SKIP_1) | instid1(VALU_DEP_2)
	v_pk_add_f32 v[4:5], v[10:11], v[4:5]
	v_mov_b32_e32 v10, v28
	v_pk_add_f32 v[4:5], v[12:13], v[4:5]
	v_mov_b32_e32 v12, v29
	s_set_vgpr_msb 1                        ;  msbs: dst=0 src0=1 src1=0 src2=0
	s_delay_alu instid0(VALU_DEP_2) | instskip(SKIP_2) | instid1(VALU_DEP_2)
	v_pk_add_f32 v[4:5], v[44:45] /*v[300:301]*/, v[4:5]
	s_wait_dscnt 0x0
	v_sub_f32_e32 v6, v60 /*v316*/, v6
	v_pk_add_f32 v[4:5], v[46:47] /*v[302:303]*/, v[4:5]
	s_set_vgpr_msb 0                        ;  msbs: dst=0 src0=0 src1=0 src2=0
	s_delay_alu instid0(VALU_DEP_2) | instskip(SKIP_1) | instid1(VALU_DEP_2)
	v_mul_f32_e32 v6, v26, v6
	s_set_vgpr_msb 1                        ;  msbs: dst=0 src0=1 src1=0 src2=0
	v_pk_add_f32 v[4:5], v[48:49] /*v[304:305]*/, v[4:5]
	s_set_vgpr_msb 0                        ;  msbs: dst=0 src0=0 src1=0 src2=0
	s_delay_alu instid0(VALU_DEP_2)
	v_mul_f32_e32 v7, v6, v3
	s_set_vgpr_msb 4                        ;  msbs: dst=0 src0=0 src1=1 src2=0
	ds_bpermute_b32 v6, v2, v36 /*v292*/ offset:92
	ds_bpermute_b32 v3, v2, v37 /*v293*/ offset:92
	s_set_vgpr_msb 1                        ;  msbs: dst=0 src0=1 src1=0 src2=0
	v_pk_add_f32 v[4:5], v[50:51] /*v[306:307]*/, v[4:5]
	s_delay_alu instid0(VALU_DEP_1) | instskip(NEXT) | instid1(VALU_DEP_1)
	v_pk_add_f32 v[4:5], v[52:53] /*v[308:309]*/, v[4:5]
	v_pk_add_f32 v[4:5], v[54:55] /*v[310:311]*/, v[4:5]
	s_delay_alu instid0(VALU_DEP_1) | instskip(SKIP_3) | instid1(VALU_DEP_1)
	v_pk_add_f32 v[4:5], v[56:57] /*v[312:313]*/, v[4:5]
	s_wait_dscnt 0x1
	v_sub_f32_e32 v6, v63 /*v319*/, v6
	s_set_vgpr_msb 0                        ;  msbs: dst=0 src0=0 src1=0 src2=0
	v_mul_f32_e32 v6, v27, v6
	s_wait_dscnt 0x0
	s_delay_alu instid0(VALU_DEP_1)
	v_mul_f32_e32 v9, v6, v3
	s_set_vgpr_msb 4                        ;  msbs: dst=0 src0=0 src1=1 src2=0
	ds_bpermute_b32 v6, v2, v36 /*v292*/ offset:96
	ds_bpermute_b32 v3, v2, v37 /*v293*/ offset:96
	s_wait_dscnt 0x1
	s_set_vgpr_msb 1                        ;  msbs: dst=0 src0=1 src1=0 src2=0
	v_sub_f32_e32 v6, v62 /*v318*/, v6
	s_set_vgpr_msb 0                        ;  msbs: dst=0 src0=0 src1=0 src2=0
	s_delay_alu instid0(VALU_DEP_1) | instskip(SKIP_1) | instid1(VALU_DEP_1)
	v_mul_f32_e32 v6, v28, v6
	s_wait_dscnt 0x0
	v_mul_f32_e32 v11, v6, v3
	s_set_vgpr_msb 4                        ;  msbs: dst=0 src0=0 src1=1 src2=0
	ds_bpermute_b32 v6, v2, v36 /*v292*/ offset:100
	ds_bpermute_b32 v3, v2, v37 /*v293*/ offset:100
	s_wait_dscnt 0x1
	s_set_vgpr_msb 1                        ;  msbs: dst=0 src0=1 src1=0 src2=0
	v_sub_f32_e32 v6, v67 /*v323*/, v6
	s_set_vgpr_msb 0                        ;  msbs: dst=0 src0=0 src1=0 src2=0
	s_delay_alu instid0(VALU_DEP_1) | instskip(SKIP_1) | instid1(VALU_DEP_1)
	v_mul_f32_e32 v6, v29, v6
	s_wait_dscnt 0x0
	;; [unrolled: 11-line block ×7, first 2 shown]
	v_mul_f32_e32 v23, v6, v3
	v_mov_b32_e32 v6, v26
	s_set_vgpr_msb 4                        ;  msbs: dst=0 src0=0 src1=1 src2=0
	ds_bpermute_b32 v3, v2, v37 /*v293*/ offset:124
	s_set_vgpr_msb 0                        ;  msbs: dst=0 src0=0 src1=0 src2=0
	v_pk_add_f32 v[4:5], v[6:7], v[4:5]
	s_set_vgpr_msb 4                        ;  msbs: dst=0 src0=0 src1=1 src2=0
	ds_bpermute_b32 v6, v2, v36 /*v292*/ offset:124
	s_set_vgpr_msb 0                        ;  msbs: dst=0 src0=0 src1=0 src2=0
	v_pk_add_f32 v[4:5], v[8:9], v[4:5]
	s_delay_alu instid0(VALU_DEP_1) | instskip(NEXT) | instid1(VALU_DEP_1)
	v_pk_add_f32 v[4:5], v[10:11], v[4:5]
	v_pk_add_f32 v[4:5], v[12:13], v[4:5]
	s_delay_alu instid0(VALU_DEP_1)
	v_pk_add_f32 v[4:5], v[14:15], v[4:5]
	s_wait_dscnt 0x0
	s_set_vgpr_msb 1                        ;  msbs: dst=0 src0=1 src1=0 src2=0
	v_sub_f32_e32 v6, v70 /*v326*/, v6
	s_set_vgpr_msb 0                        ;  msbs: dst=0 src0=0 src1=0 src2=0
	v_pk_add_f32 v[4:5], v[16:17], v[4:5]
	s_delay_alu instid0(VALU_DEP_2) | instskip(NEXT) | instid1(VALU_DEP_2)
	v_mul_f32_e32 v6, v35, v6
	v_pk_add_f32 v[4:5], v[18:19], v[4:5]
	s_delay_alu instid0(VALU_DEP_2) | instskip(NEXT) | instid1(VALU_DEP_2)
	v_dual_mul_f32 v7, v6, v3 :: v_dual_mov_b32 v6, v35
	v_pk_add_f32 v[4:5], v[20:21], v[4:5]
	s_delay_alu instid0(VALU_DEP_1) | instskip(SKIP_1) | instid1(VALU_DEP_1)
	v_pk_add_f32 v[4:5], v[22:23], v[4:5]
	s_set_vgpr_msb 64                       ;  msbs: dst=1 src0=0 src1=0 src2=0
	v_pk_add_f32 v[36:37] /*v[292:293]*/, v[6:7], v[4:5]
.LBB74_215:                             ;   in Loop: Header=BB74_147 Depth=1
	s_and_b32 vcc_lo, exec_lo, s2
	s_set_vgpr_msb 0                        ;  msbs: dst=0 src0=0 src1=0 src2=0
	s_cbranch_vccz .LBB74_146
; %bb.216:                              ;   in Loop: Header=BB74_147 Depth=1
	s_load_b32 s2, s[20:21], 0x0
	v_dual_mov_b32 v5, v2 :: v_dual_mov_b32 v6, 0
	s_wait_kmcnt 0x0
	s_cmp_lt_u32 s16, s2
	s_cselect_b32 s2, 12, 18
	s_delay_alu instid0(SALU_CYCLE_1)
	s_add_nc_u64 s[26:27], s[20:21], s[2:3]
	s_load_u16 s2, s[26:27], 0x0
	s_wait_kmcnt 0x0
	s_set_vgpr_msb 16                       ;  msbs: dst=0 src0=0 src1=0 src2=1
	v_mad_u32_u24 v3, v1, s2, v42 /*v298*/
	s_mov_b32 s2, exec_lo
	s_delay_alu instid0(VALU_DEP_1) | instskip(SKIP_1) | instid1(VALU_DEP_1)
	v_dual_mov_b32 v3, 0 :: v_dual_bitop2_b32 v4, 31, v3 bitop3:0x40
	s_set_vgpr_msb 1                        ;  msbs: dst=0 src0=1 src1=0 src2=0
	v_add_nc_u64_e32 v[4:5], v[40:41] /*v[296:297]*/, v[4:5]
	s_delay_alu instid0(VALU_DEP_1)
	v_cmpx_gt_i64_e64 s[4:5], v[4:5]
	s_set_vgpr_msb 0                        ;  msbs: dst=0 src0=0 src1=0 src2=0
	s_cbranch_execz .LBB74_145
; %bb.217:                              ;   in Loop: Header=BB74_147 Depth=1
	v_lshlrev_b64_e32 v[4:5], 2, v[4:5]
	s_delay_alu instid0(VALU_DEP_1)
	v_add_nc_u64_e32 v[8:9], s[12:13], v[4:5]
	v_add_nc_u64_e32 v[4:5], s[14:15], v[4:5]
	global_load_b32 v6, v[8:9], off
	global_load_b32 v3, v[4:5], off
	s_branch .LBB74_145
.LBB74_218:
	s_set_vgpr_msb 64                       ;  msbs: dst=1 src0=0 src1=0 src2=0
	v_mov_b64_e32 v[36:37] /*v[292:293]*/, 0
.LBB74_219:
	s_mov_b32 s17, 0
	s_delay_alu instid0(SALU_CYCLE_1) | instskip(SKIP_4) | instid1(VALU_DEP_1)
	s_lshl_b64 s[2:3], s[16:17], 6
	s_set_vgpr_msb 0                        ;  msbs: dst=0 src0=0 src1=0 src2=0
	v_and_or_b32 v2, 0x3ff, v0, s2
	v_mov_b32_e32 v3, s3
	s_mov_b32 s2, exec_lo
	v_cmpx_gt_i64_e64 s[6:7], v[2:3]
	s_cbranch_execz .LBB74_224
; %bb.220:
	s_load_u16 s2, s[0:1], 0x4e
	v_bfe_u32 v0, v0, 10, 10
	v_mov_b32_e32 v1, 0
	s_wait_kmcnt 0x0
	s_delay_alu instid0(VALU_DEP_1) | instskip(SKIP_1) | instid1(VALU_DEP_1)
	v_mad_nc_u64_u32 v[0:1], s2, s33, v[0:1]
	s_load_b128 s[0:3], s[0:1], 0x30
	v_mul_u64_e32 v[0:1], s[6:7], v[0:1]
	s_wait_kmcnt 0x0
	s_cmp_eq_u64 s[0:1], 0
	s_cbranch_scc1 .LBB74_222
; %bb.221:
	s_delay_alu instid0(VALU_DEP_1) | instskip(SKIP_3) | instid1(VALU_DEP_2)
	v_lshl_add_u64 v[4:5], v[0:1], 1, s[0:1]
	s_set_vgpr_msb 1                        ;  msbs: dst=0 src0=1 src1=0 src2=0
	v_cvt_f16_f32_e64 v6, v37 /*v293*/
	s_set_vgpr_msb 0                        ;  msbs: dst=0 src0=0 src1=0 src2=0
	v_lshl_add_u64 v[4:5], v[2:3], 1, v[4:5]
	global_store_b16 v[4:5], v6, off
.LBB74_222:
	s_cmp_eq_u64 s[2:3], 0
	s_cbranch_scc1 .LBB74_224
; %bb.223:
	s_delay_alu instid0(VALU_DEP_1)
	v_lshl_add_u64 v[0:1], v[0:1], 1, s[2:3]
	s_wait_xcnt 0x0
	s_set_vgpr_msb 1                        ;  msbs: dst=0 src0=1 src1=0 src2=0
	v_cvt_f16_f32_e64 v4, v36 /*v292*/
	s_set_vgpr_msb 0                        ;  msbs: dst=0 src0=0 src1=0 src2=0
	v_lshl_add_u64 v[0:1], v[2:3], 1, v[0:1]
	global_store_b16 v[0:1], v4, off
.LBB74_224:
	s_sendmsg sendmsg(MSG_DEALLOC_VGPRS)
	s_endpgm
	.section	.rodata,"a",@progbits
	.p2align	6, 0x0
	.amdhsa_kernel _ZN2at6native12_GLOBAL__N_135GammaBetaBackwardCUDAKernelTemplateIN3c104HalfEfLj64ELj1ELj32ELb1ELb0ELb0EEEvllPKT_S7_PKT0_SA_PS5_SB_
		.amdhsa_group_segment_fixed_size 0
		.amdhsa_private_segment_fixed_size 0
		.amdhsa_kernarg_size 320
		.amdhsa_user_sgpr_count 2
		.amdhsa_user_sgpr_dispatch_ptr 0
		.amdhsa_user_sgpr_queue_ptr 0
		.amdhsa_user_sgpr_kernarg_segment_ptr 1
		.amdhsa_user_sgpr_dispatch_id 0
		.amdhsa_user_sgpr_kernarg_preload_length 0
		.amdhsa_user_sgpr_kernarg_preload_offset 0
		.amdhsa_user_sgpr_private_segment_size 0
		.amdhsa_wavefront_size32 1
		.amdhsa_uses_dynamic_stack 0
		.amdhsa_enable_private_segment 0
		.amdhsa_system_sgpr_workgroup_id_x 1
		.amdhsa_system_sgpr_workgroup_id_y 1
		.amdhsa_system_sgpr_workgroup_id_z 0
		.amdhsa_system_sgpr_workgroup_info 0
		.amdhsa_system_vgpr_workitem_id 1
		.amdhsa_next_free_vgpr 346
		.amdhsa_next_free_sgpr 36
		.amdhsa_named_barrier_count 0
		.amdhsa_reserve_vcc 1
		.amdhsa_float_round_mode_32 0
		.amdhsa_float_round_mode_16_64 0
		.amdhsa_float_denorm_mode_32 3
		.amdhsa_float_denorm_mode_16_64 3
		.amdhsa_fp16_overflow 0
		.amdhsa_memory_ordered 1
		.amdhsa_forward_progress 1
		.amdhsa_inst_pref_size 189
		.amdhsa_round_robin_scheduling 0
		.amdhsa_exception_fp_ieee_invalid_op 0
		.amdhsa_exception_fp_denorm_src 0
		.amdhsa_exception_fp_ieee_div_zero 0
		.amdhsa_exception_fp_ieee_overflow 0
		.amdhsa_exception_fp_ieee_underflow 0
		.amdhsa_exception_fp_ieee_inexact 0
		.amdhsa_exception_int_div_zero 0
	.end_amdhsa_kernel
	.section	.text._ZN2at6native12_GLOBAL__N_135GammaBetaBackwardCUDAKernelTemplateIN3c104HalfEfLj64ELj1ELj32ELb1ELb0ELb0EEEvllPKT_S7_PKT0_SA_PS5_SB_,"axG",@progbits,_ZN2at6native12_GLOBAL__N_135GammaBetaBackwardCUDAKernelTemplateIN3c104HalfEfLj64ELj1ELj32ELb1ELb0ELb0EEEvllPKT_S7_PKT0_SA_PS5_SB_,comdat
.Lfunc_end74:
	.size	_ZN2at6native12_GLOBAL__N_135GammaBetaBackwardCUDAKernelTemplateIN3c104HalfEfLj64ELj1ELj32ELb1ELb0ELb0EEEvllPKT_S7_PKT0_SA_PS5_SB_, .Lfunc_end74-_ZN2at6native12_GLOBAL__N_135GammaBetaBackwardCUDAKernelTemplateIN3c104HalfEfLj64ELj1ELj32ELb1ELb0ELb0EEEvllPKT_S7_PKT0_SA_PS5_SB_
                                        ; -- End function
	.set _ZN2at6native12_GLOBAL__N_135GammaBetaBackwardCUDAKernelTemplateIN3c104HalfEfLj64ELj1ELj32ELb1ELb0ELb0EEEvllPKT_S7_PKT0_SA_PS5_SB_.num_vgpr, 346
	.set _ZN2at6native12_GLOBAL__N_135GammaBetaBackwardCUDAKernelTemplateIN3c104HalfEfLj64ELj1ELj32ELb1ELb0ELb0EEEvllPKT_S7_PKT0_SA_PS5_SB_.num_agpr, 0
	.set _ZN2at6native12_GLOBAL__N_135GammaBetaBackwardCUDAKernelTemplateIN3c104HalfEfLj64ELj1ELj32ELb1ELb0ELb0EEEvllPKT_S7_PKT0_SA_PS5_SB_.numbered_sgpr, 36
	.set _ZN2at6native12_GLOBAL__N_135GammaBetaBackwardCUDAKernelTemplateIN3c104HalfEfLj64ELj1ELj32ELb1ELb0ELb0EEEvllPKT_S7_PKT0_SA_PS5_SB_.num_named_barrier, 0
	.set _ZN2at6native12_GLOBAL__N_135GammaBetaBackwardCUDAKernelTemplateIN3c104HalfEfLj64ELj1ELj32ELb1ELb0ELb0EEEvllPKT_S7_PKT0_SA_PS5_SB_.private_seg_size, 0
	.set _ZN2at6native12_GLOBAL__N_135GammaBetaBackwardCUDAKernelTemplateIN3c104HalfEfLj64ELj1ELj32ELb1ELb0ELb0EEEvllPKT_S7_PKT0_SA_PS5_SB_.uses_vcc, 1
	.set _ZN2at6native12_GLOBAL__N_135GammaBetaBackwardCUDAKernelTemplateIN3c104HalfEfLj64ELj1ELj32ELb1ELb0ELb0EEEvllPKT_S7_PKT0_SA_PS5_SB_.uses_flat_scratch, 0
	.set _ZN2at6native12_GLOBAL__N_135GammaBetaBackwardCUDAKernelTemplateIN3c104HalfEfLj64ELj1ELj32ELb1ELb0ELb0EEEvllPKT_S7_PKT0_SA_PS5_SB_.has_dyn_sized_stack, 0
	.set _ZN2at6native12_GLOBAL__N_135GammaBetaBackwardCUDAKernelTemplateIN3c104HalfEfLj64ELj1ELj32ELb1ELb0ELb0EEEvllPKT_S7_PKT0_SA_PS5_SB_.has_recursion, 0
	.set _ZN2at6native12_GLOBAL__N_135GammaBetaBackwardCUDAKernelTemplateIN3c104HalfEfLj64ELj1ELj32ELb1ELb0ELb0EEEvllPKT_S7_PKT0_SA_PS5_SB_.has_indirect_call, 0
	.section	.AMDGPU.csdata,"",@progbits
; Kernel info:
; codeLenInByte = 24096
; TotalNumSgprs: 38
; NumVgprs: 346
; ScratchSize: 0
; MemoryBound: 0
; FloatMode: 240
; IeeeMode: 1
; LDSByteSize: 0 bytes/workgroup (compile time only)
; SGPRBlocks: 0
; VGPRBlocks: 21
; NumSGPRsForWavesPerEU: 38
; NumVGPRsForWavesPerEU: 346
; NamedBarCnt: 0
; Occupancy: 2
; WaveLimiterHint : 0
; COMPUTE_PGM_RSRC2:SCRATCH_EN: 0
; COMPUTE_PGM_RSRC2:USER_SGPR: 2
; COMPUTE_PGM_RSRC2:TRAP_HANDLER: 0
; COMPUTE_PGM_RSRC2:TGID_X_EN: 1
; COMPUTE_PGM_RSRC2:TGID_Y_EN: 1
; COMPUTE_PGM_RSRC2:TGID_Z_EN: 0
; COMPUTE_PGM_RSRC2:TIDIG_COMP_CNT: 1
	.section	.text._ZN2at6native12_GLOBAL__N_135GammaBetaBackwardCUDAKernelTemplateIN3c104HalfEfLj64ELj1ELj8ELb1ELb1ELb0EEEvllPKT_S7_PKT0_SA_PS5_SB_,"axG",@progbits,_ZN2at6native12_GLOBAL__N_135GammaBetaBackwardCUDAKernelTemplateIN3c104HalfEfLj64ELj1ELj8ELb1ELb1ELb0EEEvllPKT_S7_PKT0_SA_PS5_SB_,comdat
	.globl	_ZN2at6native12_GLOBAL__N_135GammaBetaBackwardCUDAKernelTemplateIN3c104HalfEfLj64ELj1ELj8ELb1ELb1ELb0EEEvllPKT_S7_PKT0_SA_PS5_SB_ ; -- Begin function _ZN2at6native12_GLOBAL__N_135GammaBetaBackwardCUDAKernelTemplateIN3c104HalfEfLj64ELj1ELj8ELb1ELb1ELb0EEEvllPKT_S7_PKT0_SA_PS5_SB_
	.p2align	8
	.type	_ZN2at6native12_GLOBAL__N_135GammaBetaBackwardCUDAKernelTemplateIN3c104HalfEfLj64ELj1ELj8ELb1ELb1ELb0EEEvllPKT_S7_PKT0_SA_PS5_SB_,@function
_ZN2at6native12_GLOBAL__N_135GammaBetaBackwardCUDAKernelTemplateIN3c104HalfEfLj64ELj1ELj8ELb1ELb1ELb0EEEvllPKT_S7_PKT0_SA_PS5_SB_: ; @_ZN2at6native12_GLOBAL__N_135GammaBetaBackwardCUDAKernelTemplateIN3c104HalfEfLj64ELj1ELj8ELb1ELb1ELb0EEEvllPKT_S7_PKT0_SA_PS5_SB_
; %bb.0:
	s_load_b128 s[12:15], s[0:1], 0x0
	s_bfe_u32 s3, ttmp6, 0x4000c
	s_bfe_u32 s4, ttmp6, 0x40010
	s_add_co_i32 s3, s3, 1
	s_add_co_i32 s4, s4, 1
	s_and_b32 s2, ttmp6, 15
	s_bfe_u32 s5, ttmp6, 0x40004
	s_mul_i32 s3, ttmp9, s3
	s_mul_i32 s4, ttmp7, s4
	s_getreg_b32 s6, hwreg(HW_REG_IB_STS2, 6, 4)
	s_add_co_i32 s2, s2, s3
	s_add_co_i32 s5, s5, s4
	s_cmp_eq_u32 s6, 0
	s_mov_b32 s19, 0
	s_cselect_b32 s17, ttmp7, s5
	s_cselect_b32 s16, ttmp9, s2
	s_lshl_b32 s18, s17, 3
	v_bfe_u32 v1, v0, 10, 10
	s_add_nc_u64 s[20:21], s[0:1], 64
	s_wait_kmcnt 0x0
	v_cmp_gt_i64_e64 s2, s[12:13], s[18:19]
	s_and_b32 vcc_lo, exec_lo, s2
	s_cbranch_vccnz .LBB75_2
; %bb.1:
	v_bfe_u32 v2, v0, 10, 10
	s_add_nc_u64 s[4:5], s[0:1], 64
	s_mov_b32 s2, s19
	s_branch .LBB75_3
.LBB75_2:
	s_mov_b32 s2, -1
                                        ; implicit-def: $sgpr4_sgpr5
                                        ; implicit-def: $vgpr2
.LBB75_3:
	v_and_b32_e32 v0, 0x3ff, v0
	v_mov_b32_e32 v4, 0
	s_and_not1_b32 vcc_lo, exec_lo, s2
	s_mov_b32 s23, 0
	s_cbranch_vccnz .LBB75_11
; %bb.4:
	v_dual_mov_b32 v3, 0 :: v_dual_lshlrev_b32 v2, 3, v1
	s_clause 0x2
	s_load_b32 s2, s[0:1], 0x4c
	s_load_b32 s3, s[0:1], 0x44
	s_load_b256 s[4:11], s[0:1], 0x10
	v_mov_b32_e32 v13, 12
	v_lshl_add_u32 v6, s16, 6, v0
	v_add_nc_u64_e32 v[4:5], s[18:19], v[2:3]
	v_dual_mov_b32 v19, v3 :: v_dual_mov_b32 v2, 8
	v_dual_mov_b32 v12, 4 :: v_dual_mov_b32 v14, 16
	;; [unrolled: 1-line block ×3, first 2 shown]
	v_mov_b32_e32 v17, 28
	v_mul_u64_e32 v[8:9], s[14:15], v[4:5]
	v_dual_mov_b32 v10, 0 :: v_dual_mov_b32 v11, v3
	s_lshl_b64 s[28:29], s[14:15], 1
	s_wait_kmcnt 0x0
	s_lshl_b32 s22, s3, 3
	s_and_b32 s2, s2, 0xffff
	s_mul_u64 s[26:27], s[14:15], s[22:23]
	v_mad_u32_u24 v7, v1, s2, v0
	s_lshl_b64 s[24:25], s[22:23], 2
	s_lshl_b64 s[26:27], s[26:27], 1
	s_delay_alu instid0(VALU_DEP_1) | instskip(NEXT) | instid1(VALU_DEP_1)
	v_dual_mov_b32 v7, v3 :: v_dual_bitop2_b32 v18, 31, v7 bitop3:0x40
	v_add_nc_u64_e32 v[4:5], v[4:5], v[18:19]
	s_delay_alu instid0(VALU_DEP_2) | instskip(SKIP_1) | instid1(VALU_DEP_3)
	v_lshlrev_b64_e32 v[20:21], 1, v[6:7]
	v_cmp_gt_u32_e64 s2, 8, v18
	v_lshlrev_b64_e32 v[6:7], 2, v[4:5]
	s_delay_alu instid0(VALU_DEP_3)
	v_lshl_add_u64 v[8:9], v[8:9], 1, v[20:21]
	s_branch .LBB75_7
.LBB75_5:                               ;   in Loop: Header=BB75_7 Depth=1
	s_wait_xcnt 0x0
	s_or_b32 exec_lo, exec_lo, s30
.LBB75_6:                               ;   in Loop: Header=BB75_7 Depth=1
	s_delay_alu instid0(SALU_CYCLE_1)
	s_or_b32 exec_lo, exec_lo, s3
	v_add_nc_u64_e32 v[20:21], s[6:7], v[8:9]
	v_add_nc_u64_e32 v[22:23], s[4:5], v[8:9]
	s_wait_loadcnt 0x1
	ds_bpermute_b32 v43, v2, v19
	ds_bpermute_b32 v45, v13, v19
	s_wait_loadcnt 0x0
	ds_bpermute_b32 v42, v2, v18
	ds_bpermute_b32 v46, v14, v19
	;; [unrolled: 1-line block ×3, first 2 shown]
	v_add_nc_u64_e32 v[24:25], s[28:29], v[20:21]
	v_add_nc_u64_e32 v[26:27], s[28:29], v[22:23]
	global_load_u16 v28, v[20:21], off
	global_load_u16 v29, v[22:23], off
	ds_bpermute_b32 v47, v15, v18
	ds_bpermute_b32 v48, v16, v18
	s_add_nc_u64 s[18:19], s[18:19], s[22:23]
	s_wait_xcnt 0x1
	v_add_nc_u64_e32 v[20:21], s[28:29], v[24:25]
	s_wait_xcnt 0x0
	v_add_nc_u64_e32 v[22:23], s[28:29], v[26:27]
	global_load_u16 v30, v[24:25], off
	global_load_u16 v31, v[26:27], off
	v_cmp_lt_i64_e64 s3, s[18:19], s[12:13]
	v_add_nc_u64_e32 v[6:7], s[24:25], v[6:7]
	v_add_nc_u64_e32 v[4:5], s[22:23], v[4:5]
	;; [unrolled: 1-line block ×3, first 2 shown]
	s_wait_xcnt 0x1
	v_add_nc_u64_e32 v[24:25], s[28:29], v[20:21]
	s_wait_xcnt 0x0
	v_add_nc_u64_e32 v[26:27], s[28:29], v[22:23]
	global_load_u16 v32, v[20:21], off
	global_load_u16 v33, v[22:23], off
	s_and_b32 vcc_lo, exec_lo, s3
	global_load_u16 v34, v[24:25], off
	global_load_u16 v35, v[26:27], off
	s_wait_xcnt 0x3
	v_add_nc_u64_e32 v[20:21], s[28:29], v[24:25]
	s_wait_xcnt 0x2
	v_add_nc_u64_e32 v[22:23], s[28:29], v[26:27]
	s_wait_xcnt 0x1
	s_delay_alu instid0(VALU_DEP_2)
	v_add_nc_u64_e32 v[24:25], s[28:29], v[20:21]
	global_load_u16 v26, v[20:21], off
	s_wait_xcnt 0x0
	v_add_nc_u64_e32 v[20:21], s[28:29], v[22:23]
	global_load_u16 v27, v[22:23], off
	global_load_u16 v36, v[24:25], off
	;; [unrolled: 1-line block ×3, first 2 shown]
	s_wait_xcnt 0x2
	v_add_nc_u64_e32 v[22:23], s[28:29], v[24:25]
	global_load_u16 v38, v[22:23], off
	s_wait_xcnt 0x2
	v_add_nc_u64_e32 v[24:25], s[28:29], v[20:21]
	s_wait_xcnt 0x1
	v_add_nc_u64_e32 v[20:21], s[28:29], v[22:23]
	s_wait_xcnt 0x0
	s_delay_alu instid0(VALU_DEP_2)
	v_add_nc_u64_e32 v[22:23], s[28:29], v[24:25]
	global_load_u16 v39, v[24:25], off
	global_load_u16 v40, v[20:21], off
	;; [unrolled: 1-line block ×3, first 2 shown]
	s_wait_xcnt 0x1
	ds_bpermute_b32 v21, v3, v19
	s_wait_xcnt 0x0
	ds_bpermute_b32 v23, v12, v19
	ds_bpermute_b32 v24, v3, v18
	;; [unrolled: 1-line block ×3, first 2 shown]
	s_wait_loadcnt 0xf
	v_cvt_f32_f16_e32 v22, v28
	s_wait_loadcnt 0xe
	v_cvt_f32_f16_e32 v20, v29
	ds_bpermute_b32 v28, v14, v18
	s_wait_loadcnt 0xd
	v_cvt_f32_f16_e32 v29, v30
	s_wait_dscnt 0x4
	v_sub_f32_e32 v21, v22, v21
	ds_bpermute_b32 v30, v15, v19
	s_wait_loadcnt 0xc
	v_cvt_f32_f16_e32 v22, v31
	s_wait_dscnt 0x4
	v_sub_f32_e32 v23, v29, v23
	v_mul_f32_e32 v21, v21, v20
	ds_bpermute_b32 v29, v16, v19
	s_wait_loadcnt 0xb
	v_cvt_f32_f16_e32 v31, v32
	ds_bpermute_b32 v32, v17, v19
	s_wait_dscnt 0x5
	v_dual_mul_f32 v19, v23, v22 :: v_dual_mul_f32 v21, v21, v24
	s_wait_loadcnt 0xa
	v_cvt_f32_f16_e32 v24, v33
	v_sub_f32_e32 v31, v31, v43
	s_wait_loadcnt 0x9
	v_cvt_f32_f16_e32 v33, v34
	s_wait_dscnt 0x4
	v_mul_f32_e32 v23, v19, v25
	v_pk_add_f32 v[10:11], v[10:11], v[20:21]
	s_wait_loadcnt 0x8
	v_cvt_f32_f16_e32 v20, v35
	v_dual_mul_f32 v19, v31, v24 :: v_dual_sub_f32 v21, v33, v45
	s_wait_loadcnt 0x7
	v_cvt_f32_f16_e32 v26, v26
	s_delay_alu instid0(VALU_DEP_2)
	v_mul_f32_e32 v25, v19, v42
	v_pk_add_f32 v[10:11], v[10:11], v[22:23]
	s_wait_loadcnt 0x6
	v_cvt_f32_f16_e32 v22, v27
	v_dual_mul_f32 v19, v21, v20 :: v_dual_sub_f32 v23, v26, v46
	s_wait_loadcnt 0x5
	v_cvt_f32_f16_e32 v27, v36
	ds_bpermute_b32 v26, v17, v18
	v_pk_add_f32 v[10:11], v[10:11], v[24:25]
	s_wait_loadcnt 0x4
	v_cvt_f32_f16_e32 v18, v37
	s_wait_dscnt 0x3
	v_sub_f32_e32 v24, v27, v30
	v_mul_f32_e32 v21, v19, v44
	s_wait_loadcnt 0x3
	v_cvt_f32_f16_e32 v25, v38
	v_mul_f32_e32 v19, v23, v22
	s_delay_alu instid0(VALU_DEP_1)
	v_dual_mul_f32 v23, v19, v28 :: v_dual_mul_f32 v19, v24, v18
	v_pk_add_f32 v[10:11], v[10:11], v[20:21]
	s_wait_dscnt 0x2
	v_sub_f32_e32 v21, v25, v29
	s_wait_loadcnt 0x2
	v_cvt_f32_f16_e32 v20, v39
	s_wait_loadcnt 0x1
	v_cvt_f32_f16_e32 v24, v40
	v_mul_f32_e32 v19, v19, v47
	v_pk_add_f32 v[10:11], v[10:11], v[22:23]
	s_wait_loadcnt 0x0
	v_cvt_f32_f16_e32 v22, v41
	v_mul_f32_e32 v21, v21, v20
	s_wait_dscnt 0x1
	v_sub_f32_e32 v23, v24, v32
	v_pk_add_f32 v[10:11], v[10:11], v[18:19]
	s_delay_alu instid0(VALU_DEP_2) | instskip(NEXT) | instid1(VALU_DEP_1)
	v_dual_mul_f32 v21, v21, v48 :: v_dual_mul_f32 v18, v23, v22
	v_pk_add_f32 v[10:11], v[10:11], v[20:21]
	s_wait_dscnt 0x0
	s_delay_alu instid0(VALU_DEP_2) | instskip(NEXT) | instid1(VALU_DEP_1)
	v_mul_f32_e32 v23, v18, v26
	v_pk_add_f32 v[10:11], v[10:11], v[22:23]
	s_cbranch_vccz .LBB75_10
.LBB75_7:                               ; =>This Inner Loop Header: Depth=1
	v_dual_mov_b32 v18, 0 :: v_dual_mov_b32 v19, 0
	s_and_saveexec_b32 s3, s2
	s_cbranch_execz .LBB75_6
; %bb.8:                                ;   in Loop: Header=BB75_7 Depth=1
	v_dual_mov_b32 v19, 0 :: v_dual_mov_b32 v18, 0
	s_mov_b32 s30, exec_lo
	v_cmpx_gt_i64_e64 s[12:13], v[4:5]
	s_cbranch_execz .LBB75_5
; %bb.9:                                ;   in Loop: Header=BB75_7 Depth=1
	v_add_nc_u64_e32 v[20:21], s[8:9], v[6:7]
	v_add_nc_u64_e32 v[22:23], s[10:11], v[6:7]
	global_load_b32 v19, v[20:21], off
	global_load_b32 v18, v[22:23], off
	s_branch .LBB75_5
.LBB75_10:
	s_delay_alu instid0(VALU_DEP_1)
	v_cvt_pk_f16_f32 v4, v10, v11
	v_mov_b32_e32 v2, v1
	s_mov_b64 s[4:5], s[20:21]
.LBB75_11:
	s_load_b128 s[0:3], s[0:1], 0x30
	s_nop 0
	s_load_u16 s4, s[4:5], 0xe
	v_mov_b32_e32 v1, 0
	s_delay_alu instid0(VALU_DEP_1) | instskip(SKIP_1) | instid1(VALU_DEP_1)
	v_mov_b32_e32 v3, v1
	s_wait_kmcnt 0x0
	v_mad_nc_u64_u32 v[2:3], s4, s17, v[2:3]
	s_mov_b32 s17, 0
	s_delay_alu instid0(SALU_CYCLE_1) | instskip(SKIP_2) | instid1(VALU_DEP_2)
	s_lshl_b64 s[4:5], s[16:17], 6
	s_cmp_eq_u64 s[0:1], 0
	v_add_nc_u64_e32 v[0:1], s[4:5], v[0:1]
	v_mul_u64_e32 v[2:3], s[14:15], v[2:3]
	s_cbranch_scc1 .LBB75_13
; %bb.12:
	s_delay_alu instid0(VALU_DEP_1) | instskip(NEXT) | instid1(VALU_DEP_1)
	v_lshl_add_u64 v[6:7], v[2:3], 1, s[0:1]
	v_lshl_add_u64 v[6:7], v[0:1], 1, v[6:7]
	global_store_d16_hi_b16 v[6:7], v4, off
.LBB75_13:
	s_cmp_eq_u64 s[2:3], 0
	s_cbranch_scc1 .LBB75_15
; %bb.14:
	s_delay_alu instid0(VALU_DEP_1) | instskip(NEXT) | instid1(VALU_DEP_1)
	v_lshl_add_u64 v[2:3], v[2:3], 1, s[2:3]
	v_lshl_add_u64 v[0:1], v[0:1], 1, v[2:3]
	global_store_b16 v[0:1], v4, off
.LBB75_15:
	s_endpgm
	.section	.rodata,"a",@progbits
	.p2align	6, 0x0
	.amdhsa_kernel _ZN2at6native12_GLOBAL__N_135GammaBetaBackwardCUDAKernelTemplateIN3c104HalfEfLj64ELj1ELj8ELb1ELb1ELb0EEEvllPKT_S7_PKT0_SA_PS5_SB_
		.amdhsa_group_segment_fixed_size 0
		.amdhsa_private_segment_fixed_size 0
		.amdhsa_kernarg_size 320
		.amdhsa_user_sgpr_count 2
		.amdhsa_user_sgpr_dispatch_ptr 0
		.amdhsa_user_sgpr_queue_ptr 0
		.amdhsa_user_sgpr_kernarg_segment_ptr 1
		.amdhsa_user_sgpr_dispatch_id 0
		.amdhsa_user_sgpr_kernarg_preload_length 0
		.amdhsa_user_sgpr_kernarg_preload_offset 0
		.amdhsa_user_sgpr_private_segment_size 0
		.amdhsa_wavefront_size32 1
		.amdhsa_uses_dynamic_stack 0
		.amdhsa_enable_private_segment 0
		.amdhsa_system_sgpr_workgroup_id_x 1
		.amdhsa_system_sgpr_workgroup_id_y 1
		.amdhsa_system_sgpr_workgroup_id_z 0
		.amdhsa_system_sgpr_workgroup_info 0
		.amdhsa_system_vgpr_workitem_id 1
		.amdhsa_next_free_vgpr 49
		.amdhsa_next_free_sgpr 31
		.amdhsa_named_barrier_count 0
		.amdhsa_reserve_vcc 1
		.amdhsa_float_round_mode_32 0
		.amdhsa_float_round_mode_16_64 0
		.amdhsa_float_denorm_mode_32 3
		.amdhsa_float_denorm_mode_16_64 3
		.amdhsa_fp16_overflow 0
		.amdhsa_memory_ordered 1
		.amdhsa_forward_progress 1
		.amdhsa_inst_pref_size 12
		.amdhsa_round_robin_scheduling 0
		.amdhsa_exception_fp_ieee_invalid_op 0
		.amdhsa_exception_fp_denorm_src 0
		.amdhsa_exception_fp_ieee_div_zero 0
		.amdhsa_exception_fp_ieee_overflow 0
		.amdhsa_exception_fp_ieee_underflow 0
		.amdhsa_exception_fp_ieee_inexact 0
		.amdhsa_exception_int_div_zero 0
	.end_amdhsa_kernel
	.section	.text._ZN2at6native12_GLOBAL__N_135GammaBetaBackwardCUDAKernelTemplateIN3c104HalfEfLj64ELj1ELj8ELb1ELb1ELb0EEEvllPKT_S7_PKT0_SA_PS5_SB_,"axG",@progbits,_ZN2at6native12_GLOBAL__N_135GammaBetaBackwardCUDAKernelTemplateIN3c104HalfEfLj64ELj1ELj8ELb1ELb1ELb0EEEvllPKT_S7_PKT0_SA_PS5_SB_,comdat
.Lfunc_end75:
	.size	_ZN2at6native12_GLOBAL__N_135GammaBetaBackwardCUDAKernelTemplateIN3c104HalfEfLj64ELj1ELj8ELb1ELb1ELb0EEEvllPKT_S7_PKT0_SA_PS5_SB_, .Lfunc_end75-_ZN2at6native12_GLOBAL__N_135GammaBetaBackwardCUDAKernelTemplateIN3c104HalfEfLj64ELj1ELj8ELb1ELb1ELb0EEEvllPKT_S7_PKT0_SA_PS5_SB_
                                        ; -- End function
	.set _ZN2at6native12_GLOBAL__N_135GammaBetaBackwardCUDAKernelTemplateIN3c104HalfEfLj64ELj1ELj8ELb1ELb1ELb0EEEvllPKT_S7_PKT0_SA_PS5_SB_.num_vgpr, 49
	.set _ZN2at6native12_GLOBAL__N_135GammaBetaBackwardCUDAKernelTemplateIN3c104HalfEfLj64ELj1ELj8ELb1ELb1ELb0EEEvllPKT_S7_PKT0_SA_PS5_SB_.num_agpr, 0
	.set _ZN2at6native12_GLOBAL__N_135GammaBetaBackwardCUDAKernelTemplateIN3c104HalfEfLj64ELj1ELj8ELb1ELb1ELb0EEEvllPKT_S7_PKT0_SA_PS5_SB_.numbered_sgpr, 31
	.set _ZN2at6native12_GLOBAL__N_135GammaBetaBackwardCUDAKernelTemplateIN3c104HalfEfLj64ELj1ELj8ELb1ELb1ELb0EEEvllPKT_S7_PKT0_SA_PS5_SB_.num_named_barrier, 0
	.set _ZN2at6native12_GLOBAL__N_135GammaBetaBackwardCUDAKernelTemplateIN3c104HalfEfLj64ELj1ELj8ELb1ELb1ELb0EEEvllPKT_S7_PKT0_SA_PS5_SB_.private_seg_size, 0
	.set _ZN2at6native12_GLOBAL__N_135GammaBetaBackwardCUDAKernelTemplateIN3c104HalfEfLj64ELj1ELj8ELb1ELb1ELb0EEEvllPKT_S7_PKT0_SA_PS5_SB_.uses_vcc, 1
	.set _ZN2at6native12_GLOBAL__N_135GammaBetaBackwardCUDAKernelTemplateIN3c104HalfEfLj64ELj1ELj8ELb1ELb1ELb0EEEvllPKT_S7_PKT0_SA_PS5_SB_.uses_flat_scratch, 0
	.set _ZN2at6native12_GLOBAL__N_135GammaBetaBackwardCUDAKernelTemplateIN3c104HalfEfLj64ELj1ELj8ELb1ELb1ELb0EEEvllPKT_S7_PKT0_SA_PS5_SB_.has_dyn_sized_stack, 0
	.set _ZN2at6native12_GLOBAL__N_135GammaBetaBackwardCUDAKernelTemplateIN3c104HalfEfLj64ELj1ELj8ELb1ELb1ELb0EEEvllPKT_S7_PKT0_SA_PS5_SB_.has_recursion, 0
	.set _ZN2at6native12_GLOBAL__N_135GammaBetaBackwardCUDAKernelTemplateIN3c104HalfEfLj64ELj1ELj8ELb1ELb1ELb0EEEvllPKT_S7_PKT0_SA_PS5_SB_.has_indirect_call, 0
	.section	.AMDGPU.csdata,"",@progbits
; Kernel info:
; codeLenInByte = 1456
; TotalNumSgprs: 33
; NumVgprs: 49
; ScratchSize: 0
; MemoryBound: 0
; FloatMode: 240
; IeeeMode: 1
; LDSByteSize: 0 bytes/workgroup (compile time only)
; SGPRBlocks: 0
; VGPRBlocks: 3
; NumSGPRsForWavesPerEU: 33
; NumVGPRsForWavesPerEU: 49
; NamedBarCnt: 0
; Occupancy: 16
; WaveLimiterHint : 0
; COMPUTE_PGM_RSRC2:SCRATCH_EN: 0
; COMPUTE_PGM_RSRC2:USER_SGPR: 2
; COMPUTE_PGM_RSRC2:TRAP_HANDLER: 0
; COMPUTE_PGM_RSRC2:TGID_X_EN: 1
; COMPUTE_PGM_RSRC2:TGID_Y_EN: 1
; COMPUTE_PGM_RSRC2:TGID_Z_EN: 0
; COMPUTE_PGM_RSRC2:TIDIG_COMP_CNT: 1
	.section	.text._ZN2at6native12_GLOBAL__N_135GammaBetaBackwardCUDAKernelTemplateIN3c104HalfEfLj64ELj1ELj8ELb1ELb0ELb0EEEvllPKT_S7_PKT0_SA_PS5_SB_,"axG",@progbits,_ZN2at6native12_GLOBAL__N_135GammaBetaBackwardCUDAKernelTemplateIN3c104HalfEfLj64ELj1ELj8ELb1ELb0ELb0EEEvllPKT_S7_PKT0_SA_PS5_SB_,comdat
	.globl	_ZN2at6native12_GLOBAL__N_135GammaBetaBackwardCUDAKernelTemplateIN3c104HalfEfLj64ELj1ELj8ELb1ELb0ELb0EEEvllPKT_S7_PKT0_SA_PS5_SB_ ; -- Begin function _ZN2at6native12_GLOBAL__N_135GammaBetaBackwardCUDAKernelTemplateIN3c104HalfEfLj64ELj1ELj8ELb1ELb0ELb0EEEvllPKT_S7_PKT0_SA_PS5_SB_
	.p2align	8
	.type	_ZN2at6native12_GLOBAL__N_135GammaBetaBackwardCUDAKernelTemplateIN3c104HalfEfLj64ELj1ELj8ELb1ELb0ELb0EEEvllPKT_S7_PKT0_SA_PS5_SB_,@function
_ZN2at6native12_GLOBAL__N_135GammaBetaBackwardCUDAKernelTemplateIN3c104HalfEfLj64ELj1ELj8ELb1ELb0ELb0EEEvllPKT_S7_PKT0_SA_PS5_SB_: ; @_ZN2at6native12_GLOBAL__N_135GammaBetaBackwardCUDAKernelTemplateIN3c104HalfEfLj64ELj1ELj8ELb1ELb0ELb0EEEvllPKT_S7_PKT0_SA_PS5_SB_
; %bb.0:
	s_load_b256 s[4:11], s[0:1], 0x0
	s_bfe_u32 s3, ttmp6, 0x4000c
	s_bfe_u32 s12, ttmp6, 0x40010
	s_add_co_i32 s3, s3, 1
	s_add_co_i32 s12, s12, 1
	s_and_b32 s2, ttmp6, 15
	s_bfe_u32 s13, ttmp6, 0x40004
	s_mul_i32 s3, ttmp9, s3
	s_mul_i32 s12, ttmp7, s12
	s_getreg_b32 s14, hwreg(HW_REG_IB_STS2, 6, 4)
	s_add_co_i32 s2, s2, s3
	s_add_co_i32 s3, s13, s12
	s_cmp_eq_u32 s14, 0
	s_mov_b32 s19, 0
	s_cselect_b32 s16, ttmp9, s2
	s_cselect_b32 s33, ttmp7, s3
	s_lshl_b32 s3, s16, 6
	s_load_b128 s[12:15], s[0:1], 0x20
	s_or_b32 s18, s3, 63
	s_wait_kmcnt 0x0
	v_cmp_le_i64_e64 s2, s[6:7], s[18:19]
	s_lshl_b32 s18, s33, 3
	s_delay_alu instid0(SALU_CYCLE_1) | instskip(SKIP_2) | instid1(VALU_DEP_1)
	v_cmp_gt_i64_e64 s17, s[4:5], s[18:19]
	s_and_b32 vcc_lo, exec_lo, s2
	v_cndmask_b32_e64 v1, 0, 1, s17
	v_cmp_ne_u32_e64 s2, 1, v1
	s_cbranch_vccz .LBB76_48
; %bb.1:
	v_mov_b32_e32 v29, 0
	s_and_b32 vcc_lo, exec_lo, s2
	s_delay_alu instid0(VALU_DEP_1)
	v_mov_b32_e32 v28, v29
	s_cbranch_vccnz .LBB76_49
; %bb.2:
	v_bfe_u32 v1, v0, 10, 10
	v_mov_b32_e32 v2, 0
	v_and_b32_e32 v62, 0x3ff, v0
	s_load_b32 s20, s[0:1], 0x44
	s_mov_b32 s21, 0
	s_delay_alu instid0(VALU_DEP_2) | instskip(NEXT) | instid1(VALU_DEP_2)
	v_dual_mov_b32 v21, v2 :: v_dual_lshlrev_b32 v20, 3, v1
	v_dual_mov_b32 v19, v2 :: v_dual_add_nc_u32 v18, s3, v62
	v_mov_b32_e32 v28, 0
	s_mov_b32 s25, s21
	s_delay_alu instid0(VALU_DEP_3)
	v_add_nc_u64_e32 v[4:5], s[18:19], v[20:21]
	v_mov_b32_e32 v29, v2
	v_cmp_gt_i64_e64 s2, s[6:7], v[18:19]
	v_lshlrev_b64_e32 v[22:23], 1, v[18:19]
	s_add_nc_u64 s[22:23], s[0:1], 64
	s_mov_b64 s[28:29], 7
	s_mov_b64 s[30:31], s[18:19]
	v_mul_u64_e32 v[6:7], s[6:7], v[4:5]
	v_add_nc_u64_e32 v[8:9], 7, v[4:5]
	v_add_nc_u64_e32 v[10:11], 6, v[4:5]
	;; [unrolled: 1-line block ×6, first 2 shown]
	s_wait_kmcnt 0x0
	s_lshl_b32 s24, s20, 3
	v_mul_u64_e32 v[8:9], s[6:7], v[8:9]
	v_mul_u64_e32 v[10:11], s[6:7], v[10:11]
	;; [unrolled: 1-line block ×6, first 2 shown]
	s_mul_u64 s[26:27], s[6:7], s[24:25]
	s_delay_alu instid0(SALU_CYCLE_1) | instskip(SKIP_2) | instid1(VALU_DEP_2)
	s_lshl_b64 s[26:27], s[26:27], 1
	v_lshlrev_b64_e32 v[26:27], 1, v[6:7]
	v_add_nc_u64_e32 v[6:7], s[6:7], v[6:7]
	v_add_nc_u64_e32 v[24:25], s[8:9], v[26:27]
	v_lshlrev_b64_e32 v[8:9], 1, v[8:9]
	v_lshlrev_b64_e32 v[10:11], 1, v[10:11]
	;; [unrolled: 1-line block ×7, first 2 shown]
	v_add_nc_u64_e32 v[26:27], s[10:11], v[26:27]
	v_add_nc_u64_e32 v[30:31], s[8:9], v[8:9]
	;; [unrolled: 1-line block ×15, first 2 shown]
	s_branch .LBB76_5
.LBB76_3:                               ;   in Loop: Header=BB76_5 Depth=1
	s_or_b32 exec_lo, exec_lo, s20
	s_wait_loadcnt 0x1
	ds_bpermute_b32 v3, v2, v60
	ds_bpermute_b32 v59, v2, v60 offset:4
	ds_bpermute_b32 v63, v2, v60 offset:8
	s_wait_loadcnt 0x0
	ds_bpermute_b32 v64, v2, v61
	ds_bpermute_b32 v65, v2, v60 offset:12
	ds_bpermute_b32 v66, v2, v61 offset:4
	;; [unrolled: 1-line block ×9, first 2 shown]
	s_wait_dscnt 0xc
	v_dual_mov_b32 v58, v5 :: v_dual_sub_f32 v3, v12, v3
	s_wait_dscnt 0xb
	v_dual_mov_b32 v12, v4 :: v_dual_sub_f32 v13, v13, v59
	s_wait_dscnt 0xa
	v_sub_f32_e32 v59, v14, v63
	v_dual_mul_f32 v3, v4, v3 :: v_dual_mov_b32 v4, v6
	s_delay_alu instid0(VALU_DEP_3) | instskip(SKIP_1) | instid1(VALU_DEP_2)
	v_dual_mul_f32 v5, v5, v13 :: v_dual_mov_b32 v14, v7
	s_wait_dscnt 0x9
	v_dual_mul_f32 v6, v6, v59 :: v_dual_mul_f32 v13, v3, v64
	s_wait_dscnt 0x7
	s_delay_alu instid0(VALU_DEP_2) | instskip(SKIP_1) | instid1(VALU_DEP_2)
	v_dual_sub_f32 v3, v15, v65 :: v_dual_mul_f32 v59, v5, v66
	s_wait_dscnt 0x6
	v_mul_f32_e32 v5, v6, v67
	v_pk_add_f32 v[12:13], v[28:29], v[12:13]
	ds_bpermute_b32 v28, v2, v61 offset:24
	s_wait_dscnt 0x6
	v_dual_sub_f32 v15, v16, v69 :: v_dual_mul_f32 v3, v7, v3
	v_pk_add_f32 v[6:7], v[58:59], v[12:13]
	s_wait_dscnt 0x4
	v_dual_mov_b32 v12, v8 :: v_dual_sub_f32 v13, v17, v72
	s_delay_alu instid0(VALU_DEP_3) | instskip(NEXT) | instid1(VALU_DEP_3)
	v_dual_mul_f32 v8, v8, v15 :: v_dual_mul_f32 v15, v3, v68
	v_pk_add_f32 v[4:5], v[4:5], v[6:7]
	ds_bpermute_b32 v3, v2, v61 offset:28
	s_wait_dscnt 0x3
	v_sub_f32_e32 v16, v18, v73
	v_dual_mul_f32 v17, v9, v13 :: v_dual_mul_f32 v13, v8, v70
	v_pk_add_f32 v[6:7], v[14:15], v[4:5]
	ds_bpermute_b32 v4, v2, v60 offset:28
	v_dual_mov_b32 v8, v9 :: v_dual_mul_f32 v5, v10, v16
	s_wait_dscnt 0x3
	v_mul_f32_e32 v9, v17, v71
	v_pk_add_f32 v[6:7], v[12:13], v[6:7]
	s_wait_dscnt 0x2
	v_dual_mov_b32 v12, v10 :: v_dual_mul_f32 v13, v5, v28
	s_delay_alu instid0(VALU_DEP_2) | instskip(NEXT) | instid1(VALU_DEP_1)
	v_pk_add_f32 v[6:7], v[8:9], v[6:7]
	v_pk_add_f32 v[60:61], v[12:13], v[6:7]
.LBB76_4:                               ;   in Loop: Header=BB76_5 Depth=1
	s_wait_dscnt 0x0
	v_sub_f32_e32 v5, v19, v4
	v_mov_b32_e32 v4, v11
	s_add_nc_u64 s[30:31], s[30:31], s[24:25]
	v_add_nc_u64_e32 v[24:25], s[26:27], v[24:25]
	v_cmp_lt_i64_e64 s20, s[30:31], s[4:5]
	v_mul_f32_e32 v5, v11, v5
	v_add_nc_u64_e32 v[26:27], s[26:27], v[26:27]
	v_add_nc_u64_e32 v[30:31], s[26:27], v[30:31]
	v_add_nc_u64_e32 v[32:33], s[26:27], v[32:33]
	v_add_nc_u64_e32 v[34:35], s[26:27], v[34:35]
	v_mul_f32_e32 v5, v5, v3
	v_add_nc_u64_e32 v[36:37], s[26:27], v[36:37]
	v_add_nc_u64_e32 v[38:39], s[26:27], v[38:39]
	;; [unrolled: 1-line block ×12, first 2 shown]
	v_pk_add_f32 v[28:29], v[60:61], v[4:5]
	s_and_b32 vcc_lo, exec_lo, s20
	s_add_nc_u64 s[28:29], s[28:29], s[24:25]
	s_cbranch_vccz .LBB76_49
.LBB76_5:                               ; =>This Inner Loop Header: Depth=1
	s_add_nc_u64 s[34:35], s[18:19], s[28:29]
	s_delay_alu instid0(VALU_DEP_2)
	v_add_nc_u64_e32 v[58:59], s[18:19], v[20:21]
	v_cmp_ge_i64_e64 s20, s[34:35], s[4:5]
                                        ; implicit-def: $vgpr4_vgpr5_vgpr6_vgpr7_vgpr8_vgpr9_vgpr10_vgpr11
                                        ; implicit-def: $vgpr60_vgpr61
                                        ; implicit-def: $vgpr3
                                        ; implicit-def: $vgpr12_vgpr13_vgpr14_vgpr15_vgpr16_vgpr17_vgpr18_vgpr19
                                        ; implicit-def: $vgpr4
	s_and_b32 vcc_lo, exec_lo, s20
	s_mov_b32 s20, -1
	s_cbranch_vccz .LBB76_27
; %bb.6:                                ;   in Loop: Header=BB76_5 Depth=1
	s_load_b32 s20, s[22:23], 0xc
	v_dual_mov_b32 v60, 0 :: v_dual_mov_b32 v61, 0
	s_wait_kmcnt 0x0
	s_and_b32 s20, s20, 0xffff
	s_delay_alu instid0(SALU_CYCLE_1) | instskip(SKIP_1) | instid1(VALU_DEP_1)
	v_mad_u32_u24 v3, v1, s20, v62
	s_mov_b32 s20, exec_lo
	v_and_b32_e32 v4, 31, v3
	s_delay_alu instid0(VALU_DEP_1)
	v_cmpx_gt_u32_e32 8, v4
	s_cbranch_execz .LBB76_10
; %bb.7:                                ;   in Loop: Header=BB76_5 Depth=1
	v_dual_mov_b32 v5, v2 :: v_dual_mov_b32 v60, 0
	v_mov_b32_e32 v61, 0
	s_mov_b32 s34, exec_lo
	s_delay_alu instid0(VALU_DEP_2) | instskip(NEXT) | instid1(VALU_DEP_1)
	v_add_nc_u64_e32 v[4:5], v[58:59], v[4:5]
	v_cmpx_gt_i64_e64 s[4:5], v[4:5]
	s_cbranch_execz .LBB76_9
; %bb.8:                                ;   in Loop: Header=BB76_5 Depth=1
	v_lshlrev_b64_e32 v[4:5], 2, v[4:5]
	s_delay_alu instid0(VALU_DEP_1)
	v_add_nc_u64_e32 v[6:7], s[12:13], v[4:5]
	v_add_nc_u64_e32 v[4:5], s[14:15], v[4:5]
	global_load_b32 v60, v[6:7], off
	global_load_b32 v61, v[4:5], off
.LBB76_9:                               ;   in Loop: Header=BB76_5 Depth=1
	s_wait_xcnt 0x0
	s_or_b32 exec_lo, exec_lo, s34
.LBB76_10:                              ;   in Loop: Header=BB76_5 Depth=1
	s_delay_alu instid0(SALU_CYCLE_1)
	s_or_b32 exec_lo, exec_lo, s20
	v_dual_mov_b32 v7, v2 :: v_dual_mov_b32 v8, v2
	v_dual_mov_b32 v9, v2 :: v_dual_mov_b32 v3, v2
	;; [unrolled: 1-line block ×3, first 2 shown]
	v_mov_b32_e32 v6, v2
	v_cmp_gt_i64_e32 vcc_lo, s[4:5], v[58:59]
	s_delay_alu instid0(VALU_DEP_4)
	v_mov_b64_e32 v[18:19], v[8:9]
	v_mov_b64_e32 v[12:13], v[2:3]
	;; [unrolled: 1-line block ×8, first 2 shown]
	s_and_b32 s34, s2, vcc_lo
	s_delay_alu instid0(SALU_CYCLE_1)
	s_and_saveexec_b32 s20, s34
	s_cbranch_execz .LBB76_12
; %bb.11:                               ;   in Loop: Header=BB76_5 Depth=1
	v_add_nc_u64_e32 v[4:5], v[24:25], v[22:23]
	v_add_nc_u64_e32 v[6:7], v[26:27], v[22:23]
	v_dual_mov_b32 v9, v2 :: v_dual_mov_b32 v10, v2
	v_dual_mov_b32 v11, v2 :: v_dual_mov_b32 v13, v2
	;; [unrolled: 1-line block ×3, first 2 shown]
	global_load_u16 v3, v[4:5], off
	global_load_u16 v12, v[6:7], off
	s_wait_xcnt 0x0
	v_dual_mov_b32 v5, v2 :: v_dual_mov_b32 v6, v2
	v_dual_mov_b32 v7, v2 :: v_dual_mov_b32 v8, v2
	v_dual_mov_b32 v16, v2 :: v_dual_mov_b32 v17, v2
	v_dual_mov_b32 v18, v2 :: v_dual_mov_b32 v19, v2
	s_wait_loadcnt 0x1
	v_cvt_f32_f16_e32 v4, v3
	s_wait_loadcnt 0x0
	v_cvt_f32_f16_e32 v12, v12
.LBB76_12:                              ;   in Loop: Header=BB76_5 Depth=1
	s_or_b32 exec_lo, exec_lo, s20
	v_add_nc_u64_e32 v[64:65], 1, v[58:59]
	s_delay_alu instid0(VALU_DEP_1) | instskip(SKIP_1) | instid1(SALU_CYCLE_1)
	v_cmp_gt_i64_e32 vcc_lo, s[4:5], v[64:65]
	s_and_b32 s34, s2, vcc_lo
	s_and_saveexec_b32 s20, s34
	s_cbranch_execz .LBB76_14
; %bb.13:                               ;   in Loop: Header=BB76_5 Depth=1
	v_add_nc_u64_e32 v[64:65], v[54:55], v[22:23]
	v_add_nc_u64_e32 v[66:67], v[56:57], v[22:23]
	global_load_u16 v3, v[64:65], off
	global_load_u16 v13, v[66:67], off
	s_wait_loadcnt 0x1
	v_cvt_f32_f16_e32 v5, v3
	s_wait_loadcnt 0x0
	v_cvt_f32_f16_e32 v13, v13
.LBB76_14:                              ;   in Loop: Header=BB76_5 Depth=1
	s_or_b32 exec_lo, exec_lo, s20
	v_add_nc_u64_e32 v[64:65], 2, v[58:59]
	s_delay_alu instid0(VALU_DEP_1) | instskip(SKIP_1) | instid1(SALU_CYCLE_1)
	v_cmp_gt_i64_e32 vcc_lo, s[4:5], v[64:65]
	s_and_b32 s34, s2, vcc_lo
	s_and_saveexec_b32 s20, s34
	s_cbranch_execz .LBB76_16
; %bb.15:                               ;   in Loop: Header=BB76_5 Depth=1
	v_add_nc_u64_e32 v[64:65], v[50:51], v[22:23]
	v_add_nc_u64_e32 v[66:67], v[52:53], v[22:23]
	global_load_u16 v3, v[64:65], off
	global_load_u16 v14, v[66:67], off
	s_wait_loadcnt 0x1
	v_cvt_f32_f16_e32 v6, v3
	s_wait_loadcnt 0x0
	v_cvt_f32_f16_e32 v14, v14
.LBB76_16:                              ;   in Loop: Header=BB76_5 Depth=1
	;; [unrolled: 17-line block ×7, first 2 shown]
	s_or_b32 exec_lo, exec_lo, s20
	s_wait_loadcnt 0x1
	ds_bpermute_b32 v3, v2, v60
	ds_bpermute_b32 v63, v2, v60 offset:4
	ds_bpermute_b32 v65, v2, v60 offset:8
	s_wait_loadcnt 0x0
	ds_bpermute_b32 v66, v2, v61
	ds_bpermute_b32 v67, v2, v60 offset:12
	ds_bpermute_b32 v68, v2, v61 offset:4
	;; [unrolled: 1-line block ×8, first 2 shown]
	s_mov_b32 s20, 0
	s_wait_dscnt 0xb
	v_dual_mov_b32 v64, v5 :: v_dual_sub_f32 v3, v12, v3
	s_wait_dscnt 0xa
	v_dual_mov_b32 v12, v4 :: v_dual_sub_f32 v13, v13, v63
	ds_bpermute_b32 v63, v2, v60 offset:24
	v_dual_mul_f32 v3, v4, v3 :: v_dual_mov_b32 v4, v6
	s_wait_dscnt 0xa
	v_sub_f32_e32 v65, v14, v65
	v_dual_mul_f32 v5, v5, v13 :: v_dual_mov_b32 v14, v7
	s_wait_dscnt 0x9
	v_mul_f32_e32 v13, v3, v66
	s_wait_dscnt 0x8
	v_dual_sub_f32 v3, v15, v67 :: v_dual_mul_f32 v6, v6, v65
	s_wait_dscnt 0x5
	v_dual_mul_f32 v65, v5, v68 :: v_dual_sub_f32 v15, v16, v71
	v_pk_add_f32 v[12:13], v[28:29], v[12:13]
	ds_bpermute_b32 v66, v2, v61 offset:24
	v_dual_mul_f32 v3, v7, v3 :: v_dual_mul_f32 v5, v6, v69
	v_pk_add_f32 v[6:7], v[64:65], v[12:13]
	s_wait_dscnt 0x4
	v_dual_mov_b32 v12, v8 :: v_dual_sub_f32 v13, v17, v74
	s_delay_alu instid0(VALU_DEP_3) | instskip(NEXT) | instid1(VALU_DEP_3)
	v_dual_mul_f32 v8, v8, v15 :: v_dual_mul_f32 v15, v3, v70
	v_pk_add_f32 v[4:5], v[4:5], v[6:7]
	ds_bpermute_b32 v3, v2, v61 offset:28
	s_wait_dscnt 0x2
	v_dual_sub_f32 v16, v18, v63 :: v_dual_mul_f32 v17, v9, v13
	v_dual_mul_f32 v13, v8, v72 :: v_dual_mov_b32 v8, v9
	v_pk_add_f32 v[6:7], v[14:15], v[4:5]
	ds_bpermute_b32 v4, v2, v60 offset:28
	v_dual_mul_f32 v5, v10, v16 :: v_dual_mul_f32 v9, v17, v73
	v_pk_add_f32 v[6:7], v[12:13], v[6:7]
	s_wait_dscnt 0x2
	s_delay_alu instid0(VALU_DEP_2) | instskip(NEXT) | instid1(VALU_DEP_2)
	v_dual_mov_b32 v12, v10 :: v_dual_mul_f32 v13, v5, v66
	v_pk_add_f32 v[6:7], v[8:9], v[6:7]
	s_delay_alu instid0(VALU_DEP_1)
	v_pk_add_f32 v[60:61], v[12:13], v[6:7]
.LBB76_27:                              ;   in Loop: Header=BB76_5 Depth=1
	s_and_b32 vcc_lo, exec_lo, s20
	s_cbranch_vccz .LBB76_4
; %bb.28:                               ;   in Loop: Header=BB76_5 Depth=1
	s_load_b32 s20, s[22:23], 0x0
	v_dual_mov_b32 v60, 0 :: v_dual_mov_b32 v61, 0
	s_wait_kmcnt 0x0
	s_cmp_lt_u32 s16, s20
	s_cselect_b32 s20, 12, 18
	s_delay_alu instid0(SALU_CYCLE_1)
	s_add_nc_u64 s[34:35], s[22:23], s[20:21]
	s_load_u16 s20, s[34:35], 0x0
	s_wait_dscnt 0x1
	s_wait_kmcnt 0x0
	v_mad_u32_u24 v3, v1, s20, v62
	s_mov_b32 s20, exec_lo
	s_wait_dscnt 0x0
	s_delay_alu instid0(VALU_DEP_1) | instskip(NEXT) | instid1(VALU_DEP_1)
	v_and_b32_e32 v4, 31, v3
	v_cmpx_gt_u32_e32 8, v4
	s_cbranch_execz .LBB76_32
; %bb.29:                               ;   in Loop: Header=BB76_5 Depth=1
	v_dual_mov_b32 v5, v2 :: v_dual_mov_b32 v60, 0
	v_mov_b32_e32 v61, 0
	s_mov_b32 s34, exec_lo
	s_delay_alu instid0(VALU_DEP_2) | instskip(NEXT) | instid1(VALU_DEP_1)
	v_add_nc_u64_e32 v[4:5], v[58:59], v[4:5]
	v_cmpx_gt_i64_e64 s[4:5], v[4:5]
	s_cbranch_execz .LBB76_31
; %bb.30:                               ;   in Loop: Header=BB76_5 Depth=1
	v_lshlrev_b64_e32 v[4:5], 2, v[4:5]
	s_delay_alu instid0(VALU_DEP_1)
	v_add_nc_u64_e32 v[6:7], s[12:13], v[4:5]
	v_add_nc_u64_e32 v[4:5], s[14:15], v[4:5]
	global_load_b32 v60, v[6:7], off
	global_load_b32 v61, v[4:5], off
.LBB76_31:                              ;   in Loop: Header=BB76_5 Depth=1
	s_wait_xcnt 0x0
	s_or_b32 exec_lo, exec_lo, s34
.LBB76_32:                              ;   in Loop: Header=BB76_5 Depth=1
	s_delay_alu instid0(SALU_CYCLE_1) | instskip(SKIP_4) | instid1(VALU_DEP_3)
	s_or_b32 exec_lo, exec_lo, s20
	v_dual_mov_b32 v7, v2 :: v_dual_mov_b32 v8, v2
	v_dual_mov_b32 v9, v2 :: v_dual_mov_b32 v3, v2
	;; [unrolled: 1-line block ×3, first 2 shown]
	v_mov_b32_e32 v6, v2
	v_mov_b64_e32 v[18:19], v[8:9]
	s_delay_alu instid0(VALU_DEP_4) | instskip(NEXT) | instid1(VALU_DEP_4)
	v_mov_b64_e32 v[12:13], v[2:3]
	v_mov_b64_e32 v[14:15], v[4:5]
	s_delay_alu instid0(VALU_DEP_4)
	v_mov_b64_e32 v[16:17], v[6:7]
	v_mov_b64_e32 v[10:11], v[8:9]
	;; [unrolled: 1-line block ×5, first 2 shown]
	s_and_saveexec_b32 s20, s2
	s_cbranch_execnz .LBB76_40
; %bb.33:                               ;   in Loop: Header=BB76_5 Depth=1
	s_or_b32 exec_lo, exec_lo, s20
	s_and_saveexec_b32 s20, s2
	s_cbranch_execnz .LBB76_41
.LBB76_34:                              ;   in Loop: Header=BB76_5 Depth=1
	s_or_b32 exec_lo, exec_lo, s20
	s_and_saveexec_b32 s20, s2
	s_cbranch_execnz .LBB76_42
.LBB76_35:                              ;   in Loop: Header=BB76_5 Depth=1
	s_or_b32 exec_lo, exec_lo, s20
	s_and_saveexec_b32 s20, s2
	s_cbranch_execnz .LBB76_43
.LBB76_36:                              ;   in Loop: Header=BB76_5 Depth=1
	s_or_b32 exec_lo, exec_lo, s20
	s_and_saveexec_b32 s20, s2
	s_cbranch_execnz .LBB76_44
.LBB76_37:                              ;   in Loop: Header=BB76_5 Depth=1
	s_or_b32 exec_lo, exec_lo, s20
	s_and_saveexec_b32 s20, s2
	s_cbranch_execnz .LBB76_45
.LBB76_38:                              ;   in Loop: Header=BB76_5 Depth=1
	s_or_b32 exec_lo, exec_lo, s20
	s_and_saveexec_b32 s20, s2
	s_cbranch_execnz .LBB76_46
.LBB76_39:                              ;   in Loop: Header=BB76_5 Depth=1
	s_or_b32 exec_lo, exec_lo, s20
	s_and_saveexec_b32 s20, s2
	s_cbranch_execz .LBB76_3
	s_branch .LBB76_47
.LBB76_40:                              ;   in Loop: Header=BB76_5 Depth=1
	v_add_nc_u64_e32 v[4:5], v[24:25], v[22:23]
	v_add_nc_u64_e32 v[6:7], v[26:27], v[22:23]
	v_dual_mov_b32 v9, v2 :: v_dual_mov_b32 v10, v2
	v_dual_mov_b32 v11, v2 :: v_dual_mov_b32 v13, v2
	v_dual_mov_b32 v14, v2 :: v_dual_mov_b32 v15, v2
	global_load_u16 v3, v[4:5], off
	global_load_u16 v12, v[6:7], off
	s_wait_xcnt 0x0
	v_dual_mov_b32 v5, v2 :: v_dual_mov_b32 v6, v2
	v_dual_mov_b32 v7, v2 :: v_dual_mov_b32 v8, v2
	;; [unrolled: 1-line block ×4, first 2 shown]
	s_wait_loadcnt 0x1
	v_cvt_f32_f16_e32 v4, v3
	s_wait_loadcnt 0x0
	v_cvt_f32_f16_e32 v12, v12
	s_or_b32 exec_lo, exec_lo, s20
	s_and_saveexec_b32 s20, s2
	s_cbranch_execz .LBB76_34
.LBB76_41:                              ;   in Loop: Header=BB76_5 Depth=1
	v_add_nc_u64_e32 v[58:59], v[54:55], v[22:23]
	v_add_nc_u64_e32 v[64:65], v[56:57], v[22:23]
	global_load_u16 v3, v[58:59], off
	global_load_u16 v13, v[64:65], off
	s_wait_loadcnt 0x1
	v_cvt_f32_f16_e32 v5, v3
	s_wait_loadcnt 0x0
	v_cvt_f32_f16_e32 v13, v13
	s_or_b32 exec_lo, exec_lo, s20
	s_and_saveexec_b32 s20, s2
	s_cbranch_execz .LBB76_35
.LBB76_42:                              ;   in Loop: Header=BB76_5 Depth=1
	v_add_nc_u64_e32 v[58:59], v[50:51], v[22:23]
	v_add_nc_u64_e32 v[64:65], v[52:53], v[22:23]
	global_load_u16 v3, v[58:59], off
	global_load_u16 v14, v[64:65], off
	s_wait_loadcnt 0x1
	v_cvt_f32_f16_e32 v6, v3
	s_wait_loadcnt 0x0
	v_cvt_f32_f16_e32 v14, v14
	s_or_b32 exec_lo, exec_lo, s20
	s_and_saveexec_b32 s20, s2
	s_cbranch_execz .LBB76_36
.LBB76_43:                              ;   in Loop: Header=BB76_5 Depth=1
	v_add_nc_u64_e32 v[58:59], v[46:47], v[22:23]
	v_add_nc_u64_e32 v[64:65], v[48:49], v[22:23]
	global_load_u16 v3, v[58:59], off
	global_load_u16 v15, v[64:65], off
	s_wait_loadcnt 0x1
	v_cvt_f32_f16_e32 v7, v3
	s_wait_loadcnt 0x0
	v_cvt_f32_f16_e32 v15, v15
	s_or_b32 exec_lo, exec_lo, s20
	s_and_saveexec_b32 s20, s2
	s_cbranch_execz .LBB76_37
.LBB76_44:                              ;   in Loop: Header=BB76_5 Depth=1
	v_add_nc_u64_e32 v[58:59], v[42:43], v[22:23]
	v_add_nc_u64_e32 v[64:65], v[44:45], v[22:23]
	global_load_u16 v3, v[58:59], off
	global_load_u16 v16, v[64:65], off
	s_wait_loadcnt 0x1
	v_cvt_f32_f16_e32 v8, v3
	s_wait_loadcnt 0x0
	v_cvt_f32_f16_e32 v16, v16
	s_or_b32 exec_lo, exec_lo, s20
	s_and_saveexec_b32 s20, s2
	s_cbranch_execz .LBB76_38
.LBB76_45:                              ;   in Loop: Header=BB76_5 Depth=1
	v_add_nc_u64_e32 v[58:59], v[38:39], v[22:23]
	v_add_nc_u64_e32 v[64:65], v[40:41], v[22:23]
	global_load_u16 v3, v[58:59], off
	global_load_u16 v17, v[64:65], off
	s_wait_loadcnt 0x1
	v_cvt_f32_f16_e32 v9, v3
	s_wait_loadcnt 0x0
	v_cvt_f32_f16_e32 v17, v17
	s_or_b32 exec_lo, exec_lo, s20
	s_and_saveexec_b32 s20, s2
	s_cbranch_execz .LBB76_39
.LBB76_46:                              ;   in Loop: Header=BB76_5 Depth=1
	v_add_nc_u64_e32 v[58:59], v[34:35], v[22:23]
	v_add_nc_u64_e32 v[64:65], v[36:37], v[22:23]
	global_load_u16 v3, v[58:59], off
	global_load_u16 v18, v[64:65], off
	s_wait_loadcnt 0x1
	v_cvt_f32_f16_e32 v10, v3
	s_wait_loadcnt 0x0
	v_cvt_f32_f16_e32 v18, v18
	s_or_b32 exec_lo, exec_lo, s20
	s_and_saveexec_b32 s20, s2
	s_cbranch_execz .LBB76_3
.LBB76_47:                              ;   in Loop: Header=BB76_5 Depth=1
	v_add_nc_u64_e32 v[58:59], v[30:31], v[22:23]
	v_add_nc_u64_e32 v[64:65], v[32:33], v[22:23]
	global_load_u16 v3, v[58:59], off
	global_load_u16 v19, v[64:65], off
	s_wait_loadcnt 0x1
	v_cvt_f32_f16_e32 v11, v3
	s_wait_loadcnt 0x0
	v_cvt_f32_f16_e32 v19, v19
	s_branch .LBB76_3
.LBB76_48:
                                        ; implicit-def: $vgpr29
	s_branch .LBB76_50
.LBB76_49:
	s_cbranch_execnz .LBB76_81
.LBB76_50:
	v_mov_b32_e32 v29, 0
	s_and_not1_b32 vcc_lo, exec_lo, s17
	s_delay_alu instid0(VALU_DEP_1)
	v_mov_b32_e32 v28, v29
	s_cbranch_vccnz .LBB76_81
; %bb.51:
	v_bfe_u32 v1, v0, 10, 10
	v_mov_b32_e32 v2, 0
	v_and_b32_e32 v90, 0x3ff, v0
	s_load_b32 s2, s[0:1], 0x44
	s_add_nc_u64 s[20:21], s[0:1], 64
	s_delay_alu instid0(VALU_DEP_2) | instskip(SKIP_1) | instid1(VALU_DEP_2)
	v_dual_mov_b32 v5, v2 :: v_dual_lshlrev_b32 v4, 4, v1
	v_dual_mov_b32 v21, v2 :: v_dual_lshlrev_b32 v20, 3, v1
	v_lshl_add_u64 v[4:5], s[18:19], 1, v[4:5]
	s_delay_alu instid0(VALU_DEP_2) | instskip(NEXT) | instid1(VALU_DEP_2)
	v_add_nc_u64_e32 v[8:9], s[18:19], v[20:21]
	v_add_nc_u64_e32 v[6:7], 2, v[4:5]
	;; [unrolled: 1-line block ×6, first 2 shown]
	v_mul_u64_e32 v[28:29], s[6:7], v[8:9]
	v_add_nc_u64_e32 v[48:49], 4, v[8:9]
	v_mad_nc_u64_u32 v[22:23], s6, v6, s[8:9]
	v_mul_lo_u32 v3, s6, v7
	v_mul_lo_u32 v44, s7, v6
	v_mad_nc_u64_u32 v[34:35], s6, v6, s[10:11]
	v_add_nc_u64_e32 v[6:7], 7, v[8:9]
	v_mad_nc_u64_u32 v[24:25], s6, v10, s[8:9]
	v_mul_lo_u32 v50, s6, v11
	v_mul_lo_u32 v51, s7, v10
	v_mad_nc_u64_u32 v[26:27], s6, v12, s[8:9]
	v_mul_lo_u32 v52, s6, v13
	v_mul_lo_u32 v53, s7, v12
	v_mad_nc_u64_u32 v[36:37], s6, v10, s[10:11]
	v_mad_nc_u64_u32 v[40:41], s6, v12, s[10:11]
	v_add_nc_u64_e32 v[10:11], 6, v[8:9]
	v_mul_u64_e32 v[6:7], s[6:7], v[6:7]
	v_add_nc_u64_e32 v[12:13], 5, v[8:9]
	v_mad_nc_u64_u32 v[30:31], s6, v14, s[8:9]
	v_mul_lo_u32 v54, s6, v15
	v_mul_lo_u32 v55, s7, v14
	v_add3_u32 v23, v44, v23, v3
	v_add3_u32 v35, v44, v35, v3
	v_mul_u64_e32 v[10:11], s[6:7], v[10:11]
	v_mad_nc_u64_u32 v[44:45], s6, v14, s[10:11]
	v_add_nc_u64_e32 v[14:15], 3, v[8:9]
	v_add_nc_u64_e32 v[8:9], 2, v[8:9]
	v_mul_u64_e32 v[12:13], s[6:7], v[12:13]
	v_mad_nc_u64_u32 v[32:33], s6, v16, s[8:9]
	v_mul_lo_u32 v56, s6, v17
	v_mul_lo_u32 v57, s7, v16
	v_mad_nc_u64_u32 v[46:47], s6, v16, s[10:11]
	v_mul_u64_e32 v[16:17], s[6:7], v[48:49]
	v_mul_u64_e32 v[14:15], s[6:7], v[14:15]
	;; [unrolled: 1-line block ×3, first 2 shown]
	v_add_nc_u64_e32 v[18:19], 12, v[4:5]
	v_add_nc_u64_e32 v[4:5], 14, v[4:5]
	v_add3_u32 v25, v51, v25, v50
	v_add3_u32 v37, v51, v37, v50
	;; [unrolled: 1-line block ×5, first 2 shown]
	v_mad_nc_u64_u32 v[38:39], s6, v18, s[8:9]
	v_mul_lo_u32 v19, s6, v19
	v_mul_lo_u32 v58, s7, v18
	v_mad_nc_u64_u32 v[42:43], s6, v4, s[8:9]
	v_mad_nc_u64_u32 v[48:49], s6, v18, s[10:11]
	v_mul_lo_u32 v3, s6, v5
	v_mul_lo_u32 v18, s7, v4
	v_mad_nc_u64_u32 v[50:51], s6, v4, s[10:11]
	v_lshlrev_b64_e32 v[6:7], 1, v[6:7]
	v_dual_mov_b32 v5, v2 :: v_dual_add_nc_u32 v4, s3, v90
	s_mov_b32 s3, 0
	v_add3_u32 v33, v57, v33, v56
	v_add3_u32 v39, v58, v39, v19
	;; [unrolled: 1-line block ×4, first 2 shown]
	v_add_nc_u64_e32 v[58:59], s[8:9], v[6:7]
	v_add3_u32 v43, v18, v43, v3
	v_add3_u32 v51, v18, v51, v3
	v_lshlrev_b64_e32 v[18:19], 1, v[28:29]
	v_add_nc_u64_e32 v[60:61], s[10:11], v[6:7]
	v_lshlrev_b64_e32 v[6:7], 1, v[12:13]
	v_add_nc_u64_e32 v[12:13], s[6:7], v[28:29]
	v_mov_b32_e32 v28, 0
	v_lshlrev_b64_e32 v[52:53], 1, v[4:5]
	v_lshlrev_b64_e32 v[4:5], 1, v[10:11]
	;; [unrolled: 1-line block ×4, first 2 shown]
	v_add_nc_u64_e32 v[66:67], s[8:9], v[6:7]
	v_add_nc_u64_e32 v[68:69], s[10:11], v[6:7]
	v_lshlrev_b64_e32 v[6:7], 1, v[12:13]
	v_add3_u32 v47, v57, v47, v56
	v_add_nc_u64_e32 v[62:63], s[8:9], v[4:5]
	v_add_nc_u64_e32 v[64:65], s[10:11], v[4:5]
	v_lshlrev_b64_e32 v[4:5], 1, v[14:15]
	v_add_nc_u64_e32 v[54:55], s[8:9], v[18:19]
	v_add_nc_u64_e32 v[56:57], s[10:11], v[18:19]
	;; [unrolled: 1-line block ×10, first 2 shown]
	s_wait_kmcnt 0x0
	s_lshl_b32 s22, s2, 3
	s_mov_b32 s23, s3
	v_mov_b32_e32 v29, v2
	s_mul_u64 s[24:25], s[6:7], s[22:23]
	s_mov_b64 s[10:11], 7
	s_lshl_b64 s[8:9], s[24:25], 1
	s_mov_b64 s[24:25], s[18:19]
	s_branch .LBB76_55
.LBB76_52:                              ;   in Loop: Header=BB76_55 Depth=1
	s_wait_xcnt 0x0
	s_or_b32 exec_lo, exec_lo, s17
.LBB76_53:                              ;   in Loop: Header=BB76_55 Depth=1
	s_delay_alu instid0(SALU_CYCLE_1)
	s_or_b32 exec_lo, exec_lo, s2
	v_add_nc_u64_e32 v[4:5], v[54:55], v[52:53]
	v_add_nc_u64_e32 v[8:9], v[56:57], v[52:53]
	;; [unrolled: 1-line block ×5, first 2 shown]
	s_wait_loadcnt 0x1
	ds_bpermute_b32 v98, v2, v3 offset:12
	s_wait_loadcnt 0x0
	ds_bpermute_b32 v96, v2, v6 offset:8
	global_load_u16 v7, v[4:5], off
	global_load_u16 v16, v[8:9], off
	;; [unrolled: 1-line block ×3, first 2 shown]
	s_wait_xcnt 0x2
	v_add_nc_u64_e32 v[4:5], v[36:37], v[52:53]
	s_wait_xcnt 0x1
	v_add_nc_u64_e32 v[8:9], v[26:27], v[52:53]
	global_load_u16 v18, v[12:13], off
	global_load_u16 v19, v[14:15], off
	s_wait_xcnt 0x2
	v_add_nc_u64_e32 v[10:11], v[40:41], v[52:53]
	s_wait_xcnt 0x1
	v_add_nc_u64_e32 v[12:13], v[30:31], v[52:53]
	;; [unrolled: 2-line block ×3, first 2 shown]
	global_load_u16 v28, v[4:5], off
	global_load_u16 v29, v[8:9], off
	;; [unrolled: 1-line block ×3, first 2 shown]
	s_wait_xcnt 0x2
	v_add_nc_u64_e32 v[4:5], v[32:33], v[52:53]
	s_wait_xcnt 0x1
	v_add_nc_u64_e32 v[8:9], v[46:47], v[52:53]
	global_load_u16 v89, v[12:13], off
	global_load_u16 v91, v[14:15], off
	s_wait_xcnt 0x2
	v_add_nc_u64_e32 v[10:11], v[42:43], v[52:53]
	s_wait_xcnt 0x1
	ds_bpermute_b32 v12, v2, v3 offset:4
	s_wait_xcnt 0x0
	ds_bpermute_b32 v14, v2, v3 offset:8
	ds_bpermute_b32 v100, v2, v3 offset:16
	global_load_u16 v13, v[4:5], off
	s_wait_xcnt 0x0
	v_add_nc_u64_e32 v[4:5], v[48:49], v[52:53]
	global_load_u16 v15, v[8:9], off
	s_wait_xcnt 0x0
	v_add_nc_u64_e32 v[8:9], v[38:39], v[52:53]
	ds_bpermute_b32 v97, v2, v6 offset:12
	ds_bpermute_b32 v99, v2, v6 offset:16
	;; [unrolled: 1-line block ×4, first 2 shown]
	global_load_u16 v92, v[4:5], off
	s_wait_xcnt 0x0
	v_add_nc_u64_e32 v[4:5], v[50:51], v[52:53]
	global_load_u16 v93, v[8:9], off
	global_load_u16 v94, v[4:5], off
	;; [unrolled: 1-line block ×3, first 2 shown]
	s_wait_xcnt 0x2
	ds_bpermute_b32 v9, v2, v3
	s_wait_xcnt 0x1
	ds_bpermute_b32 v5, v2, v6
	s_wait_xcnt 0x0
	ds_bpermute_b32 v11, v2, v6 offset:4
	ds_bpermute_b32 v103, v2, v6 offset:24
	;; [unrolled: 1-line block ×5, first 2 shown]
	s_wait_loadcnt 0xf
	v_cvt_f32_f16_e32 v4, v7
	s_wait_loadcnt 0xe
	v_cvt_f32_f16_e32 v10, v16
	;; [unrolled: 2-line block ×5, first 2 shown]
	s_wait_dscnt 0x6
	s_delay_alu instid0(VALU_DEP_2) | instskip(SKIP_2) | instid1(VALU_DEP_2)
	v_dual_sub_f32 v9, v10, v9 :: v_dual_sub_f32 v7, v7, v12
	s_wait_loadcnt 0xa
	v_cvt_f32_f16_e32 v16, v28
	v_mul_f32_e32 v9, v9, v4
	s_wait_loadcnt 0x8
	v_cvt_f32_f16_e32 v17, v88
	v_cvt_f32_f16_e32 v10, v29
	s_wait_loadcnt 0x6
	v_cvt_f32_f16_e32 v18, v91
	v_sub_f32_e32 v16, v16, v14
	s_wait_dscnt 0x5
	v_dual_mul_f32 v7, v7, v6 :: v_dual_mul_f32 v5, v9, v5
	v_sub_f32_e32 v9, v17, v98
	s_wait_loadcnt 0x5
	v_cvt_f32_f16_e32 v14, v13
	s_wait_dscnt 0x4
	v_dual_mul_f32 v13, v16, v8 :: v_dual_mul_f32 v7, v7, v11
	v_pk_add_f32 v[4:5], v[86:87], v[4:5]
	v_cvt_f32_f16_e32 v12, v89
	s_wait_loadcnt 0x4
	v_cvt_f32_f16_e32 v11, v15
	v_dual_sub_f32 v15, v18, v100 :: v_dual_mul_f32 v16, v9, v10
	v_mul_f32_e32 v9, v13, v96
	v_pk_add_f32 v[4:5], v[4:5], v[6:7]
	s_wait_loadcnt 0x3
	v_cvt_f32_f16_e32 v7, v92
	v_sub_f32_e32 v13, v11, v102
	v_dual_mul_f32 v15, v15, v12 :: v_dual_mul_f32 v11, v16, v97
	v_pk_add_f32 v[4:5], v[4:5], v[8:9]
	s_wait_loadcnt 0x2
	v_cvt_f32_f16_e32 v6, v93
	s_wait_dscnt 0x1
	v_dual_sub_f32 v7, v7, v104 :: v_dual_mul_f32 v9, v13, v14
	v_mul_f32_e32 v13, v15, v99
	v_pk_add_f32 v[4:5], v[4:5], v[10:11]
	s_wait_loadcnt 0x1
	v_cvt_f32_f16_e32 v10, v94
	s_wait_loadcnt 0x0
	v_cvt_f32_f16_e32 v8, v95
	v_dual_mul_f32 v7, v7, v6 :: v_dual_mul_f32 v15, v9, v101
	v_pk_add_f32 v[4:5], v[4:5], v[12:13]
	s_wait_dscnt 0x0
	v_sub_f32_e32 v3, v10, v3
	s_delay_alu instid0(VALU_DEP_3) | instskip(NEXT) | instid1(VALU_DEP_3)
	v_mul_f32_e32 v7, v7, v103
	v_pk_add_f32 v[4:5], v[4:5], v[14:15]
	s_delay_alu instid0(VALU_DEP_3) | instskip(NEXT) | instid1(VALU_DEP_2)
	v_mul_f32_e32 v3, v3, v8
	v_pk_add_f32 v[4:5], v[4:5], v[6:7]
	s_delay_alu instid0(VALU_DEP_2) | instskip(NEXT) | instid1(VALU_DEP_1)
	v_mul_f32_e32 v9, v3, v105
	v_pk_add_f32 v[28:29], v[4:5], v[8:9]
.LBB76_54:                              ;   in Loop: Header=BB76_55 Depth=1
	s_add_nc_u64 s[24:25], s[24:25], s[22:23]
	v_add_nc_u64_e32 v[54:55], s[8:9], v[54:55]
	v_cmp_ge_i64_e64 s2, s[24:25], s[4:5]
	v_add_nc_u64_e32 v[56:57], s[8:9], v[56:57]
	v_add_nc_u64_e32 v[20:21], s[22:23], v[20:21]
	;; [unrolled: 1-line block ×30, first 2 shown]
	s_and_b32 vcc_lo, exec_lo, s2
	s_add_nc_u64 s[10:11], s[10:11], s[22:23]
	s_cbranch_vccnz .LBB76_81
.LBB76_55:                              ; =>This Inner Loop Header: Depth=1
	s_add_nc_u64 s[26:27], s[18:19], s[10:11]
	v_add_nc_u64_e32 v[88:89], s[18:19], v[20:21]
	v_cmp_ge_i64_e64 s2, s[26:27], s[4:5]
	v_dual_mov_b32 v86, v28 :: v_dual_mov_b32 v87, v29
                                        ; implicit-def: $vgpr29
	s_and_b32 vcc_lo, exec_lo, s2
	s_mov_b32 s2, -1
	s_cbranch_vccz .LBB76_77
; %bb.56:                               ;   in Loop: Header=BB76_55 Depth=1
	s_load_b32 s2, s[20:21], 0xc
	v_dual_mov_b32 v29, 0 :: v_dual_mov_b32 v28, 0
	s_wait_kmcnt 0x0
	s_and_b32 s2, s2, 0xffff
	s_delay_alu instid0(SALU_CYCLE_1) | instskip(SKIP_1) | instid1(VALU_DEP_1)
	v_mad_u32_u24 v3, v1, s2, v90
	s_mov_b32 s2, exec_lo
	v_and_b32_e32 v4, 31, v3
	s_delay_alu instid0(VALU_DEP_1)
	v_cmpx_gt_u32_e32 8, v4
	s_cbranch_execz .LBB76_60
; %bb.57:                               ;   in Loop: Header=BB76_55 Depth=1
	v_dual_mov_b32 v5, v2 :: v_dual_mov_b32 v29, 0
	v_mov_b32_e32 v28, 0
	s_mov_b32 s17, exec_lo
	s_delay_alu instid0(VALU_DEP_2) | instskip(NEXT) | instid1(VALU_DEP_1)
	v_add_nc_u64_e32 v[4:5], v[88:89], v[4:5]
	v_cmpx_gt_i64_e64 s[4:5], v[4:5]
	s_cbranch_execz .LBB76_59
; %bb.58:                               ;   in Loop: Header=BB76_55 Depth=1
	v_lshlrev_b64_e32 v[4:5], 2, v[4:5]
	s_delay_alu instid0(VALU_DEP_1)
	v_add_nc_u64_e32 v[6:7], s[12:13], v[4:5]
	v_add_nc_u64_e32 v[4:5], s[14:15], v[4:5]
	global_load_b32 v29, v[6:7], off
	global_load_b32 v28, v[4:5], off
.LBB76_59:                              ;   in Loop: Header=BB76_55 Depth=1
	s_wait_xcnt 0x0
	s_or_b32 exec_lo, exec_lo, s17
.LBB76_60:                              ;   in Loop: Header=BB76_55 Depth=1
	s_delay_alu instid0(SALU_CYCLE_1) | instskip(SKIP_4) | instid1(VALU_DEP_3)
	s_or_b32 exec_lo, exec_lo, s2
	v_dual_mov_b32 v7, v2 :: v_dual_mov_b32 v8, v2
	v_dual_mov_b32 v9, v2 :: v_dual_mov_b32 v3, v2
	v_dual_mov_b32 v4, v2 :: v_dual_mov_b32 v5, v2
	v_mov_b32_e32 v6, v2
	v_mov_b64_e32 v[18:19], v[8:9]
	s_delay_alu instid0(VALU_DEP_4)
	v_mov_b64_e32 v[12:13], v[2:3]
	s_mov_b32 s2, exec_lo
	v_mov_b64_e32 v[14:15], v[4:5]
	v_mov_b64_e32 v[16:17], v[6:7]
	;; [unrolled: 1-line block ×6, first 2 shown]
	v_cmpx_gt_i64_e64 s[4:5], v[88:89]
	s_cbranch_execz .LBB76_62
; %bb.61:                               ;   in Loop: Header=BB76_55 Depth=1
	v_add_nc_u64_e32 v[4:5], v[54:55], v[52:53]
	v_add_nc_u64_e32 v[6:7], v[56:57], v[52:53]
	v_dual_mov_b32 v9, v2 :: v_dual_mov_b32 v10, v2
	v_dual_mov_b32 v11, v2 :: v_dual_mov_b32 v13, v2
	;; [unrolled: 1-line block ×3, first 2 shown]
	global_load_u16 v3, v[4:5], off
	global_load_u16 v12, v[6:7], off
	s_wait_xcnt 0x0
	v_dual_mov_b32 v5, v2 :: v_dual_mov_b32 v6, v2
	v_dual_mov_b32 v7, v2 :: v_dual_mov_b32 v8, v2
	;; [unrolled: 1-line block ×4, first 2 shown]
	s_wait_loadcnt 0x1
	v_cvt_f32_f16_e32 v4, v3
	s_wait_loadcnt 0x0
	v_cvt_f32_f16_e32 v12, v12
.LBB76_62:                              ;   in Loop: Header=BB76_55 Depth=1
	s_or_b32 exec_lo, exec_lo, s2
	v_add_nc_u64_e32 v[92:93], 1, v[88:89]
	s_mov_b32 s2, exec_lo
	s_delay_alu instid0(VALU_DEP_1)
	v_cmpx_gt_i64_e64 s[4:5], v[92:93]
	s_cbranch_execz .LBB76_64
; %bb.63:                               ;   in Loop: Header=BB76_55 Depth=1
	v_add_nc_u64_e32 v[92:93], v[82:83], v[52:53]
	v_add_nc_u64_e32 v[94:95], v[84:85], v[52:53]
	global_load_u16 v3, v[92:93], off
	global_load_u16 v13, v[94:95], off
	s_wait_loadcnt 0x1
	v_cvt_f32_f16_e32 v5, v3
	s_wait_loadcnt 0x0
	v_cvt_f32_f16_e32 v13, v13
.LBB76_64:                              ;   in Loop: Header=BB76_55 Depth=1
	s_or_b32 exec_lo, exec_lo, s2
	v_add_nc_u64_e32 v[92:93], 2, v[88:89]
	s_mov_b32 s2, exec_lo
	s_delay_alu instid0(VALU_DEP_1)
	v_cmpx_gt_i64_e64 s[4:5], v[92:93]
	s_cbranch_execz .LBB76_66
; %bb.65:                               ;   in Loop: Header=BB76_55 Depth=1
	v_add_nc_u64_e32 v[92:93], v[78:79], v[52:53]
	v_add_nc_u64_e32 v[94:95], v[80:81], v[52:53]
	global_load_u16 v3, v[92:93], off
	global_load_u16 v14, v[94:95], off
	s_wait_loadcnt 0x1
	v_cvt_f32_f16_e32 v6, v3
	s_wait_loadcnt 0x0
	v_cvt_f32_f16_e32 v14, v14
.LBB76_66:                              ;   in Loop: Header=BB76_55 Depth=1
	;; [unrolled: 16-line block ×7, first 2 shown]
	s_or_b32 exec_lo, exec_lo, s2
	s_wait_loadcnt 0x1
	ds_bpermute_b32 v3, v2, v29
	ds_bpermute_b32 v91, v2, v29 offset:4
	ds_bpermute_b32 v93, v2, v29 offset:8
	s_wait_loadcnt 0x0
	ds_bpermute_b32 v94, v2, v28
	ds_bpermute_b32 v95, v2, v29 offset:12
	ds_bpermute_b32 v96, v2, v28 offset:4
	;; [unrolled: 1-line block ×10, first 2 shown]
	s_mov_b32 s2, 0
	s_wait_dscnt 0xd
	v_dual_mov_b32 v92, v6 :: v_dual_sub_f32 v3, v12, v3
	s_wait_dscnt 0xc
	v_dual_mov_b32 v12, v4 :: v_dual_sub_f32 v13, v13, v91
	s_wait_dscnt 0x9
	v_sub_f32_e32 v15, v15, v95
	v_dual_mul_f32 v3, v4, v3 :: v_dual_mov_b32 v4, v5
	v_sub_f32_e32 v14, v14, v93
	s_wait_dscnt 0x6
	v_dual_mul_f32 v5, v5, v13 :: v_dual_sub_f32 v16, v16, v100
	s_delay_alu instid0(VALU_DEP_3) | instskip(SKIP_4) | instid1(VALU_DEP_3)
	v_mul_f32_e32 v13, v3, v94
	ds_bpermute_b32 v3, v2, v29 offset:28
	v_dual_mul_f32 v14, v6, v14 :: v_dual_mul_f32 v5, v5, v96
	v_mov_b32_e32 v6, v7
	v_pk_add_f32 v[12:13], v[86:87], v[12:13]
	v_dual_mul_f32 v7, v7, v15 :: v_dual_mul_f32 v93, v14, v97
	ds_bpermute_b32 v14, v2, v28 offset:28
	v_mul_f32_e32 v15, v8, v16
	v_pk_add_f32 v[4:5], v[4:5], v[12:13]
	s_wait_dscnt 0x6
	v_sub_f32_e32 v13, v17, v102
	v_dual_mul_f32 v7, v7, v98 :: v_dual_mov_b32 v12, v8
	s_wait_dscnt 0x4
	v_sub_f32_e32 v8, v18, v104
	v_pk_add_f32 v[4:5], v[92:93], v[4:5]
	v_dual_mul_f32 v16, v9, v13 :: v_dual_mul_f32 v13, v15, v99
	s_delay_alu instid0(VALU_DEP_2) | instskip(SKIP_2) | instid1(VALU_DEP_3)
	v_pk_add_f32 v[4:5], v[6:7], v[4:5]
	s_wait_dscnt 0x1
	v_dual_mov_b32 v6, v9 :: v_dual_sub_f32 v3, v19, v3
	v_dual_mul_f32 v9, v10, v8 :: v_dual_mul_f32 v7, v16, v101
	v_mov_b32_e32 v8, v10
	v_pk_add_f32 v[4:5], v[12:13], v[4:5]
	s_delay_alu instid0(VALU_DEP_4) | instskip(NEXT) | instid1(VALU_DEP_2)
	v_mul_f32_e32 v3, v11, v3
	v_pk_add_f32 v[4:5], v[6:7], v[4:5]
	v_dual_mov_b32 v6, v11 :: v_dual_mul_f32 v9, v9, v103
	s_wait_dscnt 0x0
	s_delay_alu instid0(VALU_DEP_3) | instskip(NEXT) | instid1(VALU_DEP_2)
	v_mul_f32_e32 v7, v3, v14
	v_pk_add_f32 v[4:5], v[8:9], v[4:5]
	s_delay_alu instid0(VALU_DEP_1)
	v_pk_add_f32 v[28:29], v[6:7], v[4:5]
.LBB76_77:                              ;   in Loop: Header=BB76_55 Depth=1
	s_and_b32 vcc_lo, exec_lo, s2
	s_cbranch_vccz .LBB76_54
; %bb.78:                               ;   in Loop: Header=BB76_55 Depth=1
	s_load_b32 s2, s[20:21], 0x0
	v_mov_b32_e32 v6, 0
	s_wait_kmcnt 0x0
	s_cmp_lt_u32 s16, s2
	s_cselect_b32 s2, 12, 18
	s_delay_alu instid0(SALU_CYCLE_1) | instskip(SKIP_4) | instid1(VALU_DEP_1)
	s_add_nc_u64 s[26:27], s[20:21], s[2:3]
	s_load_u16 s2, s[26:27], 0x0
	s_wait_kmcnt 0x0
	v_mad_u32_u24 v3, v1, s2, v90
	s_mov_b32 s2, exec_lo
	v_dual_mov_b32 v3, 0 :: v_dual_bitop2_b32 v4, 31, v3 bitop3:0x40
	s_delay_alu instid0(VALU_DEP_1)
	v_cmpx_gt_u32_e32 8, v4
	s_cbranch_execz .LBB76_53
; %bb.79:                               ;   in Loop: Header=BB76_55 Depth=1
	v_dual_mov_b32 v5, v2 :: v_dual_mov_b32 v3, 0
	v_mov_b32_e32 v6, 0
	s_mov_b32 s17, exec_lo
	s_delay_alu instid0(VALU_DEP_2) | instskip(NEXT) | instid1(VALU_DEP_1)
	v_add_nc_u64_e32 v[4:5], v[88:89], v[4:5]
	v_cmpx_gt_i64_e64 s[4:5], v[4:5]
	s_cbranch_execz .LBB76_52
; %bb.80:                               ;   in Loop: Header=BB76_55 Depth=1
	v_lshlrev_b64_e32 v[4:5], 2, v[4:5]
	s_delay_alu instid0(VALU_DEP_1)
	v_add_nc_u64_e32 v[8:9], s[12:13], v[4:5]
	v_add_nc_u64_e32 v[4:5], s[14:15], v[4:5]
	global_load_b32 v3, v[8:9], off
	global_load_b32 v6, v[4:5], off
	s_branch .LBB76_52
.LBB76_81:
	s_mov_b32 s17, 0
	s_delay_alu instid0(SALU_CYCLE_1) | instskip(NEXT) | instid1(SALU_CYCLE_1)
	s_lshl_b64 s[2:3], s[16:17], 6
	v_and_or_b32 v2, 0x3ff, v0, s2
	v_mov_b32_e32 v3, s3
	s_mov_b32 s2, exec_lo
	s_delay_alu instid0(VALU_DEP_1)
	v_cmpx_gt_i64_e64 s[6:7], v[2:3]
	s_cbranch_execz .LBB76_86
; %bb.82:
	s_load_u16 s2, s[0:1], 0x4e
	v_bfe_u32 v0, v0, 10, 10
	v_mov_b32_e32 v1, 0
	s_wait_kmcnt 0x0
	s_delay_alu instid0(VALU_DEP_1) | instskip(SKIP_1) | instid1(VALU_DEP_1)
	v_mad_nc_u64_u32 v[0:1], s2, s33, v[0:1]
	s_load_b128 s[0:3], s[0:1], 0x30
	v_mul_u64_e32 v[0:1], s[6:7], v[0:1]
	s_wait_kmcnt 0x0
	s_cmp_eq_u64 s[0:1], 0
	s_cbranch_scc1 .LBB76_84
; %bb.83:
	s_delay_alu instid0(VALU_DEP_1) | instskip(SKIP_1) | instid1(VALU_DEP_2)
	v_lshl_add_u64 v[4:5], v[0:1], 1, s[0:1]
	v_cvt_f16_f32_e32 v6, v29
	v_lshl_add_u64 v[4:5], v[2:3], 1, v[4:5]
	global_store_b16 v[4:5], v6, off
.LBB76_84:
	s_cmp_eq_u64 s[2:3], 0
	s_cbranch_scc1 .LBB76_86
; %bb.85:
	s_delay_alu instid0(VALU_DEP_1) | instskip(SKIP_2) | instid1(VALU_DEP_2)
	v_lshl_add_u64 v[0:1], v[0:1], 1, s[2:3]
	s_wait_xcnt 0x0
	v_cvt_f16_f32_e32 v4, v28
	v_lshl_add_u64 v[0:1], v[2:3], 1, v[0:1]
	global_store_b16 v[0:1], v4, off
.LBB76_86:
	s_sendmsg sendmsg(MSG_DEALLOC_VGPRS)
	s_endpgm
	.section	.rodata,"a",@progbits
	.p2align	6, 0x0
	.amdhsa_kernel _ZN2at6native12_GLOBAL__N_135GammaBetaBackwardCUDAKernelTemplateIN3c104HalfEfLj64ELj1ELj8ELb1ELb0ELb0EEEvllPKT_S7_PKT0_SA_PS5_SB_
		.amdhsa_group_segment_fixed_size 0
		.amdhsa_private_segment_fixed_size 0
		.amdhsa_kernarg_size 320
		.amdhsa_user_sgpr_count 2
		.amdhsa_user_sgpr_dispatch_ptr 0
		.amdhsa_user_sgpr_queue_ptr 0
		.amdhsa_user_sgpr_kernarg_segment_ptr 1
		.amdhsa_user_sgpr_dispatch_id 0
		.amdhsa_user_sgpr_kernarg_preload_length 0
		.amdhsa_user_sgpr_kernarg_preload_offset 0
		.amdhsa_user_sgpr_private_segment_size 0
		.amdhsa_wavefront_size32 1
		.amdhsa_uses_dynamic_stack 0
		.amdhsa_enable_private_segment 0
		.amdhsa_system_sgpr_workgroup_id_x 1
		.amdhsa_system_sgpr_workgroup_id_y 1
		.amdhsa_system_sgpr_workgroup_id_z 0
		.amdhsa_system_sgpr_workgroup_info 0
		.amdhsa_system_vgpr_workitem_id 1
		.amdhsa_next_free_vgpr 106
		.amdhsa_next_free_sgpr 36
		.amdhsa_named_barrier_count 0
		.amdhsa_reserve_vcc 1
		.amdhsa_float_round_mode_32 0
		.amdhsa_float_round_mode_16_64 0
		.amdhsa_float_denorm_mode_32 3
		.amdhsa_float_denorm_mode_16_64 3
		.amdhsa_fp16_overflow 0
		.amdhsa_memory_ordered 1
		.amdhsa_forward_progress 1
		.amdhsa_inst_pref_size 51
		.amdhsa_round_robin_scheduling 0
		.amdhsa_exception_fp_ieee_invalid_op 0
		.amdhsa_exception_fp_denorm_src 0
		.amdhsa_exception_fp_ieee_div_zero 0
		.amdhsa_exception_fp_ieee_overflow 0
		.amdhsa_exception_fp_ieee_underflow 0
		.amdhsa_exception_fp_ieee_inexact 0
		.amdhsa_exception_int_div_zero 0
	.end_amdhsa_kernel
	.section	.text._ZN2at6native12_GLOBAL__N_135GammaBetaBackwardCUDAKernelTemplateIN3c104HalfEfLj64ELj1ELj8ELb1ELb0ELb0EEEvllPKT_S7_PKT0_SA_PS5_SB_,"axG",@progbits,_ZN2at6native12_GLOBAL__N_135GammaBetaBackwardCUDAKernelTemplateIN3c104HalfEfLj64ELj1ELj8ELb1ELb0ELb0EEEvllPKT_S7_PKT0_SA_PS5_SB_,comdat
.Lfunc_end76:
	.size	_ZN2at6native12_GLOBAL__N_135GammaBetaBackwardCUDAKernelTemplateIN3c104HalfEfLj64ELj1ELj8ELb1ELb0ELb0EEEvllPKT_S7_PKT0_SA_PS5_SB_, .Lfunc_end76-_ZN2at6native12_GLOBAL__N_135GammaBetaBackwardCUDAKernelTemplateIN3c104HalfEfLj64ELj1ELj8ELb1ELb0ELb0EEEvllPKT_S7_PKT0_SA_PS5_SB_
                                        ; -- End function
	.set _ZN2at6native12_GLOBAL__N_135GammaBetaBackwardCUDAKernelTemplateIN3c104HalfEfLj64ELj1ELj8ELb1ELb0ELb0EEEvllPKT_S7_PKT0_SA_PS5_SB_.num_vgpr, 106
	.set _ZN2at6native12_GLOBAL__N_135GammaBetaBackwardCUDAKernelTemplateIN3c104HalfEfLj64ELj1ELj8ELb1ELb0ELb0EEEvllPKT_S7_PKT0_SA_PS5_SB_.num_agpr, 0
	.set _ZN2at6native12_GLOBAL__N_135GammaBetaBackwardCUDAKernelTemplateIN3c104HalfEfLj64ELj1ELj8ELb1ELb0ELb0EEEvllPKT_S7_PKT0_SA_PS5_SB_.numbered_sgpr, 36
	.set _ZN2at6native12_GLOBAL__N_135GammaBetaBackwardCUDAKernelTemplateIN3c104HalfEfLj64ELj1ELj8ELb1ELb0ELb0EEEvllPKT_S7_PKT0_SA_PS5_SB_.num_named_barrier, 0
	.set _ZN2at6native12_GLOBAL__N_135GammaBetaBackwardCUDAKernelTemplateIN3c104HalfEfLj64ELj1ELj8ELb1ELb0ELb0EEEvllPKT_S7_PKT0_SA_PS5_SB_.private_seg_size, 0
	.set _ZN2at6native12_GLOBAL__N_135GammaBetaBackwardCUDAKernelTemplateIN3c104HalfEfLj64ELj1ELj8ELb1ELb0ELb0EEEvllPKT_S7_PKT0_SA_PS5_SB_.uses_vcc, 1
	.set _ZN2at6native12_GLOBAL__N_135GammaBetaBackwardCUDAKernelTemplateIN3c104HalfEfLj64ELj1ELj8ELb1ELb0ELb0EEEvllPKT_S7_PKT0_SA_PS5_SB_.uses_flat_scratch, 0
	.set _ZN2at6native12_GLOBAL__N_135GammaBetaBackwardCUDAKernelTemplateIN3c104HalfEfLj64ELj1ELj8ELb1ELb0ELb0EEEvllPKT_S7_PKT0_SA_PS5_SB_.has_dyn_sized_stack, 0
	.set _ZN2at6native12_GLOBAL__N_135GammaBetaBackwardCUDAKernelTemplateIN3c104HalfEfLj64ELj1ELj8ELb1ELb0ELb0EEEvllPKT_S7_PKT0_SA_PS5_SB_.has_recursion, 0
	.set _ZN2at6native12_GLOBAL__N_135GammaBetaBackwardCUDAKernelTemplateIN3c104HalfEfLj64ELj1ELj8ELb1ELb0ELb0EEEvllPKT_S7_PKT0_SA_PS5_SB_.has_indirect_call, 0
	.section	.AMDGPU.csdata,"",@progbits
; Kernel info:
; codeLenInByte = 6432
; TotalNumSgprs: 38
; NumVgprs: 106
; ScratchSize: 0
; MemoryBound: 0
; FloatMode: 240
; IeeeMode: 1
; LDSByteSize: 0 bytes/workgroup (compile time only)
; SGPRBlocks: 0
; VGPRBlocks: 6
; NumSGPRsForWavesPerEU: 38
; NumVGPRsForWavesPerEU: 106
; NamedBarCnt: 0
; Occupancy: 9
; WaveLimiterHint : 0
; COMPUTE_PGM_RSRC2:SCRATCH_EN: 0
; COMPUTE_PGM_RSRC2:USER_SGPR: 2
; COMPUTE_PGM_RSRC2:TRAP_HANDLER: 0
; COMPUTE_PGM_RSRC2:TGID_X_EN: 1
; COMPUTE_PGM_RSRC2:TGID_Y_EN: 1
; COMPUTE_PGM_RSRC2:TGID_Z_EN: 0
; COMPUTE_PGM_RSRC2:TIDIG_COMP_CNT: 1
	.section	.text._ZN2at6native12_GLOBAL__N_135GammaBetaBackwardCUDAKernelTemplateIN3c104HalfEfLj64ELj8ELj64ELb0ELb1ELb0EEEvllPKT_S7_PKT0_SA_PS5_SB_,"axG",@progbits,_ZN2at6native12_GLOBAL__N_135GammaBetaBackwardCUDAKernelTemplateIN3c104HalfEfLj64ELj8ELj64ELb0ELb1ELb0EEEvllPKT_S7_PKT0_SA_PS5_SB_,comdat
	.globl	_ZN2at6native12_GLOBAL__N_135GammaBetaBackwardCUDAKernelTemplateIN3c104HalfEfLj64ELj8ELj64ELb0ELb1ELb0EEEvllPKT_S7_PKT0_SA_PS5_SB_ ; -- Begin function _ZN2at6native12_GLOBAL__N_135GammaBetaBackwardCUDAKernelTemplateIN3c104HalfEfLj64ELj8ELj64ELb0ELb1ELb0EEEvllPKT_S7_PKT0_SA_PS5_SB_
	.p2align	8
	.type	_ZN2at6native12_GLOBAL__N_135GammaBetaBackwardCUDAKernelTemplateIN3c104HalfEfLj64ELj8ELj64ELb0ELb1ELb0EEEvllPKT_S7_PKT0_SA_PS5_SB_,@function
_ZN2at6native12_GLOBAL__N_135GammaBetaBackwardCUDAKernelTemplateIN3c104HalfEfLj64ELj8ELj64ELb0ELb1ELb0EEEvllPKT_S7_PKT0_SA_PS5_SB_: ; @_ZN2at6native12_GLOBAL__N_135GammaBetaBackwardCUDAKernelTemplateIN3c104HalfEfLj64ELj8ELj64ELb0ELb1ELb0EEEvllPKT_S7_PKT0_SA_PS5_SB_
; %bb.0:
	s_load_b128 s[12:15], s[0:1], 0x0
	s_bfe_u32 s2, ttmp6, 0x40010
	s_bfe_u32 s4, ttmp6, 0x40004
	s_add_co_i32 s2, s2, 1
	s_getreg_b32 s3, hwreg(HW_REG_IB_STS2, 6, 4)
	s_mul_i32 s2, ttmp7, s2
	s_mov_b32 s17, 0
	s_add_co_i32 s4, s4, s2
	s_cmp_eq_u32 s3, 0
	v_bfe_u32 v11, v0, 10, 10
	s_cselect_b32 s2, ttmp7, s4
	s_delay_alu instid0(SALU_CYCLE_1)
	s_lshl_b32 s16, s2, 6
	s_wait_kmcnt 0x0
	v_cmp_gt_i64_e64 s2, s[12:13], s[16:17]
	s_and_b32 vcc_lo, exec_lo, s2
	s_cbranch_vccnz .LBB77_2
; %bb.1:
	v_bfe_u32 v1, v0, 10, 10
	s_mov_b32 s2, s17
	s_branch .LBB77_3
.LBB77_2:
	s_mov_b32 s2, -1
                                        ; implicit-def: $vgpr1
.LBB77_3:
	v_mov_b32_e32 v9, 0
	v_and_b32_e32 v10, 0x3ff, v0
	s_and_not1_b32 vcc_lo, exec_lo, s2
	s_delay_alu instid0(VALU_DEP_2)
	v_mov_b32_e32 v8, v9
	s_cbranch_vccnz .LBB77_11
; %bb.4:
	v_dual_mov_b32 v1, 0 :: v_dual_lshlrev_b32 v0, 3, v11
	s_load_b32 s2, s[0:1], 0x4c
	s_bfe_u32 s21, ttmp6, 0x4000c
	s_clause 0x1
	s_load_b32 s18, s[0:1], 0x44
	s_load_b256 s[4:11], s[0:1], 0x10
	s_add_co_i32 s21, s21, 1
	v_add_nc_u64_e32 v[2:3], s[16:17], v[0:1]
	s_and_b32 s20, ttmp6, 15
	s_mul_i32 s21, ttmp9, s21
	v_dual_mov_b32 v13, 12 :: v_dual_mov_b32 v5, v1
	s_add_co_i32 s20, s20, s21
	s_mov_b32 s19, 0
	s_delay_alu instid0(VALU_DEP_2)
	v_mul_u64_e32 v[6:7], s[14:15], v[2:3]
	v_dual_mov_b32 v0, 8 :: v_dual_mov_b32 v12, 4
	v_dual_mov_b32 v14, 16 :: v_dual_mov_b32 v15, 20
	;; [unrolled: 1-line block ×3, first 2 shown]
	s_wait_kmcnt 0x0
	s_and_b32 s2, s2, 0xffff
	s_cmp_eq_u32 s3, 0
	v_mad_u32_u24 v4, v11, s2, v10
	v_mov_b32_e32 v9, v1
	s_cselect_b32 s2, ttmp9, s20
	s_lshl_b32 s18, s18, 6
	v_lshl_add_u32 v8, s2, 6, v10
	v_and_b32_e32 v4, 31, v4
	s_mul_u64 s[22:23], s[14:15], s[18:19]
	s_lshl_b64 s[20:21], s[18:19], 2
	s_lshl_b64 s[22:23], s[22:23], 1
	v_lshlrev_b64_e32 v[18:19], 1, v[8:9]
	v_add_nc_u64_e32 v[2:3], v[2:3], v[4:5]
	v_cmp_gt_u32_e64 s2, 8, v4
	v_mov_b32_e32 v8, 0
	s_lshl_b64 s[14:15], s[14:15], 1
	v_lshlrev_b64_e32 v[4:5], 2, v[2:3]
	v_lshl_add_u64 v[6:7], v[6:7], 1, v[18:19]
	s_branch .LBB77_7
.LBB77_5:                               ;   in Loop: Header=BB77_7 Depth=1
	s_wait_xcnt 0x0
	s_or_b32 exec_lo, exec_lo, s25
.LBB77_6:                               ;   in Loop: Header=BB77_7 Depth=1
	s_delay_alu instid0(SALU_CYCLE_1)
	s_or_b32 exec_lo, exec_lo, s24
	v_add_nc_u64_e32 v[20:21], s[6:7], v[6:7]
	v_add_nc_u64_e32 v[22:23], s[4:5], v[6:7]
	s_wait_loadcnt 0x1
	ds_bpermute_b32 v43, v0, v19
	ds_bpermute_b32 v45, v13, v19
	s_wait_loadcnt 0x0
	ds_bpermute_b32 v42, v0, v18
	ds_bpermute_b32 v46, v14, v19
	ds_bpermute_b32 v44, v13, v18
	v_add_nc_u64_e32 v[24:25], s[14:15], v[20:21]
	v_add_nc_u64_e32 v[26:27], s[14:15], v[22:23]
	global_load_u16 v28, v[20:21], off
	global_load_u16 v29, v[22:23], off
	ds_bpermute_b32 v47, v15, v18
	ds_bpermute_b32 v48, v16, v18
	s_add_nc_u64 s[16:17], s[16:17], s[18:19]
	s_wait_xcnt 0x1
	v_add_nc_u64_e32 v[20:21], s[14:15], v[24:25]
	s_wait_xcnt 0x0
	v_add_nc_u64_e32 v[22:23], s[14:15], v[26:27]
	global_load_u16 v30, v[24:25], off
	global_load_u16 v31, v[26:27], off
	v_cmp_lt_i64_e64 s24, s[16:17], s[12:13]
	v_add_nc_u64_e32 v[4:5], s[20:21], v[4:5]
	v_add_nc_u64_e32 v[2:3], s[18:19], v[2:3]
	;; [unrolled: 1-line block ×3, first 2 shown]
	s_wait_xcnt 0x1
	v_add_nc_u64_e32 v[24:25], s[14:15], v[20:21]
	s_wait_xcnt 0x0
	v_add_nc_u64_e32 v[26:27], s[14:15], v[22:23]
	global_load_u16 v32, v[20:21], off
	global_load_u16 v33, v[22:23], off
	s_and_b32 vcc_lo, exec_lo, s24
	global_load_u16 v34, v[24:25], off
	global_load_u16 v35, v[26:27], off
	s_wait_xcnt 0x3
	v_add_nc_u64_e32 v[20:21], s[14:15], v[24:25]
	s_wait_xcnt 0x2
	v_add_nc_u64_e32 v[22:23], s[14:15], v[26:27]
	s_wait_xcnt 0x1
	s_delay_alu instid0(VALU_DEP_2)
	v_add_nc_u64_e32 v[24:25], s[14:15], v[20:21]
	global_load_u16 v26, v[20:21], off
	s_wait_xcnt 0x0
	v_add_nc_u64_e32 v[20:21], s[14:15], v[22:23]
	global_load_u16 v27, v[22:23], off
	global_load_u16 v36, v[24:25], off
	;; [unrolled: 1-line block ×3, first 2 shown]
	s_wait_xcnt 0x2
	v_add_nc_u64_e32 v[22:23], s[14:15], v[24:25]
	global_load_u16 v38, v[22:23], off
	s_wait_xcnt 0x2
	v_add_nc_u64_e32 v[24:25], s[14:15], v[20:21]
	s_wait_xcnt 0x1
	v_add_nc_u64_e32 v[20:21], s[14:15], v[22:23]
	s_wait_xcnt 0x0
	s_delay_alu instid0(VALU_DEP_2)
	v_add_nc_u64_e32 v[22:23], s[14:15], v[24:25]
	global_load_u16 v39, v[24:25], off
	global_load_u16 v40, v[20:21], off
	;; [unrolled: 1-line block ×3, first 2 shown]
	s_wait_xcnt 0x1
	ds_bpermute_b32 v21, v1, v19
	s_wait_xcnt 0x0
	ds_bpermute_b32 v23, v12, v19
	ds_bpermute_b32 v24, v1, v18
	;; [unrolled: 1-line block ×3, first 2 shown]
	s_wait_loadcnt 0xf
	v_cvt_f32_f16_e32 v22, v28
	s_wait_loadcnt 0xe
	v_cvt_f32_f16_e32 v20, v29
	ds_bpermute_b32 v28, v14, v18
	s_wait_loadcnt 0xd
	v_cvt_f32_f16_e32 v29, v30
	s_wait_dscnt 0x4
	v_sub_f32_e32 v21, v22, v21
	ds_bpermute_b32 v30, v15, v19
	s_wait_loadcnt 0xc
	v_cvt_f32_f16_e32 v22, v31
	s_wait_dscnt 0x4
	v_sub_f32_e32 v23, v29, v23
	v_mul_f32_e32 v21, v21, v20
	ds_bpermute_b32 v29, v16, v19
	s_wait_loadcnt 0xb
	v_cvt_f32_f16_e32 v31, v32
	ds_bpermute_b32 v32, v17, v19
	s_wait_dscnt 0x5
	v_dual_mul_f32 v19, v23, v22 :: v_dual_mul_f32 v21, v21, v24
	s_wait_loadcnt 0xa
	v_cvt_f32_f16_e32 v24, v33
	v_sub_f32_e32 v31, v31, v43
	s_wait_loadcnt 0x9
	v_cvt_f32_f16_e32 v33, v34
	s_wait_dscnt 0x4
	v_mul_f32_e32 v23, v19, v25
	v_pk_add_f32 v[8:9], v[8:9], v[20:21]
	s_wait_loadcnt 0x8
	v_cvt_f32_f16_e32 v20, v35
	v_dual_mul_f32 v19, v31, v24 :: v_dual_sub_f32 v21, v33, v45
	s_wait_loadcnt 0x7
	v_cvt_f32_f16_e32 v26, v26
	s_delay_alu instid0(VALU_DEP_2)
	v_mul_f32_e32 v25, v19, v42
	v_pk_add_f32 v[8:9], v[8:9], v[22:23]
	s_wait_loadcnt 0x6
	v_cvt_f32_f16_e32 v22, v27
	v_dual_mul_f32 v19, v21, v20 :: v_dual_sub_f32 v23, v26, v46
	s_wait_loadcnt 0x5
	v_cvt_f32_f16_e32 v27, v36
	ds_bpermute_b32 v26, v17, v18
	v_pk_add_f32 v[8:9], v[8:9], v[24:25]
	s_wait_loadcnt 0x4
	v_cvt_f32_f16_e32 v18, v37
	s_wait_dscnt 0x3
	v_sub_f32_e32 v24, v27, v30
	v_mul_f32_e32 v21, v19, v44
	s_wait_loadcnt 0x3
	v_cvt_f32_f16_e32 v25, v38
	v_mul_f32_e32 v19, v23, v22
	s_delay_alu instid0(VALU_DEP_1)
	v_dual_mul_f32 v23, v19, v28 :: v_dual_mul_f32 v19, v24, v18
	v_pk_add_f32 v[8:9], v[8:9], v[20:21]
	s_wait_dscnt 0x2
	v_sub_f32_e32 v21, v25, v29
	s_wait_loadcnt 0x2
	v_cvt_f32_f16_e32 v20, v39
	s_wait_loadcnt 0x1
	v_cvt_f32_f16_e32 v24, v40
	v_mul_f32_e32 v19, v19, v47
	v_pk_add_f32 v[8:9], v[8:9], v[22:23]
	s_wait_loadcnt 0x0
	v_cvt_f32_f16_e32 v22, v41
	v_mul_f32_e32 v21, v21, v20
	s_wait_dscnt 0x1
	v_sub_f32_e32 v23, v24, v32
	v_pk_add_f32 v[8:9], v[8:9], v[18:19]
	s_delay_alu instid0(VALU_DEP_2) | instskip(NEXT) | instid1(VALU_DEP_1)
	v_dual_mul_f32 v21, v21, v48 :: v_dual_mul_f32 v18, v23, v22
	v_pk_add_f32 v[8:9], v[8:9], v[20:21]
	s_wait_dscnt 0x0
	s_delay_alu instid0(VALU_DEP_2) | instskip(NEXT) | instid1(VALU_DEP_1)
	v_mul_f32_e32 v23, v18, v26
	v_pk_add_f32 v[8:9], v[8:9], v[22:23]
	s_cbranch_vccz .LBB77_10
.LBB77_7:                               ; =>This Inner Loop Header: Depth=1
	v_dual_mov_b32 v18, 0 :: v_dual_mov_b32 v19, 0
	s_and_saveexec_b32 s24, s2
	s_cbranch_execz .LBB77_6
; %bb.8:                                ;   in Loop: Header=BB77_7 Depth=1
	v_dual_mov_b32 v19, 0 :: v_dual_mov_b32 v18, 0
	s_mov_b32 s25, exec_lo
	v_cmpx_gt_i64_e64 s[12:13], v[2:3]
	s_cbranch_execz .LBB77_5
; %bb.9:                                ;   in Loop: Header=BB77_7 Depth=1
	v_add_nc_u64_e32 v[20:21], s[8:9], v[4:5]
	v_add_nc_u64_e32 v[22:23], s[10:11], v[4:5]
	global_load_b32 v19, v[20:21], off
	global_load_b32 v18, v[22:23], off
	s_branch .LBB77_5
.LBB77_10:
	v_mov_b32_e32 v1, v11
.LBB77_11:
	s_load_b128 s[4:7], s[0:1], 0x30
	s_delay_alu instid0(VALU_DEP_1) | instskip(SKIP_2) | instid1(VALU_DEP_1)
	v_mad_u32_u24 v0, 0x41, v1, v10
	s_wait_xcnt 0x0
	s_mov_b32 s0, exec_lo
	v_lshl_add_u32 v2, v0, 2, 0
	v_sub_nc_u32_e32 v6, v0, v1
	ds_store_b32 v2, v9
	ds_store_b32 v2, v8 offset:2080
	s_wait_dscnt 0x0
	s_barrier_signal -1
	s_barrier_wait -1
	v_cmpx_gt_u32_e32 0x800, v6
	s_cbranch_execz .LBB77_43
; %bb.12:
	v_and_b32_e32 v1, 31, v10
	v_lshrrev_b32_e32 v0, 5, v6
                                        ; implicit-def: $vgpr2
	s_delay_alu instid0(VALU_DEP_2)
	v_cmp_lt_u32_e64 s2, 7, v1
	v_cmp_gt_u32_e64 s0, 8, v1
	v_mul_u32_u24_e32 v7, 0x41, v1
	s_and_saveexec_b32 s1, s0
	s_cbranch_execz .LBB77_14
; %bb.13:
	s_delay_alu instid0(VALU_DEP_1) | instskip(NEXT) | instid1(VALU_DEP_1)
	v_add_nc_u32_e32 v1, v0, v7
	v_lshl_add_u32 v1, v1, 2, 0
	ds_load_b32 v3, v1
	ds_load_b32 v2, v1 offset:2080
.LBB77_14:
	s_or_b32 exec_lo, exec_lo, s1
	v_mbcnt_lo_u32_b32 v1, -1, 0
	s_bfe_u32 s1, ttmp6, 0x4000c
	s_and_b32 s8, ttmp6, 15
	s_add_co_i32 s1, s1, 1
	s_mov_b32 s9, 0
	v_xor_b32_e32 v11, 1, v1
	v_xor_b32_e32 v4, 4, v1
	s_mul_i32 s1, ttmp9, s1
	v_xor_b32_e32 v9, 2, v1
	s_add_co_i32 s8, s8, s1
	s_cmp_eq_u32 s3, 0
	v_cmp_gt_i32_e32 vcc_lo, 32, v4
	s_cselect_b32 s8, ttmp9, s8
	v_cmp_eq_u32_e64 s1, 0, v10
	s_lshl_b64 s[8:9], s[8:9], 6
	s_wait_kmcnt 0x0
	s_cmp_lg_u64 s[4:5], 0
	v_cndmask_b32_e32 v4, v1, v4, vcc_lo
	s_cselect_b32 s10, -1, 0
	s_cmp_lg_u64 s[6:7], 0
	v_cmp_gt_i32_e32 vcc_lo, 32, v9
	s_cselect_b32 s3, -1, 0
	v_dual_cndmask_b32 v9, v1, v9 :: v_dual_lshlrev_b32 v8, 2, v4
	v_cmp_gt_i32_e32 vcc_lo, 32, v11
	s_wait_dscnt 0x1
	ds_bpermute_b32 v5, v8, v3
	s_wait_dscnt 0x1
	ds_bpermute_b32 v4, v8, v2
	v_dual_lshlrev_b32 v9, 2, v9 :: v_dual_cndmask_b32 v1, v1, v11, vcc_lo
	s_delay_alu instid0(VALU_DEP_1)
	v_dual_lshlrev_b32 v11, 2, v1 :: v_dual_mov_b32 v1, 0
	s_wait_dscnt 0x0
	v_pk_add_f32 v[2:3], v[2:3], v[4:5]
	ds_bpermute_b32 v5, v9, v3
	ds_bpermute_b32 v4, v9, v2
	s_wait_dscnt 0x0
	v_pk_add_f32 v[2:3], v[2:3], v[4:5]
	ds_bpermute_b32 v5, v11, v3
	ds_bpermute_b32 v4, v11, v2
	s_wait_dscnt 0x0
	v_pk_add_f32 v[2:3], v[2:3], v[4:5]
	s_and_saveexec_b32 s11, s1
	s_cbranch_execz .LBB77_19
; %bb.15:
	v_dual_mov_b32 v5, s9 :: v_dual_bitop2_b32 v4, s8, v0 bitop3:0x54
	s_and_not1_b32 vcc_lo, exec_lo, s10
	s_cbranch_vccnz .LBB77_17
; %bb.16:
	s_delay_alu instid0(VALU_DEP_1)
	v_lshl_add_u64 v[12:13], v[4:5], 1, s[4:5]
	v_cvt_f16_f32_e32 v10, v3
	global_store_b16 v[12:13], v10, off
.LBB77_17:
	s_and_not1_b32 vcc_lo, exec_lo, s3
	s_cbranch_vccnz .LBB77_19
; %bb.18:
	v_lshl_add_u64 v[4:5], v[4:5], 1, s[6:7]
	s_wait_xcnt 0x0
	v_cvt_f16_f32_e32 v10, v2
	global_store_b16 v[4:5], v10, off
.LBB77_19:
	s_wait_xcnt 0x0
	s_or_b32 exec_lo, exec_lo, s11
	v_cmp_gt_u32_e32 vcc_lo, 0x600, v6
	s_and_b32 exec_lo, exec_lo, vcc_lo
	s_cbranch_execz .LBB77_43
; %bb.20:
	s_and_saveexec_b32 s11, s2
	s_delay_alu instid0(SALU_CYCLE_1) | instskip(NEXT) | instid1(SALU_CYCLE_1)
	s_xor_b32 s11, exec_lo, s11
	s_and_not1_saveexec_b32 s11, s11
	s_cbranch_execz .LBB77_22
; %bb.21:
	v_add_nc_u32_e32 v2, v0, v7
	s_delay_alu instid0(VALU_DEP_1)
	v_lshl_add_u32 v2, v2, 2, 0
	ds_load_b32 v3, v2 offset:64
	ds_load_b32 v2, v2 offset:2144
.LBB77_22:
	s_or_b32 exec_lo, exec_lo, s11
	s_wait_dscnt 0x1
	ds_bpermute_b32 v5, v8, v3
	s_wait_dscnt 0x1
	ds_bpermute_b32 v4, v8, v2
	s_wait_dscnt 0x0
	v_pk_add_f32 v[2:3], v[2:3], v[4:5]
	ds_bpermute_b32 v5, v9, v3
	ds_bpermute_b32 v4, v9, v2
	s_wait_dscnt 0x0
	v_pk_add_f32 v[2:3], v[2:3], v[4:5]
	ds_bpermute_b32 v5, v11, v3
	ds_bpermute_b32 v4, v11, v2
	s_wait_dscnt 0x0
	v_pk_add_f32 v[2:3], v[2:3], v[4:5]
	s_and_saveexec_b32 s11, s1
	s_cbranch_execz .LBB77_27
; %bb.23:
	s_and_not1_b32 vcc_lo, exec_lo, s10
	s_cbranch_vccnz .LBB77_25
; %bb.24:
	v_add_nc_u64_e32 v[4:5], s[8:9], v[0:1]
	v_cvt_f16_f32_e32 v10, v3
	s_delay_alu instid0(VALU_DEP_2)
	v_lshl_add_u64 v[4:5], v[4:5], 1, s[4:5]
	global_store_b16 v[4:5], v10, off offset:32
.LBB77_25:
	s_and_not1_b32 vcc_lo, exec_lo, s3
	s_cbranch_vccnz .LBB77_27
; %bb.26:
	s_wait_xcnt 0x0
	v_add_nc_u64_e32 v[4:5], s[8:9], v[0:1]
	v_cvt_f16_f32_e32 v10, v2
	s_delay_alu instid0(VALU_DEP_2)
	v_lshl_add_u64 v[4:5], v[4:5], 1, s[6:7]
	global_store_b16 v[4:5], v10, off offset:32
.LBB77_27:
	s_wait_xcnt 0x0
	s_or_b32 exec_lo, exec_lo, s11
	v_cmp_gt_u32_e32 vcc_lo, 0x400, v6
	s_and_b32 exec_lo, exec_lo, vcc_lo
	s_cbranch_execz .LBB77_43
; %bb.28:
	s_and_saveexec_b32 s11, s2
	s_delay_alu instid0(SALU_CYCLE_1) | instskip(NEXT) | instid1(SALU_CYCLE_1)
	s_xor_b32 s2, exec_lo, s11
	s_and_not1_saveexec_b32 s2, s2
	s_cbranch_execz .LBB77_30
; %bb.29:
	v_add_nc_u32_e32 v2, v0, v7
	s_delay_alu instid0(VALU_DEP_1)
	v_lshl_add_u32 v2, v2, 2, 0
	ds_load_b32 v3, v2 offset:128
	ds_load_b32 v2, v2 offset:2208
.LBB77_30:
	s_or_b32 exec_lo, exec_lo, s2
	s_wait_dscnt 0x1
	ds_bpermute_b32 v5, v8, v3
	s_wait_dscnt 0x1
	ds_bpermute_b32 v4, v8, v2
	s_wait_dscnt 0x0
	v_pk_add_f32 v[2:3], v[2:3], v[4:5]
	ds_bpermute_b32 v5, v9, v3
	ds_bpermute_b32 v4, v9, v2
	s_wait_dscnt 0x0
	v_pk_add_f32 v[2:3], v[2:3], v[4:5]
	ds_bpermute_b32 v5, v11, v3
	ds_bpermute_b32 v4, v11, v2
	s_wait_dscnt 0x0
	v_pk_add_f32 v[2:3], v[2:3], v[4:5]
	s_and_saveexec_b32 s2, s1
	s_cbranch_execz .LBB77_35
; %bb.31:
	s_and_not1_b32 vcc_lo, exec_lo, s10
	s_cbranch_vccnz .LBB77_33
; %bb.32:
	v_add_nc_u64_e32 v[4:5], s[8:9], v[0:1]
	v_cvt_f16_f32_e32 v10, v3
	s_delay_alu instid0(VALU_DEP_2)
	v_lshl_add_u64 v[4:5], v[4:5], 1, s[4:5]
	global_store_b16 v[4:5], v10, off offset:64
.LBB77_33:
	s_and_not1_b32 vcc_lo, exec_lo, s3
	s_cbranch_vccnz .LBB77_35
; %bb.34:
	s_wait_xcnt 0x0
	v_add_nc_u64_e32 v[4:5], s[8:9], v[0:1]
	v_cvt_f16_f32_e32 v10, v2
	s_delay_alu instid0(VALU_DEP_2)
	v_lshl_add_u64 v[4:5], v[4:5], 1, s[6:7]
	global_store_b16 v[4:5], v10, off offset:64
.LBB77_35:
	s_wait_xcnt 0x0
	s_or_b32 exec_lo, exec_lo, s2
	v_cmp_gt_u32_e32 vcc_lo, 0x200, v6
	s_and_b32 exec_lo, exec_lo, vcc_lo
	s_cbranch_execz .LBB77_43
; %bb.36:
	s_and_saveexec_b32 s2, s0
	s_cbranch_execz .LBB77_38
; %bb.37:
	v_add_nc_u32_e32 v2, v0, v7
	s_delay_alu instid0(VALU_DEP_1)
	v_lshl_add_u32 v2, v2, 2, 0
	ds_load_b32 v3, v2 offset:192
	ds_load_b32 v2, v2 offset:2272
.LBB77_38:
	s_or_b32 exec_lo, exec_lo, s2
	s_wait_dscnt 0x1
	ds_bpermute_b32 v4, v8, v3
	s_wait_dscnt 0x1
	ds_bpermute_b32 v5, v8, v2
	s_wait_dscnt 0x0
	v_dual_add_f32 v3, v3, v4 :: v_dual_add_f32 v2, v2, v5
	ds_bpermute_b32 v4, v9, v3
	ds_bpermute_b32 v5, v9, v2
	s_wait_dscnt 0x0
	v_dual_add_f32 v4, v3, v4 :: v_dual_add_f32 v2, v2, v5
	ds_bpermute_b32 v5, v11, v4
	ds_bpermute_b32 v3, v11, v2
	s_and_b32 exec_lo, exec_lo, s1
	s_cbranch_execz .LBB77_43
; %bb.39:
	v_add_nc_u64_e32 v[0:1], s[8:9], v[0:1]
	s_and_not1_b32 vcc_lo, exec_lo, s10
	s_cbranch_vccnz .LBB77_41
; %bb.40:
	s_wait_dscnt 0x1
	v_add_f32_e32 v6, v4, v5
	s_delay_alu instid0(VALU_DEP_2) | instskip(NEXT) | instid1(VALU_DEP_2)
	v_lshl_add_u64 v[4:5], v[0:1], 1, s[4:5]
	v_cvt_f16_f32_e32 v6, v6
	global_store_b16 v[4:5], v6, off offset:96
.LBB77_41:
	s_and_not1_b32 vcc_lo, exec_lo, s3
	s_cbranch_vccnz .LBB77_43
; %bb.42:
	s_wait_dscnt 0x0
	v_add_f32_e32 v2, v2, v3
	v_lshl_add_u64 v[0:1], v[0:1], 1, s[6:7]
	s_delay_alu instid0(VALU_DEP_2)
	v_cvt_f16_f32_e32 v2, v2
	global_store_b16 v[0:1], v2, off offset:96
.LBB77_43:
	s_endpgm
	.section	.rodata,"a",@progbits
	.p2align	6, 0x0
	.amdhsa_kernel _ZN2at6native12_GLOBAL__N_135GammaBetaBackwardCUDAKernelTemplateIN3c104HalfEfLj64ELj8ELj64ELb0ELb1ELb0EEEvllPKT_S7_PKT0_SA_PS5_SB_
		.amdhsa_group_segment_fixed_size 0
		.amdhsa_private_segment_fixed_size 0
		.amdhsa_kernarg_size 320
		.amdhsa_user_sgpr_count 2
		.amdhsa_user_sgpr_dispatch_ptr 0
		.amdhsa_user_sgpr_queue_ptr 0
		.amdhsa_user_sgpr_kernarg_segment_ptr 1
		.amdhsa_user_sgpr_dispatch_id 0
		.amdhsa_user_sgpr_kernarg_preload_length 0
		.amdhsa_user_sgpr_kernarg_preload_offset 0
		.amdhsa_user_sgpr_private_segment_size 0
		.amdhsa_wavefront_size32 1
		.amdhsa_uses_dynamic_stack 0
		.amdhsa_enable_private_segment 0
		.amdhsa_system_sgpr_workgroup_id_x 1
		.amdhsa_system_sgpr_workgroup_id_y 1
		.amdhsa_system_sgpr_workgroup_id_z 0
		.amdhsa_system_sgpr_workgroup_info 0
		.amdhsa_system_vgpr_workitem_id 1
		.amdhsa_next_free_vgpr 49
		.amdhsa_next_free_sgpr 26
		.amdhsa_named_barrier_count 0
		.amdhsa_reserve_vcc 1
		.amdhsa_float_round_mode_32 0
		.amdhsa_float_round_mode_16_64 0
		.amdhsa_float_denorm_mode_32 3
		.amdhsa_float_denorm_mode_16_64 3
		.amdhsa_fp16_overflow 0
		.amdhsa_memory_ordered 1
		.amdhsa_forward_progress 1
		.amdhsa_inst_pref_size 20
		.amdhsa_round_robin_scheduling 0
		.amdhsa_exception_fp_ieee_invalid_op 0
		.amdhsa_exception_fp_denorm_src 0
		.amdhsa_exception_fp_ieee_div_zero 0
		.amdhsa_exception_fp_ieee_overflow 0
		.amdhsa_exception_fp_ieee_underflow 0
		.amdhsa_exception_fp_ieee_inexact 0
		.amdhsa_exception_int_div_zero 0
	.end_amdhsa_kernel
	.section	.text._ZN2at6native12_GLOBAL__N_135GammaBetaBackwardCUDAKernelTemplateIN3c104HalfEfLj64ELj8ELj64ELb0ELb1ELb0EEEvllPKT_S7_PKT0_SA_PS5_SB_,"axG",@progbits,_ZN2at6native12_GLOBAL__N_135GammaBetaBackwardCUDAKernelTemplateIN3c104HalfEfLj64ELj8ELj64ELb0ELb1ELb0EEEvllPKT_S7_PKT0_SA_PS5_SB_,comdat
.Lfunc_end77:
	.size	_ZN2at6native12_GLOBAL__N_135GammaBetaBackwardCUDAKernelTemplateIN3c104HalfEfLj64ELj8ELj64ELb0ELb1ELb0EEEvllPKT_S7_PKT0_SA_PS5_SB_, .Lfunc_end77-_ZN2at6native12_GLOBAL__N_135GammaBetaBackwardCUDAKernelTemplateIN3c104HalfEfLj64ELj8ELj64ELb0ELb1ELb0EEEvllPKT_S7_PKT0_SA_PS5_SB_
                                        ; -- End function
	.set _ZN2at6native12_GLOBAL__N_135GammaBetaBackwardCUDAKernelTemplateIN3c104HalfEfLj64ELj8ELj64ELb0ELb1ELb0EEEvllPKT_S7_PKT0_SA_PS5_SB_.num_vgpr, 49
	.set _ZN2at6native12_GLOBAL__N_135GammaBetaBackwardCUDAKernelTemplateIN3c104HalfEfLj64ELj8ELj64ELb0ELb1ELb0EEEvllPKT_S7_PKT0_SA_PS5_SB_.num_agpr, 0
	.set _ZN2at6native12_GLOBAL__N_135GammaBetaBackwardCUDAKernelTemplateIN3c104HalfEfLj64ELj8ELj64ELb0ELb1ELb0EEEvllPKT_S7_PKT0_SA_PS5_SB_.numbered_sgpr, 26
	.set _ZN2at6native12_GLOBAL__N_135GammaBetaBackwardCUDAKernelTemplateIN3c104HalfEfLj64ELj8ELj64ELb0ELb1ELb0EEEvllPKT_S7_PKT0_SA_PS5_SB_.num_named_barrier, 0
	.set _ZN2at6native12_GLOBAL__N_135GammaBetaBackwardCUDAKernelTemplateIN3c104HalfEfLj64ELj8ELj64ELb0ELb1ELb0EEEvllPKT_S7_PKT0_SA_PS5_SB_.private_seg_size, 0
	.set _ZN2at6native12_GLOBAL__N_135GammaBetaBackwardCUDAKernelTemplateIN3c104HalfEfLj64ELj8ELj64ELb0ELb1ELb0EEEvllPKT_S7_PKT0_SA_PS5_SB_.uses_vcc, 1
	.set _ZN2at6native12_GLOBAL__N_135GammaBetaBackwardCUDAKernelTemplateIN3c104HalfEfLj64ELj8ELj64ELb0ELb1ELb0EEEvllPKT_S7_PKT0_SA_PS5_SB_.uses_flat_scratch, 0
	.set _ZN2at6native12_GLOBAL__N_135GammaBetaBackwardCUDAKernelTemplateIN3c104HalfEfLj64ELj8ELj64ELb0ELb1ELb0EEEvllPKT_S7_PKT0_SA_PS5_SB_.has_dyn_sized_stack, 0
	.set _ZN2at6native12_GLOBAL__N_135GammaBetaBackwardCUDAKernelTemplateIN3c104HalfEfLj64ELj8ELj64ELb0ELb1ELb0EEEvllPKT_S7_PKT0_SA_PS5_SB_.has_recursion, 0
	.set _ZN2at6native12_GLOBAL__N_135GammaBetaBackwardCUDAKernelTemplateIN3c104HalfEfLj64ELj8ELj64ELb0ELb1ELb0EEEvllPKT_S7_PKT0_SA_PS5_SB_.has_indirect_call, 0
	.section	.AMDGPU.csdata,"",@progbits
; Kernel info:
; codeLenInByte = 2560
; TotalNumSgprs: 28
; NumVgprs: 49
; ScratchSize: 0
; MemoryBound: 0
; FloatMode: 240
; IeeeMode: 1
; LDSByteSize: 0 bytes/workgroup (compile time only)
; SGPRBlocks: 0
; VGPRBlocks: 3
; NumSGPRsForWavesPerEU: 28
; NumVGPRsForWavesPerEU: 49
; NamedBarCnt: 0
; Occupancy: 16
; WaveLimiterHint : 0
; COMPUTE_PGM_RSRC2:SCRATCH_EN: 0
; COMPUTE_PGM_RSRC2:USER_SGPR: 2
; COMPUTE_PGM_RSRC2:TRAP_HANDLER: 0
; COMPUTE_PGM_RSRC2:TGID_X_EN: 1
; COMPUTE_PGM_RSRC2:TGID_Y_EN: 1
; COMPUTE_PGM_RSRC2:TGID_Z_EN: 0
; COMPUTE_PGM_RSRC2:TIDIG_COMP_CNT: 1
	.section	.text._ZN2at6native12_GLOBAL__N_135GammaBetaBackwardCUDAKernelTemplateIN3c104HalfEfLj64ELj8ELj64ELb0ELb0ELb0EEEvllPKT_S7_PKT0_SA_PS5_SB_,"axG",@progbits,_ZN2at6native12_GLOBAL__N_135GammaBetaBackwardCUDAKernelTemplateIN3c104HalfEfLj64ELj8ELj64ELb0ELb0ELb0EEEvllPKT_S7_PKT0_SA_PS5_SB_,comdat
	.globl	_ZN2at6native12_GLOBAL__N_135GammaBetaBackwardCUDAKernelTemplateIN3c104HalfEfLj64ELj8ELj64ELb0ELb0ELb0EEEvllPKT_S7_PKT0_SA_PS5_SB_ ; -- Begin function _ZN2at6native12_GLOBAL__N_135GammaBetaBackwardCUDAKernelTemplateIN3c104HalfEfLj64ELj8ELj64ELb0ELb0ELb0EEEvllPKT_S7_PKT0_SA_PS5_SB_
	.p2align	8
	.type	_ZN2at6native12_GLOBAL__N_135GammaBetaBackwardCUDAKernelTemplateIN3c104HalfEfLj64ELj8ELj64ELb0ELb0ELb0EEEvllPKT_S7_PKT0_SA_PS5_SB_,@function
_ZN2at6native12_GLOBAL__N_135GammaBetaBackwardCUDAKernelTemplateIN3c104HalfEfLj64ELj8ELj64ELb0ELb0ELb0EEEvllPKT_S7_PKT0_SA_PS5_SB_: ; @_ZN2at6native12_GLOBAL__N_135GammaBetaBackwardCUDAKernelTemplateIN3c104HalfEfLj64ELj8ELj64ELb0ELb0ELb0EEEvllPKT_S7_PKT0_SA_PS5_SB_
; %bb.0:
	s_load_b256 s[4:11], s[0:1], 0x0
	s_bfe_u32 s3, ttmp6, 0x4000c
	s_bfe_u32 s12, ttmp6, 0x40010
	s_add_co_i32 s3, s3, 1
	s_add_co_i32 s12, s12, 1
	s_and_b32 s2, ttmp6, 15
	s_bfe_u32 s13, ttmp6, 0x40004
	s_mul_i32 s3, ttmp9, s3
	s_mul_i32 s12, ttmp7, s12
	s_getreg_b32 s14, hwreg(HW_REG_IB_STS2, 6, 4)
	s_add_co_i32 s2, s2, s3
	s_add_co_i32 s3, s13, s12
	s_cmp_eq_u32 s14, 0
	s_mov_b32 s19, 0
	s_cselect_b32 s16, ttmp9, s2
	s_cselect_b32 s2, ttmp7, s3
	s_lshl_b32 s3, s16, 6
	s_load_b128 s[12:15], s[0:1], 0x20
	s_or_b32 s18, s3, 63
	s_wait_kmcnt 0x0
	v_cmp_le_i64_e64 s20, s[6:7], s[18:19]
	s_lshl_b32 s18, s2, 6
	s_delay_alu instid0(SALU_CYCLE_1) | instskip(SKIP_2) | instid1(VALU_DEP_1)
	v_cmp_gt_i64_e64 s17, s[4:5], s[18:19]
	s_and_b32 vcc_lo, exec_lo, s20
	v_cndmask_b32_e64 v1, 0, 1, s17
	v_cmp_ne_u32_e64 s2, 1, v1
	s_cbranch_vccz .LBB78_48
; %bb.1:
	v_mov_b32_e32 v35, 0
	s_and_b32 vcc_lo, exec_lo, s2
	s_delay_alu instid0(VALU_DEP_1)
	v_mov_b32_e32 v34, v35
	s_cbranch_vccnz .LBB78_49
; %bb.2:
	v_bfe_u32 v1, v0, 10, 10
	v_mov_b32_e32 v2, 0
	v_and_b32_e32 v62, 0x3ff, v0
	s_load_b32 s20, s[0:1], 0x44
	s_mov_b32 s21, 0
	s_delay_alu instid0(VALU_DEP_2) | instskip(NEXT) | instid1(VALU_DEP_2)
	v_dual_mov_b32 v21, v2 :: v_dual_lshlrev_b32 v20, 3, v1
	v_dual_mov_b32 v19, v2 :: v_dual_add_nc_u32 v18, s3, v62
	v_mov_b32_e32 v34, 0
	s_mov_b32 s37, s21
	s_delay_alu instid0(VALU_DEP_3)
	v_add_nc_u64_e32 v[4:5], s[18:19], v[20:21]
	v_mov_b32_e32 v35, v2
	v_cmp_gt_i64_e64 s2, s[6:7], v[18:19]
	v_lshlrev_b64_e32 v[22:23], 1, v[18:19]
	s_add_nc_u64 s[22:23], s[0:1], 64
	s_mov_b64 s[24:25], 0xffffffffffffffc1
	s_mov_b64 s[26:27], 0xffffffffffffffc2
	v_mul_u64_e32 v[6:7], s[6:7], v[4:5]
	v_add_nc_u64_e32 v[8:9], 7, v[4:5]
	v_add_nc_u64_e32 v[10:11], 6, v[4:5]
	;; [unrolled: 1-line block ×6, first 2 shown]
	s_wait_kmcnt 0x0
	s_lshl_b32 s36, s20, 6
	v_mul_u64_e32 v[8:9], s[6:7], v[8:9]
	v_mul_u64_e32 v[10:11], s[6:7], v[10:11]
	;; [unrolled: 1-line block ×6, first 2 shown]
	s_mul_u64 s[44:45], s[6:7], s[36:37]
	s_mov_b64 s[28:29], 0xffffffffffffffc3
	s_mov_b64 s[30:31], 0xffffffffffffffc4
	;; [unrolled: 1-line block ×6, first 2 shown]
	s_lshl_b64 s[44:45], s[44:45], 1
	s_add_nc_u64 s[46:47], s[18:19], 63
	s_mov_b64 s[48:49], s[18:19]
	v_lshlrev_b64_e32 v[26:27], 1, v[6:7]
	v_add_nc_u64_e32 v[6:7], s[6:7], v[6:7]
	s_delay_alu instid0(VALU_DEP_2)
	v_add_nc_u64_e32 v[24:25], s[8:9], v[26:27]
	v_lshlrev_b64_e32 v[8:9], 1, v[8:9]
	v_lshlrev_b64_e32 v[10:11], 1, v[10:11]
	;; [unrolled: 1-line block ×7, first 2 shown]
	v_add_nc_u64_e32 v[26:27], s[10:11], v[26:27]
	v_add_nc_u64_e32 v[28:29], s[8:9], v[8:9]
	;; [unrolled: 1-line block ×15, first 2 shown]
	s_branch .LBB78_5
.LBB78_3:                               ;   in Loop: Header=BB78_5 Depth=1
	s_or_b32 exec_lo, exec_lo, s20
	s_wait_loadcnt 0x1
	ds_bpermute_b32 v3, v2, v60
	ds_bpermute_b32 v59, v2, v60 offset:4
	ds_bpermute_b32 v63, v2, v60 offset:8
	s_wait_loadcnt 0x0
	ds_bpermute_b32 v64, v2, v61
	ds_bpermute_b32 v65, v2, v60 offset:12
	ds_bpermute_b32 v66, v2, v61 offset:4
	;; [unrolled: 1-line block ×9, first 2 shown]
	s_wait_dscnt 0xc
	v_dual_mov_b32 v58, v5 :: v_dual_sub_f32 v3, v12, v3
	s_wait_dscnt 0xb
	v_dual_mov_b32 v12, v4 :: v_dual_sub_f32 v13, v13, v59
	s_wait_dscnt 0xa
	v_sub_f32_e32 v59, v14, v63
	v_dual_mul_f32 v3, v4, v3 :: v_dual_mov_b32 v4, v6
	s_delay_alu instid0(VALU_DEP_3) | instskip(SKIP_1) | instid1(VALU_DEP_2)
	v_dual_mul_f32 v5, v5, v13 :: v_dual_mov_b32 v14, v7
	s_wait_dscnt 0x9
	v_dual_mul_f32 v6, v6, v59 :: v_dual_mul_f32 v13, v3, v64
	s_wait_dscnt 0x7
	s_delay_alu instid0(VALU_DEP_2) | instskip(SKIP_1) | instid1(VALU_DEP_2)
	v_dual_sub_f32 v3, v15, v65 :: v_dual_mul_f32 v59, v5, v66
	s_wait_dscnt 0x6
	v_mul_f32_e32 v5, v6, v67
	v_pk_add_f32 v[12:13], v[34:35], v[12:13]
	ds_bpermute_b32 v34, v2, v61 offset:24
	s_wait_dscnt 0x6
	v_dual_sub_f32 v15, v16, v69 :: v_dual_mul_f32 v3, v7, v3
	v_pk_add_f32 v[6:7], v[58:59], v[12:13]
	s_wait_dscnt 0x4
	v_dual_mov_b32 v12, v8 :: v_dual_sub_f32 v13, v17, v72
	s_delay_alu instid0(VALU_DEP_3) | instskip(NEXT) | instid1(VALU_DEP_3)
	v_dual_mul_f32 v8, v8, v15 :: v_dual_mul_f32 v15, v3, v68
	v_pk_add_f32 v[4:5], v[4:5], v[6:7]
	ds_bpermute_b32 v3, v2, v61 offset:28
	s_wait_dscnt 0x3
	v_sub_f32_e32 v16, v18, v73
	v_dual_mul_f32 v17, v9, v13 :: v_dual_mul_f32 v13, v8, v70
	v_pk_add_f32 v[6:7], v[14:15], v[4:5]
	ds_bpermute_b32 v4, v2, v60 offset:28
	v_dual_mov_b32 v8, v9 :: v_dual_mul_f32 v5, v10, v16
	s_wait_dscnt 0x3
	v_mul_f32_e32 v9, v17, v71
	v_pk_add_f32 v[6:7], v[12:13], v[6:7]
	s_wait_dscnt 0x2
	v_dual_mov_b32 v12, v10 :: v_dual_mul_f32 v13, v5, v34
	s_delay_alu instid0(VALU_DEP_2) | instskip(NEXT) | instid1(VALU_DEP_1)
	v_pk_add_f32 v[6:7], v[8:9], v[6:7]
	v_pk_add_f32 v[60:61], v[12:13], v[6:7]
.LBB78_4:                               ;   in Loop: Header=BB78_5 Depth=1
	s_wait_dscnt 0x0
	v_sub_f32_e32 v5, v19, v4
	v_mov_b32_e32 v4, v11
	s_add_nc_u64 s[48:49], s[48:49], s[36:37]
	v_add_nc_u64_e32 v[24:25], s[44:45], v[24:25]
	v_cmp_lt_i64_e64 s20, s[48:49], s[4:5]
	v_mul_f32_e32 v5, v11, v5
	v_add_nc_u64_e32 v[26:27], s[44:45], v[26:27]
	v_add_nc_u64_e32 v[28:29], s[44:45], v[28:29]
	;; [unrolled: 1-line block ×4, first 2 shown]
	v_mul_f32_e32 v5, v5, v3
	v_add_nc_u64_e32 v[36:37], s[44:45], v[36:37]
	v_add_nc_u64_e32 v[38:39], s[44:45], v[38:39]
	v_add_nc_u64_e32 v[40:41], s[44:45], v[40:41]
	v_add_nc_u64_e32 v[42:43], s[44:45], v[42:43]
	v_add_nc_u64_e32 v[44:45], s[44:45], v[44:45]
	v_add_nc_u64_e32 v[46:47], s[44:45], v[46:47]
	v_add_nc_u64_e32 v[48:49], s[44:45], v[48:49]
	v_add_nc_u64_e32 v[50:51], s[44:45], v[50:51]
	v_add_nc_u64_e32 v[52:53], s[44:45], v[52:53]
	v_add_nc_u64_e32 v[54:55], s[44:45], v[54:55]
	v_add_nc_u64_e32 v[56:57], s[44:45], v[56:57]
	v_pk_add_f32 v[34:35], v[60:61], v[4:5]
	s_and_b32 vcc_lo, exec_lo, s20
	s_add_nc_u64 s[46:47], s[46:47], s[36:37]
	s_cbranch_vccz .LBB78_49
.LBB78_5:                               ; =>This Inner Loop Header: Depth=1
	v_cmp_ge_i64_e64 s20, s[46:47], s[4:5]
	v_add_nc_u64_e32 v[58:59], s[46:47], v[20:21]
                                        ; implicit-def: $vgpr4_vgpr5_vgpr6_vgpr7_vgpr8_vgpr9_vgpr10_vgpr11
                                        ; implicit-def: $vgpr60_vgpr61
                                        ; implicit-def: $vgpr3
                                        ; implicit-def: $vgpr12_vgpr13_vgpr14_vgpr15_vgpr16_vgpr17_vgpr18_vgpr19
                                        ; implicit-def: $vgpr4
	s_and_b32 vcc_lo, exec_lo, s20
	s_mov_b32 s20, -1
	s_cbranch_vccz .LBB78_27
; %bb.6:                                ;   in Loop: Header=BB78_5 Depth=1
	s_load_b32 s20, s[22:23], 0xc
	v_dual_mov_b32 v60, 0 :: v_dual_mov_b32 v61, 0
	s_wait_kmcnt 0x0
	s_and_b32 s20, s20, 0xffff
	s_delay_alu instid0(SALU_CYCLE_1) | instskip(SKIP_1) | instid1(VALU_DEP_1)
	v_mad_u32_u24 v3, v1, s20, v62
	s_mov_b32 s20, exec_lo
	v_and_b32_e32 v4, 31, v3
	s_delay_alu instid0(VALU_DEP_1)
	v_cmpx_gt_u32_e32 8, v4
	s_cbranch_execz .LBB78_10
; %bb.7:                                ;   in Loop: Header=BB78_5 Depth=1
	v_dual_mov_b32 v5, v2 :: v_dual_mov_b32 v60, 0
	v_mov_b32_e32 v61, 0
	s_mov_b32 s33, exec_lo
	s_delay_alu instid0(VALU_DEP_2) | instskip(NEXT) | instid1(VALU_DEP_1)
	v_add_nc_u64_e32 v[4:5], v[58:59], v[4:5]
	v_add_nc_u64_e32 v[4:5], s[24:25], v[4:5]
	s_delay_alu instid0(VALU_DEP_1)
	v_cmpx_gt_i64_e64 s[4:5], v[4:5]
	s_cbranch_execz .LBB78_9
; %bb.8:                                ;   in Loop: Header=BB78_5 Depth=1
	v_lshlrev_b64_e32 v[4:5], 2, v[4:5]
	s_delay_alu instid0(VALU_DEP_1)
	v_add_nc_u64_e32 v[6:7], s[12:13], v[4:5]
	v_add_nc_u64_e32 v[4:5], s[14:15], v[4:5]
	global_load_b32 v60, v[6:7], off
	global_load_b32 v61, v[4:5], off
.LBB78_9:                               ;   in Loop: Header=BB78_5 Depth=1
	s_wait_xcnt 0x0
	s_or_b32 exec_lo, exec_lo, s33
.LBB78_10:                              ;   in Loop: Header=BB78_5 Depth=1
	s_delay_alu instid0(SALU_CYCLE_1)
	s_or_b32 exec_lo, exec_lo, s20
	v_add_nc_u64_e32 v[10:11], s[24:25], v[58:59]
	v_dual_mov_b32 v7, v2 :: v_dual_mov_b32 v8, v2
	v_dual_mov_b32 v9, v2 :: v_dual_mov_b32 v3, v2
	;; [unrolled: 1-line block ×3, first 2 shown]
	v_mov_b32_e32 v6, v2
	v_cmp_gt_i64_e32 vcc_lo, s[4:5], v[10:11]
	s_delay_alu instid0(VALU_DEP_4)
	v_mov_b64_e32 v[18:19], v[8:9]
	v_mov_b64_e32 v[12:13], v[2:3]
	;; [unrolled: 1-line block ×8, first 2 shown]
	s_and_b32 s33, s2, vcc_lo
	s_delay_alu instid0(SALU_CYCLE_1)
	s_and_saveexec_b32 s20, s33
	s_cbranch_execz .LBB78_12
; %bb.11:                               ;   in Loop: Header=BB78_5 Depth=1
	v_add_nc_u64_e32 v[4:5], v[24:25], v[22:23]
	v_add_nc_u64_e32 v[6:7], v[26:27], v[22:23]
	v_dual_mov_b32 v9, v2 :: v_dual_mov_b32 v10, v2
	v_dual_mov_b32 v11, v2 :: v_dual_mov_b32 v13, v2
	;; [unrolled: 1-line block ×3, first 2 shown]
	global_load_u16 v3, v[4:5], off
	global_load_u16 v12, v[6:7], off
	s_wait_xcnt 0x0
	v_dual_mov_b32 v5, v2 :: v_dual_mov_b32 v6, v2
	v_dual_mov_b32 v7, v2 :: v_dual_mov_b32 v8, v2
	;; [unrolled: 1-line block ×4, first 2 shown]
	s_wait_loadcnt 0x1
	v_cvt_f32_f16_e32 v4, v3
	s_wait_loadcnt 0x0
	v_cvt_f32_f16_e32 v12, v12
.LBB78_12:                              ;   in Loop: Header=BB78_5 Depth=1
	s_or_b32 exec_lo, exec_lo, s20
	v_add_nc_u64_e32 v[64:65], s[26:27], v[58:59]
	s_delay_alu instid0(VALU_DEP_1) | instskip(SKIP_1) | instid1(SALU_CYCLE_1)
	v_cmp_gt_i64_e32 vcc_lo, s[4:5], v[64:65]
	s_and_b32 s33, s2, vcc_lo
	s_and_saveexec_b32 s20, s33
	s_cbranch_execz .LBB78_14
; %bb.13:                               ;   in Loop: Header=BB78_5 Depth=1
	v_add_nc_u64_e32 v[64:65], v[54:55], v[22:23]
	v_add_nc_u64_e32 v[66:67], v[56:57], v[22:23]
	global_load_u16 v3, v[64:65], off
	global_load_u16 v13, v[66:67], off
	s_wait_loadcnt 0x1
	v_cvt_f32_f16_e32 v5, v3
	s_wait_loadcnt 0x0
	v_cvt_f32_f16_e32 v13, v13
.LBB78_14:                              ;   in Loop: Header=BB78_5 Depth=1
	s_or_b32 exec_lo, exec_lo, s20
	v_add_nc_u64_e32 v[64:65], s[28:29], v[58:59]
	s_delay_alu instid0(VALU_DEP_1) | instskip(SKIP_1) | instid1(SALU_CYCLE_1)
	v_cmp_gt_i64_e32 vcc_lo, s[4:5], v[64:65]
	s_and_b32 s33, s2, vcc_lo
	s_and_saveexec_b32 s20, s33
	s_cbranch_execz .LBB78_16
; %bb.15:                               ;   in Loop: Header=BB78_5 Depth=1
	v_add_nc_u64_e32 v[64:65], v[50:51], v[22:23]
	v_add_nc_u64_e32 v[66:67], v[52:53], v[22:23]
	global_load_u16 v3, v[64:65], off
	global_load_u16 v14, v[66:67], off
	s_wait_loadcnt 0x1
	v_cvt_f32_f16_e32 v6, v3
	s_wait_loadcnt 0x0
	v_cvt_f32_f16_e32 v14, v14
.LBB78_16:                              ;   in Loop: Header=BB78_5 Depth=1
	s_or_b32 exec_lo, exec_lo, s20
	v_add_nc_u64_e32 v[64:65], s[30:31], v[58:59]
	s_delay_alu instid0(VALU_DEP_1) | instskip(SKIP_1) | instid1(SALU_CYCLE_1)
	v_cmp_gt_i64_e32 vcc_lo, s[4:5], v[64:65]
	s_and_b32 s33, s2, vcc_lo
	s_and_saveexec_b32 s20, s33
	s_cbranch_execz .LBB78_18
; %bb.17:                               ;   in Loop: Header=BB78_5 Depth=1
	v_add_nc_u64_e32 v[64:65], v[46:47], v[22:23]
	v_add_nc_u64_e32 v[66:67], v[48:49], v[22:23]
	global_load_u16 v3, v[64:65], off
	global_load_u16 v15, v[66:67], off
	s_wait_loadcnt 0x1
	v_cvt_f32_f16_e32 v7, v3
	s_wait_loadcnt 0x0
	v_cvt_f32_f16_e32 v15, v15
.LBB78_18:                              ;   in Loop: Header=BB78_5 Depth=1
	s_or_b32 exec_lo, exec_lo, s20
	v_add_nc_u64_e32 v[64:65], s[34:35], v[58:59]
	s_delay_alu instid0(VALU_DEP_1) | instskip(SKIP_1) | instid1(SALU_CYCLE_1)
	v_cmp_gt_i64_e32 vcc_lo, s[4:5], v[64:65]
	s_and_b32 s33, s2, vcc_lo
	s_and_saveexec_b32 s20, s33
	s_cbranch_execz .LBB78_20
; %bb.19:                               ;   in Loop: Header=BB78_5 Depth=1
	v_add_nc_u64_e32 v[64:65], v[42:43], v[22:23]
	v_add_nc_u64_e32 v[66:67], v[44:45], v[22:23]
	global_load_u16 v3, v[64:65], off
	global_load_u16 v16, v[66:67], off
	s_wait_loadcnt 0x1
	v_cvt_f32_f16_e32 v8, v3
	s_wait_loadcnt 0x0
	v_cvt_f32_f16_e32 v16, v16
.LBB78_20:                              ;   in Loop: Header=BB78_5 Depth=1
	s_or_b32 exec_lo, exec_lo, s20
	v_add_nc_u64_e32 v[64:65], s[38:39], v[58:59]
	s_delay_alu instid0(VALU_DEP_1) | instskip(SKIP_1) | instid1(SALU_CYCLE_1)
	v_cmp_gt_i64_e32 vcc_lo, s[4:5], v[64:65]
	s_and_b32 s33, s2, vcc_lo
	s_and_saveexec_b32 s20, s33
	s_cbranch_execz .LBB78_22
; %bb.21:                               ;   in Loop: Header=BB78_5 Depth=1
	v_add_nc_u64_e32 v[64:65], v[38:39], v[22:23]
	v_add_nc_u64_e32 v[66:67], v[40:41], v[22:23]
	global_load_u16 v3, v[64:65], off
	global_load_u16 v17, v[66:67], off
	s_wait_loadcnt 0x1
	v_cvt_f32_f16_e32 v9, v3
	s_wait_loadcnt 0x0
	v_cvt_f32_f16_e32 v17, v17
.LBB78_22:                              ;   in Loop: Header=BB78_5 Depth=1
	s_or_b32 exec_lo, exec_lo, s20
	v_add_nc_u64_e32 v[64:65], s[40:41], v[58:59]
	s_delay_alu instid0(VALU_DEP_1) | instskip(SKIP_1) | instid1(SALU_CYCLE_1)
	v_cmp_gt_i64_e32 vcc_lo, s[4:5], v[64:65]
	s_and_b32 s33, s2, vcc_lo
	s_and_saveexec_b32 s20, s33
	s_cbranch_execz .LBB78_24
; %bb.23:                               ;   in Loop: Header=BB78_5 Depth=1
	v_add_nc_u64_e32 v[64:65], v[32:33], v[22:23]
	v_add_nc_u64_e32 v[66:67], v[36:37], v[22:23]
	global_load_u16 v3, v[64:65], off
	global_load_u16 v18, v[66:67], off
	s_wait_loadcnt 0x1
	v_cvt_f32_f16_e32 v10, v3
	s_wait_loadcnt 0x0
	v_cvt_f32_f16_e32 v18, v18
.LBB78_24:                              ;   in Loop: Header=BB78_5 Depth=1
	s_or_b32 exec_lo, exec_lo, s20
	v_add_nc_u64_e32 v[64:65], s[42:43], v[58:59]
	s_delay_alu instid0(VALU_DEP_1) | instskip(SKIP_1) | instid1(SALU_CYCLE_1)
	v_cmp_gt_i64_e32 vcc_lo, s[4:5], v[64:65]
	s_and_b32 s33, s2, vcc_lo
	s_and_saveexec_b32 s20, s33
	s_cbranch_execz .LBB78_26
; %bb.25:                               ;   in Loop: Header=BB78_5 Depth=1
	v_add_nc_u64_e32 v[64:65], v[28:29], v[22:23]
	v_add_nc_u64_e32 v[66:67], v[30:31], v[22:23]
	global_load_u16 v3, v[64:65], off
	global_load_u16 v19, v[66:67], off
	s_wait_loadcnt 0x1
	v_cvt_f32_f16_e32 v11, v3
	s_wait_loadcnt 0x0
	v_cvt_f32_f16_e32 v19, v19
.LBB78_26:                              ;   in Loop: Header=BB78_5 Depth=1
	s_or_b32 exec_lo, exec_lo, s20
	s_wait_loadcnt 0x1
	ds_bpermute_b32 v3, v2, v60
	ds_bpermute_b32 v63, v2, v60 offset:4
	ds_bpermute_b32 v65, v2, v60 offset:8
	s_wait_loadcnt 0x0
	ds_bpermute_b32 v66, v2, v61
	ds_bpermute_b32 v67, v2, v60 offset:12
	ds_bpermute_b32 v68, v2, v61 offset:4
	;; [unrolled: 1-line block ×8, first 2 shown]
	s_mov_b32 s20, 0
	s_wait_dscnt 0xb
	v_dual_mov_b32 v64, v5 :: v_dual_sub_f32 v3, v12, v3
	s_wait_dscnt 0xa
	v_dual_mov_b32 v12, v4 :: v_dual_sub_f32 v13, v13, v63
	ds_bpermute_b32 v63, v2, v60 offset:24
	v_dual_mul_f32 v3, v4, v3 :: v_dual_mov_b32 v4, v6
	s_wait_dscnt 0xa
	v_sub_f32_e32 v65, v14, v65
	v_dual_mul_f32 v5, v5, v13 :: v_dual_mov_b32 v14, v7
	s_wait_dscnt 0x9
	v_mul_f32_e32 v13, v3, v66
	s_wait_dscnt 0x8
	v_dual_sub_f32 v3, v15, v67 :: v_dual_mul_f32 v6, v6, v65
	s_wait_dscnt 0x5
	v_dual_mul_f32 v65, v5, v68 :: v_dual_sub_f32 v15, v16, v71
	v_pk_add_f32 v[12:13], v[34:35], v[12:13]
	ds_bpermute_b32 v66, v2, v61 offset:24
	v_dual_mul_f32 v3, v7, v3 :: v_dual_mul_f32 v5, v6, v69
	v_pk_add_f32 v[6:7], v[64:65], v[12:13]
	s_wait_dscnt 0x4
	v_dual_mov_b32 v12, v8 :: v_dual_sub_f32 v13, v17, v74
	s_delay_alu instid0(VALU_DEP_3) | instskip(NEXT) | instid1(VALU_DEP_3)
	v_dual_mul_f32 v8, v8, v15 :: v_dual_mul_f32 v15, v3, v70
	v_pk_add_f32 v[4:5], v[4:5], v[6:7]
	ds_bpermute_b32 v3, v2, v61 offset:28
	s_wait_dscnt 0x2
	v_dual_sub_f32 v16, v18, v63 :: v_dual_mul_f32 v17, v9, v13
	v_dual_mul_f32 v13, v8, v72 :: v_dual_mov_b32 v8, v9
	v_pk_add_f32 v[6:7], v[14:15], v[4:5]
	ds_bpermute_b32 v4, v2, v60 offset:28
	v_dual_mul_f32 v5, v10, v16 :: v_dual_mul_f32 v9, v17, v73
	v_pk_add_f32 v[6:7], v[12:13], v[6:7]
	s_wait_dscnt 0x2
	s_delay_alu instid0(VALU_DEP_2) | instskip(NEXT) | instid1(VALU_DEP_2)
	v_dual_mov_b32 v12, v10 :: v_dual_mul_f32 v13, v5, v66
	v_pk_add_f32 v[6:7], v[8:9], v[6:7]
	s_delay_alu instid0(VALU_DEP_1)
	v_pk_add_f32 v[60:61], v[12:13], v[6:7]
.LBB78_27:                              ;   in Loop: Header=BB78_5 Depth=1
	s_and_b32 vcc_lo, exec_lo, s20
	s_cbranch_vccz .LBB78_4
; %bb.28:                               ;   in Loop: Header=BB78_5 Depth=1
	s_load_b32 s20, s[22:23], 0x0
	v_dual_mov_b32 v60, 0 :: v_dual_mov_b32 v61, 0
	s_wait_kmcnt 0x0
	s_cmp_lt_u32 s16, s20
	s_cselect_b32 s20, 12, 18
	s_delay_alu instid0(SALU_CYCLE_1)
	s_add_nc_u64 s[50:51], s[22:23], s[20:21]
	s_load_u16 s20, s[50:51], 0x0
	s_wait_dscnt 0x1
	s_wait_kmcnt 0x0
	v_mad_u32_u24 v3, v1, s20, v62
	s_mov_b32 s20, exec_lo
	s_wait_dscnt 0x0
	s_delay_alu instid0(VALU_DEP_1) | instskip(NEXT) | instid1(VALU_DEP_1)
	v_and_b32_e32 v4, 31, v3
	v_cmpx_gt_u32_e32 8, v4
	s_cbranch_execz .LBB78_32
; %bb.29:                               ;   in Loop: Header=BB78_5 Depth=1
	v_dual_mov_b32 v5, v2 :: v_dual_mov_b32 v60, 0
	v_mov_b32_e32 v61, 0
	s_mov_b32 s33, exec_lo
	s_delay_alu instid0(VALU_DEP_2) | instskip(NEXT) | instid1(VALU_DEP_1)
	v_add_nc_u64_e32 v[4:5], v[58:59], v[4:5]
	v_add_nc_u64_e32 v[4:5], s[24:25], v[4:5]
	s_delay_alu instid0(VALU_DEP_1)
	v_cmpx_gt_i64_e64 s[4:5], v[4:5]
	s_cbranch_execz .LBB78_31
; %bb.30:                               ;   in Loop: Header=BB78_5 Depth=1
	v_lshlrev_b64_e32 v[4:5], 2, v[4:5]
	s_delay_alu instid0(VALU_DEP_1)
	v_add_nc_u64_e32 v[6:7], s[12:13], v[4:5]
	v_add_nc_u64_e32 v[4:5], s[14:15], v[4:5]
	global_load_b32 v60, v[6:7], off
	global_load_b32 v61, v[4:5], off
.LBB78_31:                              ;   in Loop: Header=BB78_5 Depth=1
	s_wait_xcnt 0x0
	s_or_b32 exec_lo, exec_lo, s33
.LBB78_32:                              ;   in Loop: Header=BB78_5 Depth=1
	s_delay_alu instid0(SALU_CYCLE_1) | instskip(SKIP_4) | instid1(VALU_DEP_3)
	s_or_b32 exec_lo, exec_lo, s20
	v_dual_mov_b32 v7, v2 :: v_dual_mov_b32 v8, v2
	v_dual_mov_b32 v9, v2 :: v_dual_mov_b32 v3, v2
	;; [unrolled: 1-line block ×3, first 2 shown]
	v_mov_b32_e32 v6, v2
	v_mov_b64_e32 v[18:19], v[8:9]
	s_delay_alu instid0(VALU_DEP_4) | instskip(NEXT) | instid1(VALU_DEP_4)
	v_mov_b64_e32 v[12:13], v[2:3]
	v_mov_b64_e32 v[14:15], v[4:5]
	s_delay_alu instid0(VALU_DEP_4)
	v_mov_b64_e32 v[16:17], v[6:7]
	v_mov_b64_e32 v[10:11], v[8:9]
	v_mov_b64_e32 v[8:9], v[6:7]
	v_mov_b64_e32 v[6:7], v[4:5]
	v_mov_b64_e32 v[4:5], v[2:3]
	s_and_saveexec_b32 s20, s2
	s_cbranch_execnz .LBB78_40
; %bb.33:                               ;   in Loop: Header=BB78_5 Depth=1
	s_or_b32 exec_lo, exec_lo, s20
	s_and_saveexec_b32 s20, s2
	s_cbranch_execnz .LBB78_41
.LBB78_34:                              ;   in Loop: Header=BB78_5 Depth=1
	s_or_b32 exec_lo, exec_lo, s20
	s_and_saveexec_b32 s20, s2
	s_cbranch_execnz .LBB78_42
.LBB78_35:                              ;   in Loop: Header=BB78_5 Depth=1
	s_or_b32 exec_lo, exec_lo, s20
	s_and_saveexec_b32 s20, s2
	s_cbranch_execnz .LBB78_43
.LBB78_36:                              ;   in Loop: Header=BB78_5 Depth=1
	s_or_b32 exec_lo, exec_lo, s20
	s_and_saveexec_b32 s20, s2
	s_cbranch_execnz .LBB78_44
.LBB78_37:                              ;   in Loop: Header=BB78_5 Depth=1
	s_or_b32 exec_lo, exec_lo, s20
	s_and_saveexec_b32 s20, s2
	s_cbranch_execnz .LBB78_45
.LBB78_38:                              ;   in Loop: Header=BB78_5 Depth=1
	s_or_b32 exec_lo, exec_lo, s20
	s_and_saveexec_b32 s20, s2
	s_cbranch_execnz .LBB78_46
.LBB78_39:                              ;   in Loop: Header=BB78_5 Depth=1
	s_or_b32 exec_lo, exec_lo, s20
	s_and_saveexec_b32 s20, s2
	s_cbranch_execz .LBB78_3
	s_branch .LBB78_47
.LBB78_40:                              ;   in Loop: Header=BB78_5 Depth=1
	v_add_nc_u64_e32 v[4:5], v[24:25], v[22:23]
	v_add_nc_u64_e32 v[6:7], v[26:27], v[22:23]
	v_dual_mov_b32 v9, v2 :: v_dual_mov_b32 v10, v2
	v_dual_mov_b32 v11, v2 :: v_dual_mov_b32 v13, v2
	;; [unrolled: 1-line block ×3, first 2 shown]
	global_load_u16 v3, v[4:5], off
	global_load_u16 v12, v[6:7], off
	s_wait_xcnt 0x0
	v_dual_mov_b32 v5, v2 :: v_dual_mov_b32 v6, v2
	v_dual_mov_b32 v7, v2 :: v_dual_mov_b32 v8, v2
	v_dual_mov_b32 v16, v2 :: v_dual_mov_b32 v17, v2
	v_dual_mov_b32 v18, v2 :: v_dual_mov_b32 v19, v2
	s_wait_loadcnt 0x1
	v_cvt_f32_f16_e32 v4, v3
	s_wait_loadcnt 0x0
	v_cvt_f32_f16_e32 v12, v12
	s_or_b32 exec_lo, exec_lo, s20
	s_and_saveexec_b32 s20, s2
	s_cbranch_execz .LBB78_34
.LBB78_41:                              ;   in Loop: Header=BB78_5 Depth=1
	v_add_nc_u64_e32 v[58:59], v[54:55], v[22:23]
	v_add_nc_u64_e32 v[64:65], v[56:57], v[22:23]
	global_load_u16 v3, v[58:59], off
	global_load_u16 v13, v[64:65], off
	s_wait_loadcnt 0x1
	v_cvt_f32_f16_e32 v5, v3
	s_wait_loadcnt 0x0
	v_cvt_f32_f16_e32 v13, v13
	s_or_b32 exec_lo, exec_lo, s20
	s_and_saveexec_b32 s20, s2
	s_cbranch_execz .LBB78_35
.LBB78_42:                              ;   in Loop: Header=BB78_5 Depth=1
	v_add_nc_u64_e32 v[58:59], v[50:51], v[22:23]
	v_add_nc_u64_e32 v[64:65], v[52:53], v[22:23]
	global_load_u16 v3, v[58:59], off
	global_load_u16 v14, v[64:65], off
	s_wait_loadcnt 0x1
	v_cvt_f32_f16_e32 v6, v3
	s_wait_loadcnt 0x0
	v_cvt_f32_f16_e32 v14, v14
	s_or_b32 exec_lo, exec_lo, s20
	s_and_saveexec_b32 s20, s2
	s_cbranch_execz .LBB78_36
.LBB78_43:                              ;   in Loop: Header=BB78_5 Depth=1
	v_add_nc_u64_e32 v[58:59], v[46:47], v[22:23]
	v_add_nc_u64_e32 v[64:65], v[48:49], v[22:23]
	global_load_u16 v3, v[58:59], off
	global_load_u16 v15, v[64:65], off
	s_wait_loadcnt 0x1
	v_cvt_f32_f16_e32 v7, v3
	s_wait_loadcnt 0x0
	v_cvt_f32_f16_e32 v15, v15
	s_or_b32 exec_lo, exec_lo, s20
	s_and_saveexec_b32 s20, s2
	s_cbranch_execz .LBB78_37
.LBB78_44:                              ;   in Loop: Header=BB78_5 Depth=1
	v_add_nc_u64_e32 v[58:59], v[42:43], v[22:23]
	v_add_nc_u64_e32 v[64:65], v[44:45], v[22:23]
	global_load_u16 v3, v[58:59], off
	global_load_u16 v16, v[64:65], off
	s_wait_loadcnt 0x1
	v_cvt_f32_f16_e32 v8, v3
	s_wait_loadcnt 0x0
	v_cvt_f32_f16_e32 v16, v16
	s_or_b32 exec_lo, exec_lo, s20
	s_and_saveexec_b32 s20, s2
	s_cbranch_execz .LBB78_38
.LBB78_45:                              ;   in Loop: Header=BB78_5 Depth=1
	v_add_nc_u64_e32 v[58:59], v[38:39], v[22:23]
	v_add_nc_u64_e32 v[64:65], v[40:41], v[22:23]
	global_load_u16 v3, v[58:59], off
	global_load_u16 v17, v[64:65], off
	s_wait_loadcnt 0x1
	v_cvt_f32_f16_e32 v9, v3
	s_wait_loadcnt 0x0
	v_cvt_f32_f16_e32 v17, v17
	s_or_b32 exec_lo, exec_lo, s20
	s_and_saveexec_b32 s20, s2
	s_cbranch_execz .LBB78_39
.LBB78_46:                              ;   in Loop: Header=BB78_5 Depth=1
	v_add_nc_u64_e32 v[58:59], v[32:33], v[22:23]
	v_add_nc_u64_e32 v[64:65], v[36:37], v[22:23]
	global_load_u16 v3, v[58:59], off
	global_load_u16 v18, v[64:65], off
	s_wait_loadcnt 0x1
	v_cvt_f32_f16_e32 v10, v3
	s_wait_loadcnt 0x0
	v_cvt_f32_f16_e32 v18, v18
	s_or_b32 exec_lo, exec_lo, s20
	s_and_saveexec_b32 s20, s2
	s_cbranch_execz .LBB78_3
.LBB78_47:                              ;   in Loop: Header=BB78_5 Depth=1
	v_add_nc_u64_e32 v[58:59], v[28:29], v[22:23]
	v_add_nc_u64_e32 v[64:65], v[30:31], v[22:23]
	global_load_u16 v3, v[58:59], off
	global_load_u16 v19, v[64:65], off
	s_wait_loadcnt 0x1
	v_cvt_f32_f16_e32 v11, v3
	s_wait_loadcnt 0x0
	v_cvt_f32_f16_e32 v19, v19
	s_branch .LBB78_3
.LBB78_48:
                                        ; implicit-def: $vgpr35
	s_branch .LBB78_50
.LBB78_49:
	s_cbranch_execnz .LBB78_81
.LBB78_50:
	v_mov_b32_e32 v35, 0
	s_and_not1_b32 vcc_lo, exec_lo, s17
	s_delay_alu instid0(VALU_DEP_1)
	v_mov_b32_e32 v34, v35
	s_cbranch_vccnz .LBB78_81
; %bb.51:
	v_bfe_u32 v1, v0, 10, 10
	v_mov_b32_e32 v2, 0
	v_and_b32_e32 v90, 0x3ff, v0
	s_load_b32 s2, s[0:1], 0x44
	s_mov_b64 s[22:23], 0xffffffffffffffc3
	s_delay_alu instid0(VALU_DEP_2) | instskip(SKIP_3) | instid1(VALU_DEP_2)
	v_dual_mov_b32 v5, v2 :: v_dual_lshlrev_b32 v4, 4, v1
	v_dual_mov_b32 v21, v2 :: v_dual_lshlrev_b32 v20, 3, v1
	s_mov_b64 s[24:25], 0xffffffffffffffc4
	s_mov_b64 s[26:27], 0xffffffffffffffc5
	v_lshl_add_u64 v[4:5], s[18:19], 1, v[4:5]
	s_mov_b64 s[28:29], 0xffffffffffffffc6
	v_add_nc_u64_e32 v[8:9], s[18:19], v[20:21]
	s_mov_b64 s[30:31], 0xffffffffffffffc7
	s_mov_b64 s[34:35], 0xffffffffffffffc8
	v_add_nc_u64_e32 v[6:7], 2, v[4:5]
	v_add_nc_u64_e32 v[10:11], 4, v[4:5]
	;; [unrolled: 1-line block ×4, first 2 shown]
	v_mul_u64_e32 v[34:35], s[6:7], v[8:9]
	v_add_nc_u64_e32 v[44:45], 4, v[8:9]
	v_add_nc_u64_e32 v[16:17], 10, v[4:5]
	v_mad_nc_u64_u32 v[22:23], s6, v6, s[8:9]
	v_mul_lo_u32 v3, s6, v7
	v_mul_lo_u32 v42, s7, v6
	v_mad_nc_u64_u32 v[32:33], s6, v6, s[10:11]
	v_add_nc_u64_e32 v[6:7], 7, v[8:9]
	v_mad_nc_u64_u32 v[24:25], s6, v10, s[8:9]
	v_mul_lo_u32 v43, s6, v11
	v_mul_lo_u32 v46, s7, v10
	v_mad_nc_u64_u32 v[36:37], s6, v10, s[10:11]
	v_mad_nc_u64_u32 v[26:27], s6, v12, s[8:9]
	v_mul_lo_u32 v52, s6, v13
	v_mul_lo_u32 v53, s7, v12
	v_mad_nc_u64_u32 v[40:41], s6, v12, s[10:11]
	v_add_nc_u64_e32 v[10:11], 6, v[8:9]
	v_mul_u64_e32 v[6:7], s[6:7], v[6:7]
	v_add_nc_u64_e32 v[12:13], 5, v[8:9]
	v_mad_nc_u64_u32 v[28:29], s6, v14, s[8:9]
	v_mul_lo_u32 v54, s6, v15
	v_mul_lo_u32 v55, s7, v14
	v_add3_u32 v23, v42, v23, v3
	v_add3_u32 v25, v46, v25, v43
	;; [unrolled: 1-line block ×3, first 2 shown]
	v_mul_u64_e32 v[10:11], s[6:7], v[10:11]
	v_add3_u32 v37, v46, v37, v43
	v_mad_nc_u64_u32 v[42:43], s6, v14, s[10:11]
	v_add_nc_u64_e32 v[14:15], 3, v[8:9]
	v_add_nc_u64_e32 v[8:9], 2, v[8:9]
	v_mul_u64_e32 v[12:13], s[6:7], v[12:13]
	v_mul_u64_e32 v[62:63], s[6:7], v[44:45]
	v_add_nc_u64_e32 v[18:19], 12, v[4:5]
	v_add_nc_u64_e32 v[4:5], 14, v[4:5]
	v_mad_nc_u64_u32 v[30:31], s6, v16, s[8:9]
	v_mul_u64_e32 v[14:15], s[6:7], v[14:15]
	v_mul_u64_e32 v[8:9], s[6:7], v[8:9]
	v_mul_lo_u32 v17, s6, v17
	v_mul_lo_u32 v56, s7, v16
	v_mad_nc_u64_u32 v[44:45], s6, v16, s[10:11]
	v_mad_nc_u64_u32 v[46:47], s6, v4, s[8:9]
	v_mul_lo_u32 v3, s6, v5
	v_mul_lo_u32 v16, s7, v4
	v_mad_nc_u64_u32 v[50:51], s6, v4, s[10:11]
	v_dual_mov_b32 v5, v2 :: v_dual_add_nc_u32 v4, s3, v90
	v_add3_u32 v27, v53, v27, v52
	v_add3_u32 v41, v53, v41, v52
	v_mad_nc_u64_u32 v[38:39], s6, v18, s[8:9]
	v_lshlrev_b64_e32 v[6:7], 1, v[6:7]
	v_add3_u32 v31, v56, v31, v17
	v_add3_u32 v45, v56, v45, v17
	v_mul_lo_u32 v19, s6, v19
	v_add3_u32 v47, v16, v47, v3
	v_add3_u32 v51, v16, v51, v3
	v_lshlrev_b64_e32 v[16:17], 1, v[34:35]
	v_add_nc_u64_e32 v[58:59], s[8:9], v[6:7]
	v_add_nc_u64_e32 v[60:61], s[10:11], v[6:7]
	v_mul_lo_u32 v57, s7, v18
	v_mad_nc_u64_u32 v[48:49], s6, v18, s[10:11]
	s_mov_b32 s3, 0
	v_add3_u32 v29, v55, v29, v54
	v_lshlrev_b64_e32 v[6:7], 1, v[12:13]
	v_add_nc_u64_e32 v[12:13], s[6:7], v[34:35]
	v_mov_b32_e32 v34, 0
	v_lshlrev_b64_e32 v[52:53], 1, v[4:5]
	v_lshlrev_b64_e32 v[4:5], 1, v[10:11]
	;; [unrolled: 1-line block ×4, first 2 shown]
	v_add_nc_u64_e32 v[66:67], s[8:9], v[6:7]
	v_add_nc_u64_e32 v[68:69], s[10:11], v[6:7]
	v_lshlrev_b64_e32 v[6:7], 1, v[12:13]
	v_add3_u32 v43, v55, v43, v54
	v_add_nc_u64_e32 v[62:63], s[8:9], v[4:5]
	v_add_nc_u64_e32 v[64:65], s[10:11], v[4:5]
	v_lshlrev_b64_e32 v[4:5], 1, v[14:15]
	v_add3_u32 v39, v57, v39, v19
	v_add3_u32 v49, v57, v49, v19
	v_add_nc_u64_e32 v[54:55], s[8:9], v[16:17]
	v_add_nc_u64_e32 v[56:57], s[10:11], v[16:17]
	;; [unrolled: 1-line block ×10, first 2 shown]
	s_wait_kmcnt 0x0
	s_lshl_b32 s20, s2, 6
	s_mov_b32 s21, s3
	v_mov_b32_e32 v35, v2
	s_mul_u64 s[38:39], s[6:7], s[20:21]
	s_mov_b64 s[8:9], 0xffffffffffffffc1
	s_mov_b64 s[10:11], 0xffffffffffffffc2
	s_add_nc_u64 s[36:37], s[0:1], 64
	s_lshl_b64 s[38:39], s[38:39], 1
	s_add_nc_u64 s[40:41], s[18:19], 63
	s_branch .LBB78_55
.LBB78_52:                              ;   in Loop: Header=BB78_55 Depth=1
	s_wait_xcnt 0x0
	s_or_b32 exec_lo, exec_lo, s17
.LBB78_53:                              ;   in Loop: Header=BB78_55 Depth=1
	s_delay_alu instid0(SALU_CYCLE_1)
	s_or_b32 exec_lo, exec_lo, s2
	v_add_nc_u64_e32 v[4:5], v[54:55], v[52:53]
	v_add_nc_u64_e32 v[8:9], v[56:57], v[52:53]
	;; [unrolled: 1-line block ×5, first 2 shown]
	s_wait_loadcnt 0x1
	ds_bpermute_b32 v98, v2, v3 offset:12
	s_wait_loadcnt 0x0
	ds_bpermute_b32 v96, v2, v6 offset:8
	global_load_u16 v7, v[4:5], off
	global_load_u16 v16, v[8:9], off
	;; [unrolled: 1-line block ×3, first 2 shown]
	s_wait_xcnt 0x2
	v_add_nc_u64_e32 v[4:5], v[36:37], v[52:53]
	s_wait_xcnt 0x1
	v_add_nc_u64_e32 v[8:9], v[26:27], v[52:53]
	global_load_u16 v18, v[12:13], off
	global_load_u16 v19, v[14:15], off
	s_wait_xcnt 0x2
	v_add_nc_u64_e32 v[10:11], v[40:41], v[52:53]
	s_wait_xcnt 0x1
	v_add_nc_u64_e32 v[12:13], v[28:29], v[52:53]
	;; [unrolled: 2-line block ×3, first 2 shown]
	global_load_u16 v34, v[4:5], off
	global_load_u16 v35, v[8:9], off
	;; [unrolled: 1-line block ×3, first 2 shown]
	s_wait_xcnt 0x2
	v_add_nc_u64_e32 v[4:5], v[30:31], v[52:53]
	s_wait_xcnt 0x1
	v_add_nc_u64_e32 v[8:9], v[44:45], v[52:53]
	global_load_u16 v89, v[12:13], off
	global_load_u16 v91, v[14:15], off
	s_wait_xcnt 0x2
	v_add_nc_u64_e32 v[10:11], v[46:47], v[52:53]
	s_wait_xcnt 0x1
	ds_bpermute_b32 v12, v2, v3 offset:4
	s_wait_xcnt 0x0
	ds_bpermute_b32 v14, v2, v3 offset:8
	ds_bpermute_b32 v100, v2, v3 offset:16
	global_load_u16 v13, v[4:5], off
	s_wait_xcnt 0x0
	v_add_nc_u64_e32 v[4:5], v[48:49], v[52:53]
	global_load_u16 v15, v[8:9], off
	s_wait_xcnt 0x0
	v_add_nc_u64_e32 v[8:9], v[38:39], v[52:53]
	ds_bpermute_b32 v97, v2, v6 offset:12
	ds_bpermute_b32 v99, v2, v6 offset:16
	;; [unrolled: 1-line block ×4, first 2 shown]
	global_load_u16 v92, v[4:5], off
	s_wait_xcnt 0x0
	v_add_nc_u64_e32 v[4:5], v[50:51], v[52:53]
	global_load_u16 v93, v[8:9], off
	global_load_u16 v94, v[4:5], off
	;; [unrolled: 1-line block ×3, first 2 shown]
	s_wait_xcnt 0x2
	ds_bpermute_b32 v9, v2, v3
	s_wait_xcnt 0x1
	ds_bpermute_b32 v5, v2, v6
	s_wait_xcnt 0x0
	ds_bpermute_b32 v11, v2, v6 offset:4
	ds_bpermute_b32 v103, v2, v6 offset:24
	;; [unrolled: 1-line block ×5, first 2 shown]
	s_wait_loadcnt 0xf
	v_cvt_f32_f16_e32 v4, v7
	s_wait_loadcnt 0xe
	v_cvt_f32_f16_e32 v10, v16
	;; [unrolled: 2-line block ×5, first 2 shown]
	s_wait_dscnt 0x6
	s_delay_alu instid0(VALU_DEP_2) | instskip(SKIP_2) | instid1(VALU_DEP_2)
	v_dual_sub_f32 v9, v10, v9 :: v_dual_sub_f32 v7, v7, v12
	s_wait_loadcnt 0xa
	v_cvt_f32_f16_e32 v16, v34
	v_mul_f32_e32 v9, v9, v4
	s_wait_loadcnt 0x8
	v_cvt_f32_f16_e32 v17, v88
	v_cvt_f32_f16_e32 v10, v35
	s_wait_loadcnt 0x6
	v_cvt_f32_f16_e32 v18, v91
	v_sub_f32_e32 v16, v16, v14
	s_wait_dscnt 0x5
	v_dual_mul_f32 v7, v7, v6 :: v_dual_mul_f32 v5, v9, v5
	v_sub_f32_e32 v9, v17, v98
	s_wait_loadcnt 0x5
	v_cvt_f32_f16_e32 v14, v13
	s_wait_dscnt 0x4
	v_dual_mul_f32 v13, v16, v8 :: v_dual_mul_f32 v7, v7, v11
	v_pk_add_f32 v[4:5], v[86:87], v[4:5]
	v_cvt_f32_f16_e32 v12, v89
	s_wait_loadcnt 0x4
	v_cvt_f32_f16_e32 v11, v15
	v_dual_sub_f32 v15, v18, v100 :: v_dual_mul_f32 v16, v9, v10
	v_mul_f32_e32 v9, v13, v96
	v_pk_add_f32 v[4:5], v[4:5], v[6:7]
	s_wait_loadcnt 0x3
	v_cvt_f32_f16_e32 v7, v92
	v_sub_f32_e32 v13, v11, v102
	v_dual_mul_f32 v15, v15, v12 :: v_dual_mul_f32 v11, v16, v97
	v_pk_add_f32 v[4:5], v[4:5], v[8:9]
	s_wait_loadcnt 0x2
	v_cvt_f32_f16_e32 v6, v93
	s_wait_dscnt 0x1
	v_dual_sub_f32 v7, v7, v104 :: v_dual_mul_f32 v9, v13, v14
	v_mul_f32_e32 v13, v15, v99
	v_pk_add_f32 v[4:5], v[4:5], v[10:11]
	s_wait_loadcnt 0x1
	v_cvt_f32_f16_e32 v10, v94
	s_wait_loadcnt 0x0
	v_cvt_f32_f16_e32 v8, v95
	v_dual_mul_f32 v7, v7, v6 :: v_dual_mul_f32 v15, v9, v101
	v_pk_add_f32 v[4:5], v[4:5], v[12:13]
	s_wait_dscnt 0x0
	v_sub_f32_e32 v3, v10, v3
	s_delay_alu instid0(VALU_DEP_3) | instskip(NEXT) | instid1(VALU_DEP_3)
	v_mul_f32_e32 v7, v7, v103
	v_pk_add_f32 v[4:5], v[4:5], v[14:15]
	s_delay_alu instid0(VALU_DEP_3) | instskip(NEXT) | instid1(VALU_DEP_2)
	v_mul_f32_e32 v3, v3, v8
	v_pk_add_f32 v[4:5], v[4:5], v[6:7]
	s_delay_alu instid0(VALU_DEP_2) | instskip(NEXT) | instid1(VALU_DEP_1)
	v_mul_f32_e32 v9, v3, v105
	v_pk_add_f32 v[34:35], v[4:5], v[8:9]
.LBB78_54:                              ;   in Loop: Header=BB78_55 Depth=1
	s_add_nc_u64 s[18:19], s[18:19], s[20:21]
	v_add_nc_u64_e32 v[54:55], s[38:39], v[54:55]
	v_cmp_ge_i64_e64 s2, s[18:19], s[4:5]
	v_add_nc_u64_e32 v[56:57], s[38:39], v[56:57]
	v_add_nc_u64_e32 v[22:23], s[38:39], v[22:23]
	;; [unrolled: 1-line block ×29, first 2 shown]
	s_and_b32 vcc_lo, exec_lo, s2
	s_add_nc_u64 s[40:41], s[40:41], s[20:21]
	s_cbranch_vccnz .LBB78_81
.LBB78_55:                              ; =>This Inner Loop Header: Depth=1
	v_cmp_ge_i64_e64 s2, s[40:41], s[4:5]
	v_add_nc_u64_e32 v[88:89], s[40:41], v[20:21]
	v_dual_mov_b32 v86, v34 :: v_dual_mov_b32 v87, v35
                                        ; implicit-def: $vgpr35
	s_and_b32 vcc_lo, exec_lo, s2
	s_mov_b32 s2, -1
	s_cbranch_vccz .LBB78_77
; %bb.56:                               ;   in Loop: Header=BB78_55 Depth=1
	s_load_b32 s2, s[36:37], 0xc
	v_dual_mov_b32 v35, 0 :: v_dual_mov_b32 v34, 0
	s_wait_kmcnt 0x0
	s_and_b32 s2, s2, 0xffff
	s_delay_alu instid0(SALU_CYCLE_1) | instskip(SKIP_1) | instid1(VALU_DEP_1)
	v_mad_u32_u24 v3, v1, s2, v90
	s_mov_b32 s2, exec_lo
	v_and_b32_e32 v4, 31, v3
	s_delay_alu instid0(VALU_DEP_1)
	v_cmpx_gt_u32_e32 8, v4
	s_cbranch_execz .LBB78_60
; %bb.57:                               ;   in Loop: Header=BB78_55 Depth=1
	v_dual_mov_b32 v5, v2 :: v_dual_mov_b32 v35, 0
	v_mov_b32_e32 v34, 0
	s_mov_b32 s17, exec_lo
	s_delay_alu instid0(VALU_DEP_2) | instskip(NEXT) | instid1(VALU_DEP_1)
	v_add_nc_u64_e32 v[4:5], v[88:89], v[4:5]
	v_add_nc_u64_e32 v[4:5], s[8:9], v[4:5]
	s_delay_alu instid0(VALU_DEP_1)
	v_cmpx_gt_i64_e64 s[4:5], v[4:5]
	s_cbranch_execz .LBB78_59
; %bb.58:                               ;   in Loop: Header=BB78_55 Depth=1
	v_lshlrev_b64_e32 v[4:5], 2, v[4:5]
	s_delay_alu instid0(VALU_DEP_1)
	v_add_nc_u64_e32 v[6:7], s[12:13], v[4:5]
	v_add_nc_u64_e32 v[4:5], s[14:15], v[4:5]
	global_load_b32 v35, v[6:7], off
	global_load_b32 v34, v[4:5], off
.LBB78_59:                              ;   in Loop: Header=BB78_55 Depth=1
	s_wait_xcnt 0x0
	s_or_b32 exec_lo, exec_lo, s17
.LBB78_60:                              ;   in Loop: Header=BB78_55 Depth=1
	s_delay_alu instid0(SALU_CYCLE_1)
	s_or_b32 exec_lo, exec_lo, s2
	v_add_nc_u64_e32 v[10:11], s[8:9], v[88:89]
	v_dual_mov_b32 v7, v2 :: v_dual_mov_b32 v8, v2
	v_dual_mov_b32 v9, v2 :: v_dual_mov_b32 v3, v2
	;; [unrolled: 1-line block ×3, first 2 shown]
	v_mov_b32_e32 v6, v2
	s_delay_alu instid0(VALU_DEP_3)
	v_mov_b64_e32 v[18:19], v[8:9]
	v_cmp_gt_i64_e32 vcc_lo, s[4:5], v[10:11]
	v_mov_b64_e32 v[12:13], v[2:3]
	v_mov_b64_e32 v[14:15], v[4:5]
	;; [unrolled: 1-line block ×7, first 2 shown]
	s_and_saveexec_b32 s2, vcc_lo
	s_cbranch_execz .LBB78_62
; %bb.61:                               ;   in Loop: Header=BB78_55 Depth=1
	v_add_nc_u64_e32 v[4:5], v[54:55], v[52:53]
	v_add_nc_u64_e32 v[6:7], v[56:57], v[52:53]
	v_dual_mov_b32 v9, v2 :: v_dual_mov_b32 v10, v2
	v_dual_mov_b32 v11, v2 :: v_dual_mov_b32 v13, v2
	;; [unrolled: 1-line block ×3, first 2 shown]
	global_load_u16 v3, v[4:5], off
	global_load_u16 v12, v[6:7], off
	s_wait_xcnt 0x0
	v_dual_mov_b32 v5, v2 :: v_dual_mov_b32 v6, v2
	v_dual_mov_b32 v7, v2 :: v_dual_mov_b32 v8, v2
	;; [unrolled: 1-line block ×4, first 2 shown]
	s_wait_loadcnt 0x1
	v_cvt_f32_f16_e32 v4, v3
	s_wait_loadcnt 0x0
	v_cvt_f32_f16_e32 v12, v12
.LBB78_62:                              ;   in Loop: Header=BB78_55 Depth=1
	s_or_b32 exec_lo, exec_lo, s2
	v_add_nc_u64_e32 v[92:93], s[10:11], v[88:89]
	s_mov_b32 s2, exec_lo
	s_delay_alu instid0(VALU_DEP_1)
	v_cmpx_gt_i64_e64 s[4:5], v[92:93]
	s_cbranch_execz .LBB78_64
; %bb.63:                               ;   in Loop: Header=BB78_55 Depth=1
	v_add_nc_u64_e32 v[92:93], v[82:83], v[52:53]
	v_add_nc_u64_e32 v[94:95], v[84:85], v[52:53]
	global_load_u16 v3, v[92:93], off
	global_load_u16 v13, v[94:95], off
	s_wait_loadcnt 0x1
	v_cvt_f32_f16_e32 v5, v3
	s_wait_loadcnt 0x0
	v_cvt_f32_f16_e32 v13, v13
.LBB78_64:                              ;   in Loop: Header=BB78_55 Depth=1
	s_or_b32 exec_lo, exec_lo, s2
	v_add_nc_u64_e32 v[92:93], s[22:23], v[88:89]
	s_mov_b32 s2, exec_lo
	s_delay_alu instid0(VALU_DEP_1)
	v_cmpx_gt_i64_e64 s[4:5], v[92:93]
	s_cbranch_execz .LBB78_66
; %bb.65:                               ;   in Loop: Header=BB78_55 Depth=1
	v_add_nc_u64_e32 v[92:93], v[78:79], v[52:53]
	v_add_nc_u64_e32 v[94:95], v[80:81], v[52:53]
	global_load_u16 v3, v[92:93], off
	global_load_u16 v14, v[94:95], off
	s_wait_loadcnt 0x1
	v_cvt_f32_f16_e32 v6, v3
	s_wait_loadcnt 0x0
	v_cvt_f32_f16_e32 v14, v14
.LBB78_66:                              ;   in Loop: Header=BB78_55 Depth=1
	;; [unrolled: 16-line block ×7, first 2 shown]
	s_or_b32 exec_lo, exec_lo, s2
	s_wait_loadcnt 0x1
	ds_bpermute_b32 v3, v2, v35
	ds_bpermute_b32 v91, v2, v35 offset:4
	ds_bpermute_b32 v93, v2, v35 offset:8
	s_wait_loadcnt 0x0
	ds_bpermute_b32 v94, v2, v34
	ds_bpermute_b32 v95, v2, v35 offset:12
	ds_bpermute_b32 v96, v2, v34 offset:4
	;; [unrolled: 1-line block ×10, first 2 shown]
	s_mov_b32 s2, 0
	s_wait_dscnt 0xd
	v_dual_mov_b32 v92, v6 :: v_dual_sub_f32 v3, v12, v3
	s_wait_dscnt 0xc
	v_dual_mov_b32 v12, v4 :: v_dual_sub_f32 v13, v13, v91
	s_wait_dscnt 0x9
	v_sub_f32_e32 v15, v15, v95
	v_dual_mul_f32 v3, v4, v3 :: v_dual_mov_b32 v4, v5
	v_sub_f32_e32 v14, v14, v93
	s_wait_dscnt 0x6
	v_dual_mul_f32 v5, v5, v13 :: v_dual_sub_f32 v16, v16, v100
	s_delay_alu instid0(VALU_DEP_3) | instskip(SKIP_4) | instid1(VALU_DEP_3)
	v_mul_f32_e32 v13, v3, v94
	ds_bpermute_b32 v3, v2, v35 offset:28
	v_dual_mul_f32 v14, v6, v14 :: v_dual_mul_f32 v5, v5, v96
	v_mov_b32_e32 v6, v7
	v_pk_add_f32 v[12:13], v[86:87], v[12:13]
	v_dual_mul_f32 v7, v7, v15 :: v_dual_mul_f32 v93, v14, v97
	ds_bpermute_b32 v14, v2, v34 offset:28
	v_mul_f32_e32 v15, v8, v16
	v_pk_add_f32 v[4:5], v[4:5], v[12:13]
	s_wait_dscnt 0x6
	v_sub_f32_e32 v13, v17, v102
	v_dual_mul_f32 v7, v7, v98 :: v_dual_mov_b32 v12, v8
	s_wait_dscnt 0x4
	v_sub_f32_e32 v8, v18, v104
	v_pk_add_f32 v[4:5], v[92:93], v[4:5]
	v_dual_mul_f32 v16, v9, v13 :: v_dual_mul_f32 v13, v15, v99
	s_delay_alu instid0(VALU_DEP_2) | instskip(SKIP_2) | instid1(VALU_DEP_3)
	v_pk_add_f32 v[4:5], v[6:7], v[4:5]
	s_wait_dscnt 0x1
	v_dual_mov_b32 v6, v9 :: v_dual_sub_f32 v3, v19, v3
	v_dual_mul_f32 v9, v10, v8 :: v_dual_mul_f32 v7, v16, v101
	v_mov_b32_e32 v8, v10
	v_pk_add_f32 v[4:5], v[12:13], v[4:5]
	s_delay_alu instid0(VALU_DEP_4) | instskip(NEXT) | instid1(VALU_DEP_2)
	v_mul_f32_e32 v3, v11, v3
	v_pk_add_f32 v[4:5], v[6:7], v[4:5]
	v_dual_mov_b32 v6, v11 :: v_dual_mul_f32 v9, v9, v103
	s_wait_dscnt 0x0
	s_delay_alu instid0(VALU_DEP_3) | instskip(NEXT) | instid1(VALU_DEP_2)
	v_mul_f32_e32 v7, v3, v14
	v_pk_add_f32 v[4:5], v[8:9], v[4:5]
	s_delay_alu instid0(VALU_DEP_1)
	v_pk_add_f32 v[34:35], v[6:7], v[4:5]
.LBB78_77:                              ;   in Loop: Header=BB78_55 Depth=1
	s_and_b32 vcc_lo, exec_lo, s2
	s_cbranch_vccz .LBB78_54
; %bb.78:                               ;   in Loop: Header=BB78_55 Depth=1
	s_load_b32 s2, s[36:37], 0x0
	v_mov_b32_e32 v6, 0
	s_wait_kmcnt 0x0
	s_cmp_lt_u32 s16, s2
	s_cselect_b32 s2, 12, 18
	s_delay_alu instid0(SALU_CYCLE_1) | instskip(SKIP_4) | instid1(VALU_DEP_1)
	s_add_nc_u64 s[42:43], s[36:37], s[2:3]
	s_load_u16 s2, s[42:43], 0x0
	s_wait_kmcnt 0x0
	v_mad_u32_u24 v3, v1, s2, v90
	s_mov_b32 s2, exec_lo
	v_dual_mov_b32 v3, 0 :: v_dual_bitop2_b32 v4, 31, v3 bitop3:0x40
	s_delay_alu instid0(VALU_DEP_1)
	v_cmpx_gt_u32_e32 8, v4
	s_cbranch_execz .LBB78_53
; %bb.79:                               ;   in Loop: Header=BB78_55 Depth=1
	v_dual_mov_b32 v5, v2 :: v_dual_mov_b32 v3, 0
	v_mov_b32_e32 v6, 0
	s_mov_b32 s17, exec_lo
	s_delay_alu instid0(VALU_DEP_2) | instskip(NEXT) | instid1(VALU_DEP_1)
	v_add_nc_u64_e32 v[4:5], v[88:89], v[4:5]
	v_add_nc_u64_e32 v[4:5], s[8:9], v[4:5]
	s_delay_alu instid0(VALU_DEP_1)
	v_cmpx_gt_i64_e64 s[4:5], v[4:5]
	s_cbranch_execz .LBB78_52
; %bb.80:                               ;   in Loop: Header=BB78_55 Depth=1
	v_lshlrev_b64_e32 v[4:5], 2, v[4:5]
	s_delay_alu instid0(VALU_DEP_1)
	v_add_nc_u64_e32 v[8:9], s[12:13], v[4:5]
	v_add_nc_u64_e32 v[4:5], s[14:15], v[4:5]
	global_load_b32 v3, v[8:9], off
	global_load_b32 v6, v[4:5], off
	s_branch .LBB78_52
.LBB78_81:
	v_and_b32_e32 v1, 0x3ff, v0
	v_bfe_u32 v0, v0, 10, 10
	s_mov_b32 s2, exec_lo
	s_delay_alu instid0(VALU_DEP_1) | instskip(NEXT) | instid1(VALU_DEP_1)
	v_mad_u32_u24 v2, 0x41, v0, v1
	v_lshl_add_u32 v3, v2, 2, 0
	v_sub_nc_u32_e32 v6, v2, v0
	ds_store_b32 v3, v35
	ds_store_b32 v3, v34 offset:2080
	s_wait_dscnt 0x0
	s_barrier_signal -1
	s_barrier_wait -1
	v_cmpx_gt_u32_e32 0x800, v6
	s_cbranch_execz .LBB78_113
; %bb.82:
	s_load_b128 s[8:11], s[0:1], 0x30
	v_dual_lshrrev_b32 v0, 5, v6 :: v_dual_bitop2_b32 v2, 31, v1 bitop3:0x40
	s_delay_alu instid0(VALU_DEP_1)
	v_cmp_lt_u32_e64 s2, 7, v2
	s_wait_xcnt 0x0
	v_cmp_gt_u32_e64 s0, 8, v2
	v_mul_u32_u24_e32 v7, 0x41, v2
                                        ; implicit-def: $vgpr2
	s_and_saveexec_b32 s1, s0
	s_cbranch_execz .LBB78_84
; %bb.83:
	s_delay_alu instid0(VALU_DEP_1) | instskip(NEXT) | instid1(VALU_DEP_1)
	v_add_nc_u32_e32 v2, v0, v7
	v_lshl_add_u32 v2, v2, 2, 0
	ds_load_b32 v3, v2
	ds_load_b32 v2, v2 offset:2080
.LBB78_84:
	s_or_b32 exec_lo, exec_lo, s1
	v_mbcnt_lo_u32_b32 v10, -1, 0
	s_mov_b32 s17, 0
	v_cmp_eq_u32_e64 s1, 0, v1
	s_lshl_b64 s[4:5], s[16:17], 6
	s_wait_kmcnt 0x0
	s_cmp_lg_u64 s[8:9], 0
	v_xor_b32_e32 v9, 2, v10
	v_xor_b32_e32 v4, 4, v10
	s_cselect_b32 s12, -1, 0
	s_cmp_lg_u64 s[10:11], 0
	v_xor_b32_e32 v11, 1, v10
	s_cselect_b32 s3, -1, 0
	v_cmp_gt_i32_e32 vcc_lo, 32, v4
	v_dual_mov_b32 v1, 0 :: v_dual_cndmask_b32 v4, v10, v4
	v_cmp_gt_i32_e32 vcc_lo, 32, v9
	v_cndmask_b32_e32 v9, v10, v9, vcc_lo
	v_cmp_gt_i32_e32 vcc_lo, 32, v11
	s_delay_alu instid0(VALU_DEP_2)
	v_dual_lshlrev_b32 v9, 2, v9 :: v_dual_lshlrev_b32 v8, 2, v4
	v_cndmask_b32_e32 v10, v10, v11, vcc_lo
	s_wait_dscnt 0x1
	ds_bpermute_b32 v5, v8, v3
	s_wait_dscnt 0x1
	ds_bpermute_b32 v4, v8, v2
	v_lshlrev_b32_e32 v10, 2, v10
	s_wait_dscnt 0x0
	v_pk_add_f32 v[2:3], v[2:3], v[4:5]
	ds_bpermute_b32 v5, v9, v3
	ds_bpermute_b32 v4, v9, v2
	s_wait_dscnt 0x0
	v_pk_add_f32 v[2:3], v[2:3], v[4:5]
	v_dual_mov_b32 v5, s5 :: v_dual_bitop2_b32 v4, s4, v0 bitop3:0x54
	ds_bpermute_b32 v13, v10, v3
	ds_bpermute_b32 v12, v10, v2
	v_cmp_gt_i64_e32 vcc_lo, s[6:7], v[4:5]
	s_and_b32 s14, s1, vcc_lo
	s_wait_dscnt 0x0
	v_pk_add_f32 v[2:3], v[2:3], v[12:13]
	s_and_saveexec_b32 s13, s14
	s_cbranch_execz .LBB78_89
; %bb.85:
	s_and_not1_b32 vcc_lo, exec_lo, s12
	s_cbranch_vccnz .LBB78_87
; %bb.86:
	v_lshl_add_u64 v[12:13], v[4:5], 1, s[8:9]
	v_cvt_f16_f32_e32 v11, v3
	global_store_b16 v[12:13], v11, off
.LBB78_87:
	s_and_not1_b32 vcc_lo, exec_lo, s3
	s_cbranch_vccnz .LBB78_89
; %bb.88:
	v_lshl_add_u64 v[4:5], v[4:5], 1, s[10:11]
	s_wait_xcnt 0x0
	v_cvt_f16_f32_e32 v11, v2
	global_store_b16 v[4:5], v11, off
.LBB78_89:
	s_wait_xcnt 0x0
	s_or_b32 exec_lo, exec_lo, s13
	v_cmp_gt_u32_e32 vcc_lo, 0x600, v6
	s_and_b32 exec_lo, exec_lo, vcc_lo
	s_cbranch_execz .LBB78_113
; %bb.90:
	s_and_saveexec_b32 s13, s2
	s_delay_alu instid0(SALU_CYCLE_1) | instskip(NEXT) | instid1(SALU_CYCLE_1)
	s_xor_b32 s13, exec_lo, s13
	s_and_not1_saveexec_b32 s13, s13
	s_cbranch_execz .LBB78_92
; %bb.91:
	v_add_nc_u32_e32 v2, v0, v7
	s_delay_alu instid0(VALU_DEP_1)
	v_lshl_add_u32 v2, v2, 2, 0
	ds_load_b32 v3, v2 offset:64
	ds_load_b32 v2, v2 offset:2144
.LBB78_92:
	s_or_b32 exec_lo, exec_lo, s13
	s_wait_dscnt 0x1
	ds_bpermute_b32 v5, v8, v3
	s_wait_dscnt 0x1
	ds_bpermute_b32 v4, v8, v2
	v_dual_mov_b32 v13, 0 :: v_dual_add_nc_u32 v12, 16, v0
	s_delay_alu instid0(VALU_DEP_1) | instskip(NEXT) | instid1(VALU_DEP_1)
	v_add_nc_u64_e32 v[12:13], s[4:5], v[12:13]
	v_cmp_gt_i64_e32 vcc_lo, s[6:7], v[12:13]
	s_wait_dscnt 0x0
	v_pk_add_f32 v[2:3], v[2:3], v[4:5]
	s_and_b32 s14, s1, vcc_lo
	ds_bpermute_b32 v5, v9, v3
	ds_bpermute_b32 v4, v9, v2
	s_wait_dscnt 0x0
	v_pk_add_f32 v[2:3], v[2:3], v[4:5]
	ds_bpermute_b32 v5, v10, v3
	ds_bpermute_b32 v4, v10, v2
	s_wait_dscnt 0x0
	v_pk_add_f32 v[2:3], v[2:3], v[4:5]
	s_and_saveexec_b32 s13, s14
	s_cbranch_execz .LBB78_97
; %bb.93:
	s_and_not1_b32 vcc_lo, exec_lo, s12
	s_cbranch_vccnz .LBB78_95
; %bb.94:
	v_add_nc_u64_e32 v[4:5], s[4:5], v[0:1]
	v_cvt_f16_f32_e32 v11, v3
	s_delay_alu instid0(VALU_DEP_2)
	v_lshl_add_u64 v[4:5], v[4:5], 1, s[8:9]
	global_store_b16 v[4:5], v11, off offset:32
.LBB78_95:
	s_and_not1_b32 vcc_lo, exec_lo, s3
	s_cbranch_vccnz .LBB78_97
; %bb.96:
	s_wait_xcnt 0x0
	v_add_nc_u64_e32 v[4:5], s[4:5], v[0:1]
	v_cvt_f16_f32_e32 v11, v2
	s_delay_alu instid0(VALU_DEP_2)
	v_lshl_add_u64 v[4:5], v[4:5], 1, s[10:11]
	global_store_b16 v[4:5], v11, off offset:32
.LBB78_97:
	s_wait_xcnt 0x0
	s_or_b32 exec_lo, exec_lo, s13
	v_cmp_gt_u32_e32 vcc_lo, 0x400, v6
	s_and_b32 exec_lo, exec_lo, vcc_lo
	s_cbranch_execz .LBB78_113
; %bb.98:
	s_and_saveexec_b32 s13, s2
	s_delay_alu instid0(SALU_CYCLE_1) | instskip(NEXT) | instid1(SALU_CYCLE_1)
	s_xor_b32 s2, exec_lo, s13
	s_and_not1_saveexec_b32 s2, s2
	s_cbranch_execz .LBB78_100
; %bb.99:
	v_add_nc_u32_e32 v2, v0, v7
	s_delay_alu instid0(VALU_DEP_1)
	v_lshl_add_u32 v2, v2, 2, 0
	ds_load_b32 v3, v2 offset:128
	ds_load_b32 v2, v2 offset:2208
.LBB78_100:
	s_or_b32 exec_lo, exec_lo, s2
	s_wait_dscnt 0x1
	ds_bpermute_b32 v5, v8, v3
	s_wait_dscnt 0x1
	ds_bpermute_b32 v4, v8, v2
	v_dual_add_nc_u32 v11, 32, v0 :: v_dual_mov_b32 v13, s5
	s_delay_alu instid0(VALU_DEP_1) | instskip(NEXT) | instid1(VALU_DEP_1)
	v_or_b32_e32 v12, s4, v11
	v_cmp_gt_i64_e32 vcc_lo, s[6:7], v[12:13]
	s_and_b32 s13, s1, vcc_lo
	s_wait_dscnt 0x0
	v_pk_add_f32 v[2:3], v[2:3], v[4:5]
	ds_bpermute_b32 v5, v9, v3
	ds_bpermute_b32 v4, v9, v2
	s_wait_dscnt 0x0
	v_pk_add_f32 v[2:3], v[2:3], v[4:5]
	ds_bpermute_b32 v5, v10, v3
	ds_bpermute_b32 v4, v10, v2
	s_wait_dscnt 0x0
	v_pk_add_f32 v[2:3], v[2:3], v[4:5]
	s_and_saveexec_b32 s2, s13
	s_cbranch_execz .LBB78_105
; %bb.101:
	s_and_not1_b32 vcc_lo, exec_lo, s12
	s_cbranch_vccnz .LBB78_103
; %bb.102:
	v_add_nc_u64_e32 v[4:5], s[4:5], v[0:1]
	v_cvt_f16_f32_e32 v11, v3
	s_delay_alu instid0(VALU_DEP_2)
	v_lshl_add_u64 v[4:5], v[4:5], 1, s[8:9]
	global_store_b16 v[4:5], v11, off offset:64
.LBB78_103:
	s_and_not1_b32 vcc_lo, exec_lo, s3
	s_cbranch_vccnz .LBB78_105
; %bb.104:
	s_wait_xcnt 0x0
	v_add_nc_u64_e32 v[4:5], s[4:5], v[0:1]
	v_cvt_f16_f32_e32 v11, v2
	s_delay_alu instid0(VALU_DEP_2)
	v_lshl_add_u64 v[4:5], v[4:5], 1, s[10:11]
	global_store_b16 v[4:5], v11, off offset:64
.LBB78_105:
	s_wait_xcnt 0x0
	s_or_b32 exec_lo, exec_lo, s2
	v_cmp_gt_u32_e32 vcc_lo, 0x200, v6
	s_and_b32 exec_lo, exec_lo, vcc_lo
	s_cbranch_execz .LBB78_113
; %bb.106:
	s_and_saveexec_b32 s2, s0
	s_cbranch_execz .LBB78_108
; %bb.107:
	v_add_nc_u32_e32 v2, v0, v7
	s_delay_alu instid0(VALU_DEP_1)
	v_lshl_add_u32 v2, v2, 2, 0
	ds_load_b32 v3, v2 offset:192
	ds_load_b32 v2, v2 offset:2272
.LBB78_108:
	s_or_b32 exec_lo, exec_lo, s2
	s_wait_dscnt 0x1
	ds_bpermute_b32 v4, v8, v3
	s_wait_dscnt 0x1
	ds_bpermute_b32 v5, v8, v2
	v_dual_mov_b32 v7, s5 :: v_dual_add_nc_u32 v6, 48, v0
	s_delay_alu instid0(VALU_DEP_1) | instskip(NEXT) | instid1(VALU_DEP_1)
	v_or_b32_e32 v6, s4, v6
	v_cmp_gt_i64_e32 vcc_lo, s[6:7], v[6:7]
	s_and_b32 s0, s1, vcc_lo
	s_wait_dscnt 0x0
	v_dual_add_f32 v3, v3, v4 :: v_dual_add_f32 v2, v2, v5
	ds_bpermute_b32 v4, v9, v3
	ds_bpermute_b32 v5, v9, v2
	s_wait_dscnt 0x0
	v_dual_add_f32 v4, v3, v4 :: v_dual_add_f32 v2, v2, v5
	ds_bpermute_b32 v5, v10, v4
	ds_bpermute_b32 v3, v10, v2
	s_and_b32 exec_lo, exec_lo, s0
	s_cbranch_execz .LBB78_113
; %bb.109:
	v_add_nc_u64_e32 v[0:1], s[4:5], v[0:1]
	s_and_not1_b32 vcc_lo, exec_lo, s12
	s_cbranch_vccnz .LBB78_111
; %bb.110:
	s_wait_dscnt 0x1
	v_add_f32_e32 v6, v4, v5
	s_delay_alu instid0(VALU_DEP_2) | instskip(NEXT) | instid1(VALU_DEP_2)
	v_lshl_add_u64 v[4:5], v[0:1], 1, s[8:9]
	v_cvt_f16_f32_e32 v6, v6
	global_store_b16 v[4:5], v6, off offset:96
.LBB78_111:
	s_and_not1_b32 vcc_lo, exec_lo, s3
	s_cbranch_vccnz .LBB78_113
; %bb.112:
	s_wait_dscnt 0x0
	v_add_f32_e32 v2, v2, v3
	v_lshl_add_u64 v[0:1], v[0:1], 1, s[10:11]
	s_delay_alu instid0(VALU_DEP_2)
	v_cvt_f16_f32_e32 v2, v2
	global_store_b16 v[0:1], v2, off offset:96
.LBB78_113:
	s_sendmsg sendmsg(MSG_DEALLOC_VGPRS)
	s_endpgm
	.section	.rodata,"a",@progbits
	.p2align	6, 0x0
	.amdhsa_kernel _ZN2at6native12_GLOBAL__N_135GammaBetaBackwardCUDAKernelTemplateIN3c104HalfEfLj64ELj8ELj64ELb0ELb0ELb0EEEvllPKT_S7_PKT0_SA_PS5_SB_
		.amdhsa_group_segment_fixed_size 0
		.amdhsa_private_segment_fixed_size 0
		.amdhsa_kernarg_size 320
		.amdhsa_user_sgpr_count 2
		.amdhsa_user_sgpr_dispatch_ptr 0
		.amdhsa_user_sgpr_queue_ptr 0
		.amdhsa_user_sgpr_kernarg_segment_ptr 1
		.amdhsa_user_sgpr_dispatch_id 0
		.amdhsa_user_sgpr_kernarg_preload_length 0
		.amdhsa_user_sgpr_kernarg_preload_offset 0
		.amdhsa_user_sgpr_private_segment_size 0
		.amdhsa_wavefront_size32 1
		.amdhsa_uses_dynamic_stack 0
		.amdhsa_enable_private_segment 0
		.amdhsa_system_sgpr_workgroup_id_x 1
		.amdhsa_system_sgpr_workgroup_id_y 1
		.amdhsa_system_sgpr_workgroup_id_z 0
		.amdhsa_system_sgpr_workgroup_info 0
		.amdhsa_system_vgpr_workitem_id 1
		.amdhsa_next_free_vgpr 106
		.amdhsa_next_free_sgpr 52
		.amdhsa_named_barrier_count 0
		.amdhsa_reserve_vcc 1
		.amdhsa_float_round_mode_32 0
		.amdhsa_float_round_mode_16_64 0
		.amdhsa_float_denorm_mode_32 3
		.amdhsa_float_denorm_mode_16_64 3
		.amdhsa_fp16_overflow 0
		.amdhsa_memory_ordered 1
		.amdhsa_forward_progress 1
		.amdhsa_inst_pref_size 61
		.amdhsa_round_robin_scheduling 0
		.amdhsa_exception_fp_ieee_invalid_op 0
		.amdhsa_exception_fp_denorm_src 0
		.amdhsa_exception_fp_ieee_div_zero 0
		.amdhsa_exception_fp_ieee_overflow 0
		.amdhsa_exception_fp_ieee_underflow 0
		.amdhsa_exception_fp_ieee_inexact 0
		.amdhsa_exception_int_div_zero 0
	.end_amdhsa_kernel
	.section	.text._ZN2at6native12_GLOBAL__N_135GammaBetaBackwardCUDAKernelTemplateIN3c104HalfEfLj64ELj8ELj64ELb0ELb0ELb0EEEvllPKT_S7_PKT0_SA_PS5_SB_,"axG",@progbits,_ZN2at6native12_GLOBAL__N_135GammaBetaBackwardCUDAKernelTemplateIN3c104HalfEfLj64ELj8ELj64ELb0ELb0ELb0EEEvllPKT_S7_PKT0_SA_PS5_SB_,comdat
.Lfunc_end78:
	.size	_ZN2at6native12_GLOBAL__N_135GammaBetaBackwardCUDAKernelTemplateIN3c104HalfEfLj64ELj8ELj64ELb0ELb0ELb0EEEvllPKT_S7_PKT0_SA_PS5_SB_, .Lfunc_end78-_ZN2at6native12_GLOBAL__N_135GammaBetaBackwardCUDAKernelTemplateIN3c104HalfEfLj64ELj8ELj64ELb0ELb0ELb0EEEvllPKT_S7_PKT0_SA_PS5_SB_
                                        ; -- End function
	.set _ZN2at6native12_GLOBAL__N_135GammaBetaBackwardCUDAKernelTemplateIN3c104HalfEfLj64ELj8ELj64ELb0ELb0ELb0EEEvllPKT_S7_PKT0_SA_PS5_SB_.num_vgpr, 106
	.set _ZN2at6native12_GLOBAL__N_135GammaBetaBackwardCUDAKernelTemplateIN3c104HalfEfLj64ELj8ELj64ELb0ELb0ELb0EEEvllPKT_S7_PKT0_SA_PS5_SB_.num_agpr, 0
	.set _ZN2at6native12_GLOBAL__N_135GammaBetaBackwardCUDAKernelTemplateIN3c104HalfEfLj64ELj8ELj64ELb0ELb0ELb0EEEvllPKT_S7_PKT0_SA_PS5_SB_.numbered_sgpr, 52
	.set _ZN2at6native12_GLOBAL__N_135GammaBetaBackwardCUDAKernelTemplateIN3c104HalfEfLj64ELj8ELj64ELb0ELb0ELb0EEEvllPKT_S7_PKT0_SA_PS5_SB_.num_named_barrier, 0
	.set _ZN2at6native12_GLOBAL__N_135GammaBetaBackwardCUDAKernelTemplateIN3c104HalfEfLj64ELj8ELj64ELb0ELb0ELb0EEEvllPKT_S7_PKT0_SA_PS5_SB_.private_seg_size, 0
	.set _ZN2at6native12_GLOBAL__N_135GammaBetaBackwardCUDAKernelTemplateIN3c104HalfEfLj64ELj8ELj64ELb0ELb0ELb0EEEvllPKT_S7_PKT0_SA_PS5_SB_.uses_vcc, 1
	.set _ZN2at6native12_GLOBAL__N_135GammaBetaBackwardCUDAKernelTemplateIN3c104HalfEfLj64ELj8ELj64ELb0ELb0ELb0EEEvllPKT_S7_PKT0_SA_PS5_SB_.uses_flat_scratch, 0
	.set _ZN2at6native12_GLOBAL__N_135GammaBetaBackwardCUDAKernelTemplateIN3c104HalfEfLj64ELj8ELj64ELb0ELb0ELb0EEEvllPKT_S7_PKT0_SA_PS5_SB_.has_dyn_sized_stack, 0
	.set _ZN2at6native12_GLOBAL__N_135GammaBetaBackwardCUDAKernelTemplateIN3c104HalfEfLj64ELj8ELj64ELb0ELb0ELb0EEEvllPKT_S7_PKT0_SA_PS5_SB_.has_recursion, 0
	.set _ZN2at6native12_GLOBAL__N_135GammaBetaBackwardCUDAKernelTemplateIN3c104HalfEfLj64ELj8ELj64ELb0ELb0ELb0EEEvllPKT_S7_PKT0_SA_PS5_SB_.has_indirect_call, 0
	.section	.AMDGPU.csdata,"",@progbits
; Kernel info:
; codeLenInByte = 7708
; TotalNumSgprs: 54
; NumVgprs: 106
; ScratchSize: 0
; MemoryBound: 0
; FloatMode: 240
; IeeeMode: 1
; LDSByteSize: 0 bytes/workgroup (compile time only)
; SGPRBlocks: 0
; VGPRBlocks: 6
; NumSGPRsForWavesPerEU: 54
; NumVGPRsForWavesPerEU: 106
; NamedBarCnt: 0
; Occupancy: 9
; WaveLimiterHint : 0
; COMPUTE_PGM_RSRC2:SCRATCH_EN: 0
; COMPUTE_PGM_RSRC2:USER_SGPR: 2
; COMPUTE_PGM_RSRC2:TRAP_HANDLER: 0
; COMPUTE_PGM_RSRC2:TGID_X_EN: 1
; COMPUTE_PGM_RSRC2:TGID_Y_EN: 1
; COMPUTE_PGM_RSRC2:TGID_Z_EN: 0
; COMPUTE_PGM_RSRC2:TIDIG_COMP_CNT: 1
	.section	.text._ZN2at6native12_GLOBAL__N_135GammaBetaBackwardCUDAKernelTemplateIN3c104HalfEfLj64ELj16ELj128ELb0ELb1ELb0EEEvllPKT_S7_PKT0_SA_PS5_SB_,"axG",@progbits,_ZN2at6native12_GLOBAL__N_135GammaBetaBackwardCUDAKernelTemplateIN3c104HalfEfLj64ELj16ELj128ELb0ELb1ELb0EEEvllPKT_S7_PKT0_SA_PS5_SB_,comdat
	.globl	_ZN2at6native12_GLOBAL__N_135GammaBetaBackwardCUDAKernelTemplateIN3c104HalfEfLj64ELj16ELj128ELb0ELb1ELb0EEEvllPKT_S7_PKT0_SA_PS5_SB_ ; -- Begin function _ZN2at6native12_GLOBAL__N_135GammaBetaBackwardCUDAKernelTemplateIN3c104HalfEfLj64ELj16ELj128ELb0ELb1ELb0EEEvllPKT_S7_PKT0_SA_PS5_SB_
	.p2align	8
	.type	_ZN2at6native12_GLOBAL__N_135GammaBetaBackwardCUDAKernelTemplateIN3c104HalfEfLj64ELj16ELj128ELb0ELb1ELb0EEEvllPKT_S7_PKT0_SA_PS5_SB_,@function
_ZN2at6native12_GLOBAL__N_135GammaBetaBackwardCUDAKernelTemplateIN3c104HalfEfLj64ELj16ELj128ELb0ELb1ELb0EEEvllPKT_S7_PKT0_SA_PS5_SB_: ; @_ZN2at6native12_GLOBAL__N_135GammaBetaBackwardCUDAKernelTemplateIN3c104HalfEfLj64ELj16ELj128ELb0ELb1ELb0EEEvllPKT_S7_PKT0_SA_PS5_SB_
; %bb.0:
	s_load_b128 s[12:15], s[0:1], 0x0
	s_bfe_u32 s2, ttmp6, 0x40010
	s_bfe_u32 s4, ttmp6, 0x40004
	s_add_co_i32 s2, s2, 1
	s_getreg_b32 s3, hwreg(HW_REG_IB_STS2, 6, 4)
	s_mul_i32 s2, ttmp7, s2
	s_mov_b32 s17, 0
	s_add_co_i32 s4, s4, s2
	s_cmp_eq_u32 s3, 0
	v_bfe_u32 v11, v0, 10, 10
	s_cselect_b32 s2, ttmp7, s4
	s_delay_alu instid0(SALU_CYCLE_1)
	s_lshl_b32 s16, s2, 7
	s_wait_kmcnt 0x0
	v_cmp_gt_i64_e64 s2, s[12:13], s[16:17]
	s_and_b32 vcc_lo, exec_lo, s2
	s_cbranch_vccnz .LBB79_2
; %bb.1:
	v_bfe_u32 v1, v0, 10, 10
	s_mov_b32 s2, s17
	s_branch .LBB79_3
.LBB79_2:
	s_mov_b32 s2, -1
                                        ; implicit-def: $vgpr1
.LBB79_3:
	v_mov_b32_e32 v9, 0
	v_and_b32_e32 v10, 0x3ff, v0
	s_and_not1_b32 vcc_lo, exec_lo, s2
	s_delay_alu instid0(VALU_DEP_2)
	v_mov_b32_e32 v8, v9
	s_cbranch_vccnz .LBB79_11
; %bb.4:
	v_dual_mov_b32 v1, 0 :: v_dual_lshlrev_b32 v0, 3, v11
	s_load_b32 s2, s[0:1], 0x4c
	s_bfe_u32 s21, ttmp6, 0x4000c
	s_clause 0x1
	s_load_b32 s18, s[0:1], 0x44
	s_load_b256 s[4:11], s[0:1], 0x10
	s_add_co_i32 s21, s21, 1
	v_add_nc_u64_e32 v[2:3], s[16:17], v[0:1]
	s_and_b32 s20, ttmp6, 15
	s_mul_i32 s21, ttmp9, s21
	v_dual_mov_b32 v13, 12 :: v_dual_mov_b32 v5, v1
	s_add_co_i32 s20, s20, s21
	s_mov_b32 s19, 0
	s_delay_alu instid0(VALU_DEP_2)
	v_mul_u64_e32 v[6:7], s[14:15], v[2:3]
	v_dual_mov_b32 v0, 8 :: v_dual_mov_b32 v12, 4
	v_dual_mov_b32 v14, 16 :: v_dual_mov_b32 v15, 20
	;; [unrolled: 1-line block ×3, first 2 shown]
	s_wait_kmcnt 0x0
	s_and_b32 s2, s2, 0xffff
	s_cmp_eq_u32 s3, 0
	v_mad_u32_u24 v4, v11, s2, v10
	v_mov_b32_e32 v9, v1
	s_cselect_b32 s2, ttmp9, s20
	s_lshl_b32 s18, s18, 7
	v_lshl_add_u32 v8, s2, 6, v10
	v_and_b32_e32 v4, 31, v4
	s_mul_u64 s[22:23], s[14:15], s[18:19]
	s_lshl_b64 s[20:21], s[18:19], 2
	s_lshl_b64 s[22:23], s[22:23], 1
	v_lshlrev_b64_e32 v[18:19], 1, v[8:9]
	v_add_nc_u64_e32 v[2:3], v[2:3], v[4:5]
	v_cmp_gt_u32_e64 s2, 8, v4
	v_mov_b32_e32 v8, 0
	s_lshl_b64 s[14:15], s[14:15], 1
	v_lshlrev_b64_e32 v[4:5], 2, v[2:3]
	v_lshl_add_u64 v[6:7], v[6:7], 1, v[18:19]
	s_branch .LBB79_7
.LBB79_5:                               ;   in Loop: Header=BB79_7 Depth=1
	s_wait_xcnt 0x0
	s_or_b32 exec_lo, exec_lo, s25
.LBB79_6:                               ;   in Loop: Header=BB79_7 Depth=1
	s_delay_alu instid0(SALU_CYCLE_1)
	s_or_b32 exec_lo, exec_lo, s24
	v_add_nc_u64_e32 v[20:21], s[6:7], v[6:7]
	v_add_nc_u64_e32 v[22:23], s[4:5], v[6:7]
	s_wait_loadcnt 0x1
	ds_bpermute_b32 v43, v0, v19
	ds_bpermute_b32 v45, v13, v19
	s_wait_loadcnt 0x0
	ds_bpermute_b32 v42, v0, v18
	ds_bpermute_b32 v46, v14, v19
	;; [unrolled: 1-line block ×3, first 2 shown]
	v_add_nc_u64_e32 v[24:25], s[14:15], v[20:21]
	v_add_nc_u64_e32 v[26:27], s[14:15], v[22:23]
	global_load_u16 v28, v[20:21], off
	global_load_u16 v29, v[22:23], off
	ds_bpermute_b32 v47, v15, v18
	ds_bpermute_b32 v48, v16, v18
	s_add_nc_u64 s[16:17], s[16:17], s[18:19]
	s_wait_xcnt 0x1
	v_add_nc_u64_e32 v[20:21], s[14:15], v[24:25]
	s_wait_xcnt 0x0
	v_add_nc_u64_e32 v[22:23], s[14:15], v[26:27]
	global_load_u16 v30, v[24:25], off
	global_load_u16 v31, v[26:27], off
	v_cmp_lt_i64_e64 s24, s[16:17], s[12:13]
	v_add_nc_u64_e32 v[4:5], s[20:21], v[4:5]
	v_add_nc_u64_e32 v[2:3], s[18:19], v[2:3]
	;; [unrolled: 1-line block ×3, first 2 shown]
	s_wait_xcnt 0x1
	v_add_nc_u64_e32 v[24:25], s[14:15], v[20:21]
	s_wait_xcnt 0x0
	v_add_nc_u64_e32 v[26:27], s[14:15], v[22:23]
	global_load_u16 v32, v[20:21], off
	global_load_u16 v33, v[22:23], off
	s_and_b32 vcc_lo, exec_lo, s24
	global_load_u16 v34, v[24:25], off
	global_load_u16 v35, v[26:27], off
	s_wait_xcnt 0x3
	v_add_nc_u64_e32 v[20:21], s[14:15], v[24:25]
	s_wait_xcnt 0x2
	v_add_nc_u64_e32 v[22:23], s[14:15], v[26:27]
	s_wait_xcnt 0x1
	s_delay_alu instid0(VALU_DEP_2)
	v_add_nc_u64_e32 v[24:25], s[14:15], v[20:21]
	global_load_u16 v26, v[20:21], off
	s_wait_xcnt 0x0
	v_add_nc_u64_e32 v[20:21], s[14:15], v[22:23]
	global_load_u16 v27, v[22:23], off
	global_load_u16 v36, v[24:25], off
	;; [unrolled: 1-line block ×3, first 2 shown]
	s_wait_xcnt 0x2
	v_add_nc_u64_e32 v[22:23], s[14:15], v[24:25]
	global_load_u16 v38, v[22:23], off
	s_wait_xcnt 0x2
	v_add_nc_u64_e32 v[24:25], s[14:15], v[20:21]
	s_wait_xcnt 0x1
	v_add_nc_u64_e32 v[20:21], s[14:15], v[22:23]
	s_wait_xcnt 0x0
	s_delay_alu instid0(VALU_DEP_2)
	v_add_nc_u64_e32 v[22:23], s[14:15], v[24:25]
	global_load_u16 v39, v[24:25], off
	global_load_u16 v40, v[20:21], off
	;; [unrolled: 1-line block ×3, first 2 shown]
	s_wait_xcnt 0x1
	ds_bpermute_b32 v21, v1, v19
	s_wait_xcnt 0x0
	ds_bpermute_b32 v23, v12, v19
	ds_bpermute_b32 v24, v1, v18
	;; [unrolled: 1-line block ×3, first 2 shown]
	s_wait_loadcnt 0xf
	v_cvt_f32_f16_e32 v22, v28
	s_wait_loadcnt 0xe
	v_cvt_f32_f16_e32 v20, v29
	ds_bpermute_b32 v28, v14, v18
	s_wait_loadcnt 0xd
	v_cvt_f32_f16_e32 v29, v30
	s_wait_dscnt 0x4
	v_sub_f32_e32 v21, v22, v21
	ds_bpermute_b32 v30, v15, v19
	s_wait_loadcnt 0xc
	v_cvt_f32_f16_e32 v22, v31
	s_wait_dscnt 0x4
	v_sub_f32_e32 v23, v29, v23
	v_mul_f32_e32 v21, v21, v20
	ds_bpermute_b32 v29, v16, v19
	s_wait_loadcnt 0xb
	v_cvt_f32_f16_e32 v31, v32
	ds_bpermute_b32 v32, v17, v19
	s_wait_dscnt 0x5
	v_dual_mul_f32 v19, v23, v22 :: v_dual_mul_f32 v21, v21, v24
	s_wait_loadcnt 0xa
	v_cvt_f32_f16_e32 v24, v33
	v_sub_f32_e32 v31, v31, v43
	s_wait_loadcnt 0x9
	v_cvt_f32_f16_e32 v33, v34
	s_wait_dscnt 0x4
	v_mul_f32_e32 v23, v19, v25
	v_pk_add_f32 v[8:9], v[8:9], v[20:21]
	s_wait_loadcnt 0x8
	v_cvt_f32_f16_e32 v20, v35
	v_dual_mul_f32 v19, v31, v24 :: v_dual_sub_f32 v21, v33, v45
	s_wait_loadcnt 0x7
	v_cvt_f32_f16_e32 v26, v26
	s_delay_alu instid0(VALU_DEP_2)
	v_mul_f32_e32 v25, v19, v42
	v_pk_add_f32 v[8:9], v[8:9], v[22:23]
	s_wait_loadcnt 0x6
	v_cvt_f32_f16_e32 v22, v27
	v_dual_mul_f32 v19, v21, v20 :: v_dual_sub_f32 v23, v26, v46
	s_wait_loadcnt 0x5
	v_cvt_f32_f16_e32 v27, v36
	ds_bpermute_b32 v26, v17, v18
	v_pk_add_f32 v[8:9], v[8:9], v[24:25]
	s_wait_loadcnt 0x4
	v_cvt_f32_f16_e32 v18, v37
	s_wait_dscnt 0x3
	v_sub_f32_e32 v24, v27, v30
	v_mul_f32_e32 v21, v19, v44
	s_wait_loadcnt 0x3
	v_cvt_f32_f16_e32 v25, v38
	v_mul_f32_e32 v19, v23, v22
	s_delay_alu instid0(VALU_DEP_1)
	v_dual_mul_f32 v23, v19, v28 :: v_dual_mul_f32 v19, v24, v18
	v_pk_add_f32 v[8:9], v[8:9], v[20:21]
	s_wait_dscnt 0x2
	v_sub_f32_e32 v21, v25, v29
	s_wait_loadcnt 0x2
	v_cvt_f32_f16_e32 v20, v39
	s_wait_loadcnt 0x1
	v_cvt_f32_f16_e32 v24, v40
	v_mul_f32_e32 v19, v19, v47
	v_pk_add_f32 v[8:9], v[8:9], v[22:23]
	s_wait_loadcnt 0x0
	v_cvt_f32_f16_e32 v22, v41
	v_mul_f32_e32 v21, v21, v20
	s_wait_dscnt 0x1
	v_sub_f32_e32 v23, v24, v32
	v_pk_add_f32 v[8:9], v[8:9], v[18:19]
	s_delay_alu instid0(VALU_DEP_2) | instskip(NEXT) | instid1(VALU_DEP_1)
	v_dual_mul_f32 v21, v21, v48 :: v_dual_mul_f32 v18, v23, v22
	v_pk_add_f32 v[8:9], v[8:9], v[20:21]
	s_wait_dscnt 0x0
	s_delay_alu instid0(VALU_DEP_2) | instskip(NEXT) | instid1(VALU_DEP_1)
	v_mul_f32_e32 v23, v18, v26
	v_pk_add_f32 v[8:9], v[8:9], v[22:23]
	s_cbranch_vccz .LBB79_10
.LBB79_7:                               ; =>This Inner Loop Header: Depth=1
	v_dual_mov_b32 v18, 0 :: v_dual_mov_b32 v19, 0
	s_and_saveexec_b32 s24, s2
	s_cbranch_execz .LBB79_6
; %bb.8:                                ;   in Loop: Header=BB79_7 Depth=1
	v_dual_mov_b32 v19, 0 :: v_dual_mov_b32 v18, 0
	s_mov_b32 s25, exec_lo
	v_cmpx_gt_i64_e64 s[12:13], v[2:3]
	s_cbranch_execz .LBB79_5
; %bb.9:                                ;   in Loop: Header=BB79_7 Depth=1
	v_add_nc_u64_e32 v[20:21], s[8:9], v[4:5]
	v_add_nc_u64_e32 v[22:23], s[10:11], v[4:5]
	global_load_b32 v19, v[20:21], off
	global_load_b32 v18, v[22:23], off
	s_branch .LBB79_5
.LBB79_10:
	v_mov_b32_e32 v1, v11
.LBB79_11:
	s_load_b128 s[4:7], s[0:1], 0x30
	s_delay_alu instid0(VALU_DEP_1) | instskip(SKIP_2) | instid1(VALU_DEP_1)
	v_mad_u32_u24 v0, 0x41, v1, v10
	s_wait_xcnt 0x0
	s_mov_b32 s0, exec_lo
	v_lshl_add_u32 v2, v0, 2, 0
	v_sub_nc_u32_e32 v6, v0, v1
	ds_store_b32 v2, v9
	ds_store_b32 v2, v8 offset:4160
	s_wait_dscnt 0x0
	s_barrier_signal -1
	s_barrier_wait -1
	v_cmpx_gt_u32_e32 0x800, v6
	s_cbranch_execz .LBB79_27
; %bb.12:
	v_and_b32_e32 v1, 31, v10
	v_lshrrev_b32_e32 v0, 5, v6
                                        ; implicit-def: $vgpr2
	s_delay_alu instid0(VALU_DEP_2)
	v_cmp_gt_u32_e64 s0, 16, v1
	v_mul_u32_u24_e32 v7, 0x41, v1
	s_and_saveexec_b32 s1, s0
	s_cbranch_execz .LBB79_14
; %bb.13:
	s_delay_alu instid0(VALU_DEP_1) | instskip(NEXT) | instid1(VALU_DEP_1)
	v_add_nc_u32_e32 v1, v0, v7
	v_lshl_add_u32 v1, v1, 2, 0
	ds_load_b32 v3, v1
	ds_load_b32 v2, v1 offset:4160
.LBB79_14:
	s_or_b32 exec_lo, exec_lo, s1
	v_mbcnt_lo_u32_b32 v1, -1, 0
	s_bfe_u32 s1, ttmp6, 0x4000c
	s_and_b32 s2, ttmp6, 15
	s_add_co_i32 s1, s1, 1
	s_delay_alu instid0(SALU_CYCLE_1)
	s_mul_i32 s1, ttmp9, s1
	v_xor_b32_e32 v12, 1, v1
	v_xor_b32_e32 v11, 2, v1
	v_xor_b32_e32 v4, 8, v1
	s_add_co_i32 s2, s2, s1
	s_cmp_eq_u32 s3, 0
	s_mov_b32 s3, 0
	s_cselect_b32 s2, ttmp9, s2
	v_cmp_gt_i32_e32 vcc_lo, 32, v4
	s_lshl_b64 s[2:3], s[2:3], 6
	v_xor_b32_e32 v9, 4, v1
	s_wait_kmcnt 0x0
	s_cmp_lg_u64 s[4:5], 0
	v_cmp_eq_u32_e64 s1, 0, v10
	v_cndmask_b32_e32 v4, v1, v4, vcc_lo
	s_cselect_b32 s9, -1, 0
	v_cmp_gt_i32_e32 vcc_lo, 32, v9
	s_cmp_lg_u64 s[6:7], 0
	s_delay_alu instid0(VALU_DEP_2)
	v_lshlrev_b32_e32 v8, 2, v4
	s_cselect_b32 s8, -1, 0
	v_cndmask_b32_e32 v9, v1, v9, vcc_lo
	v_cmp_gt_i32_e32 vcc_lo, 32, v11
	s_wait_dscnt 0x1
	ds_bpermute_b32 v5, v8, v3
	s_wait_dscnt 0x1
	ds_bpermute_b32 v4, v8, v2
	v_dual_cndmask_b32 v11, v1, v11, vcc_lo :: v_dual_lshlrev_b32 v9, 2, v9
	v_cmp_gt_i32_e32 vcc_lo, 32, v12
	s_delay_alu instid0(VALU_DEP_2) | instskip(NEXT) | instid1(VALU_DEP_1)
	v_dual_lshlrev_b32 v11, 2, v11 :: v_dual_cndmask_b32 v1, v1, v12, vcc_lo
	v_dual_mov_b32 v1, 0 :: v_dual_lshlrev_b32 v12, 2, v1
	s_wait_dscnt 0x0
	v_pk_add_f32 v[2:3], v[2:3], v[4:5]
	ds_bpermute_b32 v5, v9, v3
	ds_bpermute_b32 v4, v9, v2
	s_wait_dscnt 0x0
	v_pk_add_f32 v[2:3], v[2:3], v[4:5]
	ds_bpermute_b32 v5, v11, v3
	ds_bpermute_b32 v4, v11, v2
	s_wait_dscnt 0x0
	v_pk_add_f32 v[2:3], v[2:3], v[4:5]
	ds_bpermute_b32 v5, v12, v3
	ds_bpermute_b32 v4, v12, v2
	s_wait_dscnt 0x0
	v_pk_add_f32 v[2:3], v[2:3], v[4:5]
	s_and_saveexec_b32 s10, s1
	s_cbranch_execz .LBB79_19
; %bb.15:
	v_dual_mov_b32 v5, s3 :: v_dual_bitop2_b32 v4, s2, v0 bitop3:0x54
	s_and_not1_b32 vcc_lo, exec_lo, s9
	s_cbranch_vccnz .LBB79_17
; %bb.16:
	s_delay_alu instid0(VALU_DEP_1)
	v_lshl_add_u64 v[14:15], v[4:5], 1, s[4:5]
	v_cvt_f16_f32_e32 v10, v3
	global_store_b16 v[14:15], v10, off
.LBB79_17:
	s_and_not1_b32 vcc_lo, exec_lo, s8
	s_cbranch_vccnz .LBB79_19
; %bb.18:
	v_lshl_add_u64 v[4:5], v[4:5], 1, s[6:7]
	s_wait_xcnt 0x0
	v_cvt_f16_f32_e32 v10, v2
	global_store_b16 v[4:5], v10, off
.LBB79_19:
	s_wait_xcnt 0x0
	s_or_b32 exec_lo, exec_lo, s10
	v_cmp_gt_u32_e32 vcc_lo, 0x400, v6
	s_and_b32 exec_lo, exec_lo, vcc_lo
	s_cbranch_execz .LBB79_27
; %bb.20:
	s_and_saveexec_b32 s10, s0
	s_cbranch_execz .LBB79_22
; %bb.21:
	v_add_nc_u32_e32 v2, v0, v7
	s_delay_alu instid0(VALU_DEP_1)
	v_lshl_add_u32 v2, v2, 2, 0
	ds_load_b32 v3, v2 offset:128
	ds_load_b32 v2, v2 offset:4288
.LBB79_22:
	s_or_b32 exec_lo, exec_lo, s10
	s_wait_dscnt 0x1
	ds_bpermute_b32 v4, v8, v3
	s_wait_dscnt 0x1
	ds_bpermute_b32 v5, v8, v2
	s_wait_dscnt 0x0
	v_dual_add_f32 v3, v3, v4 :: v_dual_add_f32 v2, v2, v5
	ds_bpermute_b32 v4, v9, v3
	ds_bpermute_b32 v5, v9, v2
	s_wait_dscnt 0x0
	v_dual_add_f32 v3, v3, v4 :: v_dual_add_f32 v2, v2, v5
	ds_bpermute_b32 v4, v11, v3
	;; [unrolled: 4-line block ×3, first 2 shown]
	ds_bpermute_b32 v3, v12, v2
	s_and_b32 exec_lo, exec_lo, s1
	s_cbranch_execz .LBB79_27
; %bb.23:
	v_add_nc_u64_e32 v[0:1], s[2:3], v[0:1]
	s_and_not1_b32 vcc_lo, exec_lo, s9
	s_cbranch_vccnz .LBB79_25
; %bb.24:
	s_wait_dscnt 0x1
	v_add_f32_e32 v6, v4, v5
	s_delay_alu instid0(VALU_DEP_2) | instskip(NEXT) | instid1(VALU_DEP_2)
	v_lshl_add_u64 v[4:5], v[0:1], 1, s[4:5]
	v_cvt_f16_f32_e32 v6, v6
	global_store_b16 v[4:5], v6, off offset:64
.LBB79_25:
	s_and_not1_b32 vcc_lo, exec_lo, s8
	s_cbranch_vccnz .LBB79_27
; %bb.26:
	s_wait_dscnt 0x0
	v_add_f32_e32 v2, v2, v3
	v_lshl_add_u64 v[0:1], v[0:1], 1, s[6:7]
	s_delay_alu instid0(VALU_DEP_2)
	v_cvt_f16_f32_e32 v2, v2
	global_store_b16 v[0:1], v2, off offset:64
.LBB79_27:
	s_endpgm
	.section	.rodata,"a",@progbits
	.p2align	6, 0x0
	.amdhsa_kernel _ZN2at6native12_GLOBAL__N_135GammaBetaBackwardCUDAKernelTemplateIN3c104HalfEfLj64ELj16ELj128ELb0ELb1ELb0EEEvllPKT_S7_PKT0_SA_PS5_SB_
		.amdhsa_group_segment_fixed_size 0
		.amdhsa_private_segment_fixed_size 0
		.amdhsa_kernarg_size 320
		.amdhsa_user_sgpr_count 2
		.amdhsa_user_sgpr_dispatch_ptr 0
		.amdhsa_user_sgpr_queue_ptr 0
		.amdhsa_user_sgpr_kernarg_segment_ptr 1
		.amdhsa_user_sgpr_dispatch_id 0
		.amdhsa_user_sgpr_kernarg_preload_length 0
		.amdhsa_user_sgpr_kernarg_preload_offset 0
		.amdhsa_user_sgpr_private_segment_size 0
		.amdhsa_wavefront_size32 1
		.amdhsa_uses_dynamic_stack 0
		.amdhsa_enable_private_segment 0
		.amdhsa_system_sgpr_workgroup_id_x 1
		.amdhsa_system_sgpr_workgroup_id_y 1
		.amdhsa_system_sgpr_workgroup_id_z 0
		.amdhsa_system_sgpr_workgroup_info 0
		.amdhsa_system_vgpr_workitem_id 1
		.amdhsa_next_free_vgpr 49
		.amdhsa_next_free_sgpr 26
		.amdhsa_named_barrier_count 0
		.amdhsa_reserve_vcc 1
		.amdhsa_float_round_mode_32 0
		.amdhsa_float_round_mode_16_64 0
		.amdhsa_float_denorm_mode_32 3
		.amdhsa_float_denorm_mode_16_64 3
		.amdhsa_fp16_overflow 0
		.amdhsa_memory_ordered 1
		.amdhsa_forward_progress 1
		.amdhsa_inst_pref_size 17
		.amdhsa_round_robin_scheduling 0
		.amdhsa_exception_fp_ieee_invalid_op 0
		.amdhsa_exception_fp_denorm_src 0
		.amdhsa_exception_fp_ieee_div_zero 0
		.amdhsa_exception_fp_ieee_overflow 0
		.amdhsa_exception_fp_ieee_underflow 0
		.amdhsa_exception_fp_ieee_inexact 0
		.amdhsa_exception_int_div_zero 0
	.end_amdhsa_kernel
	.section	.text._ZN2at6native12_GLOBAL__N_135GammaBetaBackwardCUDAKernelTemplateIN3c104HalfEfLj64ELj16ELj128ELb0ELb1ELb0EEEvllPKT_S7_PKT0_SA_PS5_SB_,"axG",@progbits,_ZN2at6native12_GLOBAL__N_135GammaBetaBackwardCUDAKernelTemplateIN3c104HalfEfLj64ELj16ELj128ELb0ELb1ELb0EEEvllPKT_S7_PKT0_SA_PS5_SB_,comdat
.Lfunc_end79:
	.size	_ZN2at6native12_GLOBAL__N_135GammaBetaBackwardCUDAKernelTemplateIN3c104HalfEfLj64ELj16ELj128ELb0ELb1ELb0EEEvllPKT_S7_PKT0_SA_PS5_SB_, .Lfunc_end79-_ZN2at6native12_GLOBAL__N_135GammaBetaBackwardCUDAKernelTemplateIN3c104HalfEfLj64ELj16ELj128ELb0ELb1ELb0EEEvllPKT_S7_PKT0_SA_PS5_SB_
                                        ; -- End function
	.set _ZN2at6native12_GLOBAL__N_135GammaBetaBackwardCUDAKernelTemplateIN3c104HalfEfLj64ELj16ELj128ELb0ELb1ELb0EEEvllPKT_S7_PKT0_SA_PS5_SB_.num_vgpr, 49
	.set _ZN2at6native12_GLOBAL__N_135GammaBetaBackwardCUDAKernelTemplateIN3c104HalfEfLj64ELj16ELj128ELb0ELb1ELb0EEEvllPKT_S7_PKT0_SA_PS5_SB_.num_agpr, 0
	.set _ZN2at6native12_GLOBAL__N_135GammaBetaBackwardCUDAKernelTemplateIN3c104HalfEfLj64ELj16ELj128ELb0ELb1ELb0EEEvllPKT_S7_PKT0_SA_PS5_SB_.numbered_sgpr, 26
	.set _ZN2at6native12_GLOBAL__N_135GammaBetaBackwardCUDAKernelTemplateIN3c104HalfEfLj64ELj16ELj128ELb0ELb1ELb0EEEvllPKT_S7_PKT0_SA_PS5_SB_.num_named_barrier, 0
	.set _ZN2at6native12_GLOBAL__N_135GammaBetaBackwardCUDAKernelTemplateIN3c104HalfEfLj64ELj16ELj128ELb0ELb1ELb0EEEvllPKT_S7_PKT0_SA_PS5_SB_.private_seg_size, 0
	.set _ZN2at6native12_GLOBAL__N_135GammaBetaBackwardCUDAKernelTemplateIN3c104HalfEfLj64ELj16ELj128ELb0ELb1ELb0EEEvllPKT_S7_PKT0_SA_PS5_SB_.uses_vcc, 1
	.set _ZN2at6native12_GLOBAL__N_135GammaBetaBackwardCUDAKernelTemplateIN3c104HalfEfLj64ELj16ELj128ELb0ELb1ELb0EEEvllPKT_S7_PKT0_SA_PS5_SB_.uses_flat_scratch, 0
	.set _ZN2at6native12_GLOBAL__N_135GammaBetaBackwardCUDAKernelTemplateIN3c104HalfEfLj64ELj16ELj128ELb0ELb1ELb0EEEvllPKT_S7_PKT0_SA_PS5_SB_.has_dyn_sized_stack, 0
	.set _ZN2at6native12_GLOBAL__N_135GammaBetaBackwardCUDAKernelTemplateIN3c104HalfEfLj64ELj16ELj128ELb0ELb1ELb0EEEvllPKT_S7_PKT0_SA_PS5_SB_.has_recursion, 0
	.set _ZN2at6native12_GLOBAL__N_135GammaBetaBackwardCUDAKernelTemplateIN3c104HalfEfLj64ELj16ELj128ELb0ELb1ELb0EEEvllPKT_S7_PKT0_SA_PS5_SB_.has_indirect_call, 0
	.section	.AMDGPU.csdata,"",@progbits
; Kernel info:
; codeLenInByte = 2104
; TotalNumSgprs: 28
; NumVgprs: 49
; ScratchSize: 0
; MemoryBound: 0
; FloatMode: 240
; IeeeMode: 1
; LDSByteSize: 0 bytes/workgroup (compile time only)
; SGPRBlocks: 0
; VGPRBlocks: 3
; NumSGPRsForWavesPerEU: 28
; NumVGPRsForWavesPerEU: 49
; NamedBarCnt: 0
; Occupancy: 16
; WaveLimiterHint : 0
; COMPUTE_PGM_RSRC2:SCRATCH_EN: 0
; COMPUTE_PGM_RSRC2:USER_SGPR: 2
; COMPUTE_PGM_RSRC2:TRAP_HANDLER: 0
; COMPUTE_PGM_RSRC2:TGID_X_EN: 1
; COMPUTE_PGM_RSRC2:TGID_Y_EN: 1
; COMPUTE_PGM_RSRC2:TGID_Z_EN: 0
; COMPUTE_PGM_RSRC2:TIDIG_COMP_CNT: 1
	.section	.text._ZN2at6native12_GLOBAL__N_135GammaBetaBackwardCUDAKernelTemplateIN3c104HalfEfLj64ELj16ELj128ELb0ELb0ELb0EEEvllPKT_S7_PKT0_SA_PS5_SB_,"axG",@progbits,_ZN2at6native12_GLOBAL__N_135GammaBetaBackwardCUDAKernelTemplateIN3c104HalfEfLj64ELj16ELj128ELb0ELb0ELb0EEEvllPKT_S7_PKT0_SA_PS5_SB_,comdat
	.globl	_ZN2at6native12_GLOBAL__N_135GammaBetaBackwardCUDAKernelTemplateIN3c104HalfEfLj64ELj16ELj128ELb0ELb0ELb0EEEvllPKT_S7_PKT0_SA_PS5_SB_ ; -- Begin function _ZN2at6native12_GLOBAL__N_135GammaBetaBackwardCUDAKernelTemplateIN3c104HalfEfLj64ELj16ELj128ELb0ELb0ELb0EEEvllPKT_S7_PKT0_SA_PS5_SB_
	.p2align	8
	.type	_ZN2at6native12_GLOBAL__N_135GammaBetaBackwardCUDAKernelTemplateIN3c104HalfEfLj64ELj16ELj128ELb0ELb0ELb0EEEvllPKT_S7_PKT0_SA_PS5_SB_,@function
_ZN2at6native12_GLOBAL__N_135GammaBetaBackwardCUDAKernelTemplateIN3c104HalfEfLj64ELj16ELj128ELb0ELb0ELb0EEEvllPKT_S7_PKT0_SA_PS5_SB_: ; @_ZN2at6native12_GLOBAL__N_135GammaBetaBackwardCUDAKernelTemplateIN3c104HalfEfLj64ELj16ELj128ELb0ELb0ELb0EEEvllPKT_S7_PKT0_SA_PS5_SB_
; %bb.0:
	s_load_b256 s[4:11], s[0:1], 0x0
	s_bfe_u32 s3, ttmp6, 0x4000c
	s_bfe_u32 s12, ttmp6, 0x40010
	s_add_co_i32 s3, s3, 1
	s_add_co_i32 s12, s12, 1
	s_and_b32 s2, ttmp6, 15
	s_bfe_u32 s13, ttmp6, 0x40004
	s_mul_i32 s3, ttmp9, s3
	s_mul_i32 s12, ttmp7, s12
	s_getreg_b32 s14, hwreg(HW_REG_IB_STS2, 6, 4)
	s_add_co_i32 s2, s2, s3
	s_add_co_i32 s3, s13, s12
	s_cmp_eq_u32 s14, 0
	s_mov_b32 s19, 0
	s_cselect_b32 s16, ttmp9, s2
	s_cselect_b32 s2, ttmp7, s3
	s_lshl_b32 s3, s16, 6
	s_load_b128 s[12:15], s[0:1], 0x20
	s_or_b32 s18, s3, 63
	s_wait_kmcnt 0x0
	v_cmp_le_i64_e64 s20, s[6:7], s[18:19]
	s_lshl_b32 s18, s2, 7
	s_delay_alu instid0(SALU_CYCLE_1) | instskip(SKIP_2) | instid1(VALU_DEP_1)
	v_cmp_gt_i64_e64 s17, s[4:5], s[18:19]
	s_and_b32 vcc_lo, exec_lo, s20
	v_cndmask_b32_e64 v1, 0, 1, s17
	v_cmp_ne_u32_e64 s2, 1, v1
	s_cbranch_vccz .LBB80_48
; %bb.1:
	v_mov_b32_e32 v33, 0
	s_and_b32 vcc_lo, exec_lo, s2
	s_delay_alu instid0(VALU_DEP_1)
	v_mov_b32_e32 v32, v33
	s_cbranch_vccnz .LBB80_49
; %bb.2:
	v_bfe_u32 v1, v0, 10, 10
	v_mov_b32_e32 v2, 0
	v_and_b32_e32 v62, 0x3ff, v0
	s_load_b32 s20, s[0:1], 0x44
	s_mov_b32 s21, 0
	s_delay_alu instid0(VALU_DEP_2) | instskip(NEXT) | instid1(VALU_DEP_2)
	v_dual_mov_b32 v21, v2 :: v_dual_lshlrev_b32 v20, 3, v1
	v_dual_mov_b32 v19, v2 :: v_dual_add_nc_u32 v18, s3, v62
	v_mov_b32_e32 v32, 0
	s_mov_b32 s37, s21
	s_delay_alu instid0(VALU_DEP_3)
	v_add_nc_u64_e32 v[4:5], s[18:19], v[20:21]
	v_mov_b32_e32 v33, v2
	v_cmp_gt_i64_e64 s2, s[6:7], v[18:19]
	v_lshlrev_b64_e32 v[22:23], 1, v[18:19]
	s_add_nc_u64 s[22:23], s[0:1], 64
	s_mov_b64 s[24:25], 0xffffffffffffff81
	s_mov_b64 s[26:27], 0xffffffffffffff82
	v_mul_u64_e32 v[6:7], s[6:7], v[4:5]
	v_add_nc_u64_e32 v[8:9], 7, v[4:5]
	v_add_nc_u64_e32 v[10:11], 6, v[4:5]
	;; [unrolled: 1-line block ×6, first 2 shown]
	s_wait_kmcnt 0x0
	s_lshl_b32 s36, s20, 7
	v_mul_u64_e32 v[8:9], s[6:7], v[8:9]
	v_mul_u64_e32 v[10:11], s[6:7], v[10:11]
	;; [unrolled: 1-line block ×6, first 2 shown]
	s_mul_u64 s[44:45], s[6:7], s[36:37]
	s_mov_b64 s[28:29], 0xffffffffffffff83
	s_mov_b64 s[30:31], 0xffffffffffffff84
	;; [unrolled: 1-line block ×6, first 2 shown]
	s_lshl_b64 s[44:45], s[44:45], 1
	s_add_nc_u64 s[46:47], s[18:19], 0x7f
	s_mov_b64 s[48:49], s[18:19]
	v_lshlrev_b64_e32 v[26:27], 1, v[6:7]
	v_add_nc_u64_e32 v[6:7], s[6:7], v[6:7]
	s_delay_alu instid0(VALU_DEP_2)
	v_add_nc_u64_e32 v[24:25], s[8:9], v[26:27]
	v_lshlrev_b64_e32 v[8:9], 1, v[8:9]
	v_lshlrev_b64_e32 v[10:11], 1, v[10:11]
	;; [unrolled: 1-line block ×7, first 2 shown]
	v_add_nc_u64_e32 v[26:27], s[10:11], v[26:27]
	v_add_nc_u64_e32 v[28:29], s[8:9], v[8:9]
	;; [unrolled: 1-line block ×15, first 2 shown]
	s_branch .LBB80_5
.LBB80_3:                               ;   in Loop: Header=BB80_5 Depth=1
	s_or_b32 exec_lo, exec_lo, s20
	s_wait_loadcnt 0x1
	ds_bpermute_b32 v3, v2, v60
	ds_bpermute_b32 v59, v2, v60 offset:4
	ds_bpermute_b32 v63, v2, v60 offset:8
	s_wait_loadcnt 0x0
	ds_bpermute_b32 v64, v2, v61
	ds_bpermute_b32 v65, v2, v60 offset:12
	ds_bpermute_b32 v66, v2, v61 offset:4
	;; [unrolled: 1-line block ×9, first 2 shown]
	s_wait_dscnt 0xc
	v_dual_mov_b32 v58, v5 :: v_dual_sub_f32 v3, v12, v3
	s_wait_dscnt 0xb
	v_dual_mov_b32 v12, v4 :: v_dual_sub_f32 v13, v13, v59
	s_wait_dscnt 0xa
	v_sub_f32_e32 v59, v14, v63
	v_dual_mul_f32 v3, v4, v3 :: v_dual_mov_b32 v4, v6
	s_delay_alu instid0(VALU_DEP_3) | instskip(SKIP_1) | instid1(VALU_DEP_2)
	v_dual_mul_f32 v5, v5, v13 :: v_dual_mov_b32 v14, v7
	s_wait_dscnt 0x9
	v_dual_mul_f32 v6, v6, v59 :: v_dual_mul_f32 v13, v3, v64
	s_wait_dscnt 0x7
	s_delay_alu instid0(VALU_DEP_2) | instskip(SKIP_1) | instid1(VALU_DEP_2)
	v_dual_sub_f32 v3, v15, v65 :: v_dual_mul_f32 v59, v5, v66
	s_wait_dscnt 0x6
	v_mul_f32_e32 v5, v6, v67
	v_pk_add_f32 v[12:13], v[32:33], v[12:13]
	ds_bpermute_b32 v32, v2, v61 offset:24
	s_wait_dscnt 0x6
	v_dual_sub_f32 v15, v16, v69 :: v_dual_mul_f32 v3, v7, v3
	v_pk_add_f32 v[6:7], v[58:59], v[12:13]
	s_wait_dscnt 0x4
	v_dual_mov_b32 v12, v8 :: v_dual_sub_f32 v13, v17, v72
	s_delay_alu instid0(VALU_DEP_3) | instskip(NEXT) | instid1(VALU_DEP_3)
	v_dual_mul_f32 v8, v8, v15 :: v_dual_mul_f32 v15, v3, v68
	v_pk_add_f32 v[4:5], v[4:5], v[6:7]
	ds_bpermute_b32 v3, v2, v61 offset:28
	s_wait_dscnt 0x3
	v_sub_f32_e32 v16, v18, v73
	v_dual_mul_f32 v17, v9, v13 :: v_dual_mul_f32 v13, v8, v70
	v_pk_add_f32 v[6:7], v[14:15], v[4:5]
	ds_bpermute_b32 v4, v2, v60 offset:28
	v_dual_mov_b32 v8, v9 :: v_dual_mul_f32 v5, v10, v16
	s_wait_dscnt 0x3
	v_mul_f32_e32 v9, v17, v71
	v_pk_add_f32 v[6:7], v[12:13], v[6:7]
	s_wait_dscnt 0x2
	v_dual_mov_b32 v12, v10 :: v_dual_mul_f32 v13, v5, v32
	s_delay_alu instid0(VALU_DEP_2) | instskip(NEXT) | instid1(VALU_DEP_1)
	v_pk_add_f32 v[6:7], v[8:9], v[6:7]
	v_pk_add_f32 v[60:61], v[12:13], v[6:7]
.LBB80_4:                               ;   in Loop: Header=BB80_5 Depth=1
	s_wait_dscnt 0x0
	v_sub_f32_e32 v5, v19, v4
	v_mov_b32_e32 v4, v11
	s_add_nc_u64 s[48:49], s[48:49], s[36:37]
	v_add_nc_u64_e32 v[24:25], s[44:45], v[24:25]
	v_cmp_lt_i64_e64 s20, s[48:49], s[4:5]
	v_mul_f32_e32 v5, v11, v5
	v_add_nc_u64_e32 v[26:27], s[44:45], v[26:27]
	v_add_nc_u64_e32 v[28:29], s[44:45], v[28:29]
	v_add_nc_u64_e32 v[30:31], s[44:45], v[30:31]
	v_add_nc_u64_e32 v[34:35], s[44:45], v[34:35]
	v_mul_f32_e32 v5, v5, v3
	v_add_nc_u64_e32 v[36:37], s[44:45], v[36:37]
	v_add_nc_u64_e32 v[38:39], s[44:45], v[38:39]
	v_add_nc_u64_e32 v[40:41], s[44:45], v[40:41]
	v_add_nc_u64_e32 v[42:43], s[44:45], v[42:43]
	v_add_nc_u64_e32 v[44:45], s[44:45], v[44:45]
	v_add_nc_u64_e32 v[46:47], s[44:45], v[46:47]
	v_add_nc_u64_e32 v[48:49], s[44:45], v[48:49]
	v_add_nc_u64_e32 v[50:51], s[44:45], v[50:51]
	v_add_nc_u64_e32 v[52:53], s[44:45], v[52:53]
	v_add_nc_u64_e32 v[54:55], s[44:45], v[54:55]
	v_add_nc_u64_e32 v[56:57], s[44:45], v[56:57]
	v_pk_add_f32 v[32:33], v[60:61], v[4:5]
	s_and_b32 vcc_lo, exec_lo, s20
	s_add_nc_u64 s[46:47], s[46:47], s[36:37]
	s_cbranch_vccz .LBB80_49
.LBB80_5:                               ; =>This Inner Loop Header: Depth=1
	v_cmp_ge_i64_e64 s20, s[46:47], s[4:5]
	v_add_nc_u64_e32 v[58:59], s[46:47], v[20:21]
                                        ; implicit-def: $vgpr4_vgpr5_vgpr6_vgpr7_vgpr8_vgpr9_vgpr10_vgpr11
                                        ; implicit-def: $vgpr60_vgpr61
                                        ; implicit-def: $vgpr3
                                        ; implicit-def: $vgpr12_vgpr13_vgpr14_vgpr15_vgpr16_vgpr17_vgpr18_vgpr19
                                        ; implicit-def: $vgpr4
	s_and_b32 vcc_lo, exec_lo, s20
	s_mov_b32 s20, -1
	s_cbranch_vccz .LBB80_27
; %bb.6:                                ;   in Loop: Header=BB80_5 Depth=1
	s_load_b32 s20, s[22:23], 0xc
	v_dual_mov_b32 v60, 0 :: v_dual_mov_b32 v61, 0
	s_wait_kmcnt 0x0
	s_and_b32 s20, s20, 0xffff
	s_delay_alu instid0(SALU_CYCLE_1) | instskip(SKIP_1) | instid1(VALU_DEP_1)
	v_mad_u32_u24 v3, v1, s20, v62
	s_mov_b32 s20, exec_lo
	v_and_b32_e32 v4, 31, v3
	s_delay_alu instid0(VALU_DEP_1)
	v_cmpx_gt_u32_e32 8, v4
	s_cbranch_execz .LBB80_10
; %bb.7:                                ;   in Loop: Header=BB80_5 Depth=1
	v_dual_mov_b32 v5, v2 :: v_dual_mov_b32 v60, 0
	v_mov_b32_e32 v61, 0
	s_mov_b32 s33, exec_lo
	s_delay_alu instid0(VALU_DEP_2) | instskip(NEXT) | instid1(VALU_DEP_1)
	v_add_nc_u64_e32 v[4:5], v[58:59], v[4:5]
	v_add_nc_u64_e32 v[4:5], s[24:25], v[4:5]
	s_delay_alu instid0(VALU_DEP_1)
	v_cmpx_gt_i64_e64 s[4:5], v[4:5]
	s_cbranch_execz .LBB80_9
; %bb.8:                                ;   in Loop: Header=BB80_5 Depth=1
	v_lshlrev_b64_e32 v[4:5], 2, v[4:5]
	s_delay_alu instid0(VALU_DEP_1)
	v_add_nc_u64_e32 v[6:7], s[12:13], v[4:5]
	v_add_nc_u64_e32 v[4:5], s[14:15], v[4:5]
	global_load_b32 v60, v[6:7], off
	global_load_b32 v61, v[4:5], off
.LBB80_9:                               ;   in Loop: Header=BB80_5 Depth=1
	s_wait_xcnt 0x0
	s_or_b32 exec_lo, exec_lo, s33
.LBB80_10:                              ;   in Loop: Header=BB80_5 Depth=1
	s_delay_alu instid0(SALU_CYCLE_1)
	s_or_b32 exec_lo, exec_lo, s20
	v_add_nc_u64_e32 v[10:11], s[24:25], v[58:59]
	v_dual_mov_b32 v7, v2 :: v_dual_mov_b32 v8, v2
	v_dual_mov_b32 v9, v2 :: v_dual_mov_b32 v3, v2
	;; [unrolled: 1-line block ×3, first 2 shown]
	v_mov_b32_e32 v6, v2
	v_cmp_gt_i64_e32 vcc_lo, s[4:5], v[10:11]
	s_delay_alu instid0(VALU_DEP_4)
	v_mov_b64_e32 v[18:19], v[8:9]
	v_mov_b64_e32 v[12:13], v[2:3]
	;; [unrolled: 1-line block ×8, first 2 shown]
	s_and_b32 s33, s2, vcc_lo
	s_delay_alu instid0(SALU_CYCLE_1)
	s_and_saveexec_b32 s20, s33
	s_cbranch_execz .LBB80_12
; %bb.11:                               ;   in Loop: Header=BB80_5 Depth=1
	v_add_nc_u64_e32 v[4:5], v[24:25], v[22:23]
	v_add_nc_u64_e32 v[6:7], v[26:27], v[22:23]
	v_dual_mov_b32 v9, v2 :: v_dual_mov_b32 v10, v2
	v_dual_mov_b32 v11, v2 :: v_dual_mov_b32 v13, v2
	v_dual_mov_b32 v14, v2 :: v_dual_mov_b32 v15, v2
	global_load_u16 v3, v[4:5], off
	global_load_u16 v12, v[6:7], off
	s_wait_xcnt 0x0
	v_dual_mov_b32 v5, v2 :: v_dual_mov_b32 v6, v2
	v_dual_mov_b32 v7, v2 :: v_dual_mov_b32 v8, v2
	;; [unrolled: 1-line block ×4, first 2 shown]
	s_wait_loadcnt 0x1
	v_cvt_f32_f16_e32 v4, v3
	s_wait_loadcnt 0x0
	v_cvt_f32_f16_e32 v12, v12
.LBB80_12:                              ;   in Loop: Header=BB80_5 Depth=1
	s_or_b32 exec_lo, exec_lo, s20
	v_add_nc_u64_e32 v[64:65], s[26:27], v[58:59]
	s_delay_alu instid0(VALU_DEP_1) | instskip(SKIP_1) | instid1(SALU_CYCLE_1)
	v_cmp_gt_i64_e32 vcc_lo, s[4:5], v[64:65]
	s_and_b32 s33, s2, vcc_lo
	s_and_saveexec_b32 s20, s33
	s_cbranch_execz .LBB80_14
; %bb.13:                               ;   in Loop: Header=BB80_5 Depth=1
	v_add_nc_u64_e32 v[64:65], v[54:55], v[22:23]
	v_add_nc_u64_e32 v[66:67], v[56:57], v[22:23]
	global_load_u16 v3, v[64:65], off
	global_load_u16 v13, v[66:67], off
	s_wait_loadcnt 0x1
	v_cvt_f32_f16_e32 v5, v3
	s_wait_loadcnt 0x0
	v_cvt_f32_f16_e32 v13, v13
.LBB80_14:                              ;   in Loop: Header=BB80_5 Depth=1
	s_or_b32 exec_lo, exec_lo, s20
	v_add_nc_u64_e32 v[64:65], s[28:29], v[58:59]
	s_delay_alu instid0(VALU_DEP_1) | instskip(SKIP_1) | instid1(SALU_CYCLE_1)
	v_cmp_gt_i64_e32 vcc_lo, s[4:5], v[64:65]
	s_and_b32 s33, s2, vcc_lo
	s_and_saveexec_b32 s20, s33
	s_cbranch_execz .LBB80_16
; %bb.15:                               ;   in Loop: Header=BB80_5 Depth=1
	v_add_nc_u64_e32 v[64:65], v[50:51], v[22:23]
	v_add_nc_u64_e32 v[66:67], v[52:53], v[22:23]
	global_load_u16 v3, v[64:65], off
	global_load_u16 v14, v[66:67], off
	s_wait_loadcnt 0x1
	v_cvt_f32_f16_e32 v6, v3
	s_wait_loadcnt 0x0
	v_cvt_f32_f16_e32 v14, v14
.LBB80_16:                              ;   in Loop: Header=BB80_5 Depth=1
	s_or_b32 exec_lo, exec_lo, s20
	v_add_nc_u64_e32 v[64:65], s[30:31], v[58:59]
	s_delay_alu instid0(VALU_DEP_1) | instskip(SKIP_1) | instid1(SALU_CYCLE_1)
	v_cmp_gt_i64_e32 vcc_lo, s[4:5], v[64:65]
	s_and_b32 s33, s2, vcc_lo
	s_and_saveexec_b32 s20, s33
	s_cbranch_execz .LBB80_18
; %bb.17:                               ;   in Loop: Header=BB80_5 Depth=1
	v_add_nc_u64_e32 v[64:65], v[46:47], v[22:23]
	v_add_nc_u64_e32 v[66:67], v[48:49], v[22:23]
	global_load_u16 v3, v[64:65], off
	global_load_u16 v15, v[66:67], off
	s_wait_loadcnt 0x1
	v_cvt_f32_f16_e32 v7, v3
	s_wait_loadcnt 0x0
	v_cvt_f32_f16_e32 v15, v15
.LBB80_18:                              ;   in Loop: Header=BB80_5 Depth=1
	s_or_b32 exec_lo, exec_lo, s20
	v_add_nc_u64_e32 v[64:65], s[34:35], v[58:59]
	s_delay_alu instid0(VALU_DEP_1) | instskip(SKIP_1) | instid1(SALU_CYCLE_1)
	v_cmp_gt_i64_e32 vcc_lo, s[4:5], v[64:65]
	s_and_b32 s33, s2, vcc_lo
	s_and_saveexec_b32 s20, s33
	s_cbranch_execz .LBB80_20
; %bb.19:                               ;   in Loop: Header=BB80_5 Depth=1
	v_add_nc_u64_e32 v[64:65], v[42:43], v[22:23]
	v_add_nc_u64_e32 v[66:67], v[44:45], v[22:23]
	global_load_u16 v3, v[64:65], off
	global_load_u16 v16, v[66:67], off
	s_wait_loadcnt 0x1
	v_cvt_f32_f16_e32 v8, v3
	s_wait_loadcnt 0x0
	v_cvt_f32_f16_e32 v16, v16
.LBB80_20:                              ;   in Loop: Header=BB80_5 Depth=1
	s_or_b32 exec_lo, exec_lo, s20
	v_add_nc_u64_e32 v[64:65], s[38:39], v[58:59]
	s_delay_alu instid0(VALU_DEP_1) | instskip(SKIP_1) | instid1(SALU_CYCLE_1)
	v_cmp_gt_i64_e32 vcc_lo, s[4:5], v[64:65]
	s_and_b32 s33, s2, vcc_lo
	s_and_saveexec_b32 s20, s33
	s_cbranch_execz .LBB80_22
; %bb.21:                               ;   in Loop: Header=BB80_5 Depth=1
	v_add_nc_u64_e32 v[64:65], v[38:39], v[22:23]
	v_add_nc_u64_e32 v[66:67], v[40:41], v[22:23]
	global_load_u16 v3, v[64:65], off
	global_load_u16 v17, v[66:67], off
	s_wait_loadcnt 0x1
	v_cvt_f32_f16_e32 v9, v3
	s_wait_loadcnt 0x0
	v_cvt_f32_f16_e32 v17, v17
.LBB80_22:                              ;   in Loop: Header=BB80_5 Depth=1
	s_or_b32 exec_lo, exec_lo, s20
	v_add_nc_u64_e32 v[64:65], s[40:41], v[58:59]
	s_delay_alu instid0(VALU_DEP_1) | instskip(SKIP_1) | instid1(SALU_CYCLE_1)
	v_cmp_gt_i64_e32 vcc_lo, s[4:5], v[64:65]
	s_and_b32 s33, s2, vcc_lo
	s_and_saveexec_b32 s20, s33
	s_cbranch_execz .LBB80_24
; %bb.23:                               ;   in Loop: Header=BB80_5 Depth=1
	v_add_nc_u64_e32 v[64:65], v[34:35], v[22:23]
	v_add_nc_u64_e32 v[66:67], v[36:37], v[22:23]
	global_load_u16 v3, v[64:65], off
	global_load_u16 v18, v[66:67], off
	s_wait_loadcnt 0x1
	v_cvt_f32_f16_e32 v10, v3
	s_wait_loadcnt 0x0
	v_cvt_f32_f16_e32 v18, v18
.LBB80_24:                              ;   in Loop: Header=BB80_5 Depth=1
	s_or_b32 exec_lo, exec_lo, s20
	v_add_nc_u64_e32 v[64:65], s[42:43], v[58:59]
	s_delay_alu instid0(VALU_DEP_1) | instskip(SKIP_1) | instid1(SALU_CYCLE_1)
	v_cmp_gt_i64_e32 vcc_lo, s[4:5], v[64:65]
	s_and_b32 s33, s2, vcc_lo
	s_and_saveexec_b32 s20, s33
	s_cbranch_execz .LBB80_26
; %bb.25:                               ;   in Loop: Header=BB80_5 Depth=1
	v_add_nc_u64_e32 v[64:65], v[28:29], v[22:23]
	v_add_nc_u64_e32 v[66:67], v[30:31], v[22:23]
	global_load_u16 v3, v[64:65], off
	global_load_u16 v19, v[66:67], off
	s_wait_loadcnt 0x1
	v_cvt_f32_f16_e32 v11, v3
	s_wait_loadcnt 0x0
	v_cvt_f32_f16_e32 v19, v19
.LBB80_26:                              ;   in Loop: Header=BB80_5 Depth=1
	s_or_b32 exec_lo, exec_lo, s20
	s_wait_loadcnt 0x1
	ds_bpermute_b32 v3, v2, v60
	ds_bpermute_b32 v63, v2, v60 offset:4
	ds_bpermute_b32 v65, v2, v60 offset:8
	s_wait_loadcnt 0x0
	ds_bpermute_b32 v66, v2, v61
	ds_bpermute_b32 v67, v2, v60 offset:12
	ds_bpermute_b32 v68, v2, v61 offset:4
	;; [unrolled: 1-line block ×8, first 2 shown]
	s_mov_b32 s20, 0
	s_wait_dscnt 0xb
	v_dual_mov_b32 v64, v5 :: v_dual_sub_f32 v3, v12, v3
	s_wait_dscnt 0xa
	v_dual_mov_b32 v12, v4 :: v_dual_sub_f32 v13, v13, v63
	ds_bpermute_b32 v63, v2, v60 offset:24
	v_dual_mul_f32 v3, v4, v3 :: v_dual_mov_b32 v4, v6
	s_wait_dscnt 0xa
	v_sub_f32_e32 v65, v14, v65
	v_dual_mul_f32 v5, v5, v13 :: v_dual_mov_b32 v14, v7
	s_wait_dscnt 0x9
	v_mul_f32_e32 v13, v3, v66
	s_wait_dscnt 0x8
	v_dual_sub_f32 v3, v15, v67 :: v_dual_mul_f32 v6, v6, v65
	s_wait_dscnt 0x5
	v_dual_mul_f32 v65, v5, v68 :: v_dual_sub_f32 v15, v16, v71
	v_pk_add_f32 v[12:13], v[32:33], v[12:13]
	ds_bpermute_b32 v66, v2, v61 offset:24
	v_dual_mul_f32 v3, v7, v3 :: v_dual_mul_f32 v5, v6, v69
	v_pk_add_f32 v[6:7], v[64:65], v[12:13]
	s_wait_dscnt 0x4
	v_dual_mov_b32 v12, v8 :: v_dual_sub_f32 v13, v17, v74
	s_delay_alu instid0(VALU_DEP_3) | instskip(NEXT) | instid1(VALU_DEP_3)
	v_dual_mul_f32 v8, v8, v15 :: v_dual_mul_f32 v15, v3, v70
	v_pk_add_f32 v[4:5], v[4:5], v[6:7]
	ds_bpermute_b32 v3, v2, v61 offset:28
	s_wait_dscnt 0x2
	v_dual_sub_f32 v16, v18, v63 :: v_dual_mul_f32 v17, v9, v13
	v_dual_mul_f32 v13, v8, v72 :: v_dual_mov_b32 v8, v9
	v_pk_add_f32 v[6:7], v[14:15], v[4:5]
	ds_bpermute_b32 v4, v2, v60 offset:28
	v_dual_mul_f32 v5, v10, v16 :: v_dual_mul_f32 v9, v17, v73
	v_pk_add_f32 v[6:7], v[12:13], v[6:7]
	s_wait_dscnt 0x2
	s_delay_alu instid0(VALU_DEP_2) | instskip(NEXT) | instid1(VALU_DEP_2)
	v_dual_mov_b32 v12, v10 :: v_dual_mul_f32 v13, v5, v66
	v_pk_add_f32 v[6:7], v[8:9], v[6:7]
	s_delay_alu instid0(VALU_DEP_1)
	v_pk_add_f32 v[60:61], v[12:13], v[6:7]
.LBB80_27:                              ;   in Loop: Header=BB80_5 Depth=1
	s_and_b32 vcc_lo, exec_lo, s20
	s_cbranch_vccz .LBB80_4
; %bb.28:                               ;   in Loop: Header=BB80_5 Depth=1
	s_load_b32 s20, s[22:23], 0x0
	v_dual_mov_b32 v60, 0 :: v_dual_mov_b32 v61, 0
	s_wait_kmcnt 0x0
	s_cmp_lt_u32 s16, s20
	s_cselect_b32 s20, 12, 18
	s_delay_alu instid0(SALU_CYCLE_1)
	s_add_nc_u64 s[50:51], s[22:23], s[20:21]
	s_load_u16 s20, s[50:51], 0x0
	s_wait_dscnt 0x1
	s_wait_kmcnt 0x0
	v_mad_u32_u24 v3, v1, s20, v62
	s_mov_b32 s20, exec_lo
	s_wait_dscnt 0x0
	s_delay_alu instid0(VALU_DEP_1) | instskip(NEXT) | instid1(VALU_DEP_1)
	v_and_b32_e32 v4, 31, v3
	v_cmpx_gt_u32_e32 8, v4
	s_cbranch_execz .LBB80_32
; %bb.29:                               ;   in Loop: Header=BB80_5 Depth=1
	v_dual_mov_b32 v5, v2 :: v_dual_mov_b32 v60, 0
	v_mov_b32_e32 v61, 0
	s_mov_b32 s33, exec_lo
	s_delay_alu instid0(VALU_DEP_2) | instskip(NEXT) | instid1(VALU_DEP_1)
	v_add_nc_u64_e32 v[4:5], v[58:59], v[4:5]
	v_add_nc_u64_e32 v[4:5], s[24:25], v[4:5]
	s_delay_alu instid0(VALU_DEP_1)
	v_cmpx_gt_i64_e64 s[4:5], v[4:5]
	s_cbranch_execz .LBB80_31
; %bb.30:                               ;   in Loop: Header=BB80_5 Depth=1
	v_lshlrev_b64_e32 v[4:5], 2, v[4:5]
	s_delay_alu instid0(VALU_DEP_1)
	v_add_nc_u64_e32 v[6:7], s[12:13], v[4:5]
	v_add_nc_u64_e32 v[4:5], s[14:15], v[4:5]
	global_load_b32 v60, v[6:7], off
	global_load_b32 v61, v[4:5], off
.LBB80_31:                              ;   in Loop: Header=BB80_5 Depth=1
	s_wait_xcnt 0x0
	s_or_b32 exec_lo, exec_lo, s33
.LBB80_32:                              ;   in Loop: Header=BB80_5 Depth=1
	s_delay_alu instid0(SALU_CYCLE_1) | instskip(SKIP_4) | instid1(VALU_DEP_3)
	s_or_b32 exec_lo, exec_lo, s20
	v_dual_mov_b32 v7, v2 :: v_dual_mov_b32 v8, v2
	v_dual_mov_b32 v9, v2 :: v_dual_mov_b32 v3, v2
	;; [unrolled: 1-line block ×3, first 2 shown]
	v_mov_b32_e32 v6, v2
	v_mov_b64_e32 v[18:19], v[8:9]
	s_delay_alu instid0(VALU_DEP_4) | instskip(NEXT) | instid1(VALU_DEP_4)
	v_mov_b64_e32 v[12:13], v[2:3]
	v_mov_b64_e32 v[14:15], v[4:5]
	s_delay_alu instid0(VALU_DEP_4)
	v_mov_b64_e32 v[16:17], v[6:7]
	v_mov_b64_e32 v[10:11], v[8:9]
	;; [unrolled: 1-line block ×5, first 2 shown]
	s_and_saveexec_b32 s20, s2
	s_cbranch_execnz .LBB80_40
; %bb.33:                               ;   in Loop: Header=BB80_5 Depth=1
	s_or_b32 exec_lo, exec_lo, s20
	s_and_saveexec_b32 s20, s2
	s_cbranch_execnz .LBB80_41
.LBB80_34:                              ;   in Loop: Header=BB80_5 Depth=1
	s_or_b32 exec_lo, exec_lo, s20
	s_and_saveexec_b32 s20, s2
	s_cbranch_execnz .LBB80_42
.LBB80_35:                              ;   in Loop: Header=BB80_5 Depth=1
	s_or_b32 exec_lo, exec_lo, s20
	s_and_saveexec_b32 s20, s2
	s_cbranch_execnz .LBB80_43
.LBB80_36:                              ;   in Loop: Header=BB80_5 Depth=1
	s_or_b32 exec_lo, exec_lo, s20
	s_and_saveexec_b32 s20, s2
	s_cbranch_execnz .LBB80_44
.LBB80_37:                              ;   in Loop: Header=BB80_5 Depth=1
	s_or_b32 exec_lo, exec_lo, s20
	s_and_saveexec_b32 s20, s2
	s_cbranch_execnz .LBB80_45
.LBB80_38:                              ;   in Loop: Header=BB80_5 Depth=1
	s_or_b32 exec_lo, exec_lo, s20
	s_and_saveexec_b32 s20, s2
	s_cbranch_execnz .LBB80_46
.LBB80_39:                              ;   in Loop: Header=BB80_5 Depth=1
	s_or_b32 exec_lo, exec_lo, s20
	s_and_saveexec_b32 s20, s2
	s_cbranch_execz .LBB80_3
	s_branch .LBB80_47
.LBB80_40:                              ;   in Loop: Header=BB80_5 Depth=1
	v_add_nc_u64_e32 v[4:5], v[24:25], v[22:23]
	v_add_nc_u64_e32 v[6:7], v[26:27], v[22:23]
	v_dual_mov_b32 v9, v2 :: v_dual_mov_b32 v10, v2
	v_dual_mov_b32 v11, v2 :: v_dual_mov_b32 v13, v2
	;; [unrolled: 1-line block ×3, first 2 shown]
	global_load_u16 v3, v[4:5], off
	global_load_u16 v12, v[6:7], off
	s_wait_xcnt 0x0
	v_dual_mov_b32 v5, v2 :: v_dual_mov_b32 v6, v2
	v_dual_mov_b32 v7, v2 :: v_dual_mov_b32 v8, v2
	;; [unrolled: 1-line block ×4, first 2 shown]
	s_wait_loadcnt 0x1
	v_cvt_f32_f16_e32 v4, v3
	s_wait_loadcnt 0x0
	v_cvt_f32_f16_e32 v12, v12
	s_or_b32 exec_lo, exec_lo, s20
	s_and_saveexec_b32 s20, s2
	s_cbranch_execz .LBB80_34
.LBB80_41:                              ;   in Loop: Header=BB80_5 Depth=1
	v_add_nc_u64_e32 v[58:59], v[54:55], v[22:23]
	v_add_nc_u64_e32 v[64:65], v[56:57], v[22:23]
	global_load_u16 v3, v[58:59], off
	global_load_u16 v13, v[64:65], off
	s_wait_loadcnt 0x1
	v_cvt_f32_f16_e32 v5, v3
	s_wait_loadcnt 0x0
	v_cvt_f32_f16_e32 v13, v13
	s_or_b32 exec_lo, exec_lo, s20
	s_and_saveexec_b32 s20, s2
	s_cbranch_execz .LBB80_35
.LBB80_42:                              ;   in Loop: Header=BB80_5 Depth=1
	v_add_nc_u64_e32 v[58:59], v[50:51], v[22:23]
	v_add_nc_u64_e32 v[64:65], v[52:53], v[22:23]
	global_load_u16 v3, v[58:59], off
	global_load_u16 v14, v[64:65], off
	s_wait_loadcnt 0x1
	v_cvt_f32_f16_e32 v6, v3
	s_wait_loadcnt 0x0
	v_cvt_f32_f16_e32 v14, v14
	s_or_b32 exec_lo, exec_lo, s20
	s_and_saveexec_b32 s20, s2
	s_cbranch_execz .LBB80_36
.LBB80_43:                              ;   in Loop: Header=BB80_5 Depth=1
	v_add_nc_u64_e32 v[58:59], v[46:47], v[22:23]
	v_add_nc_u64_e32 v[64:65], v[48:49], v[22:23]
	global_load_u16 v3, v[58:59], off
	global_load_u16 v15, v[64:65], off
	s_wait_loadcnt 0x1
	v_cvt_f32_f16_e32 v7, v3
	s_wait_loadcnt 0x0
	v_cvt_f32_f16_e32 v15, v15
	s_or_b32 exec_lo, exec_lo, s20
	s_and_saveexec_b32 s20, s2
	s_cbranch_execz .LBB80_37
.LBB80_44:                              ;   in Loop: Header=BB80_5 Depth=1
	v_add_nc_u64_e32 v[58:59], v[42:43], v[22:23]
	v_add_nc_u64_e32 v[64:65], v[44:45], v[22:23]
	global_load_u16 v3, v[58:59], off
	global_load_u16 v16, v[64:65], off
	s_wait_loadcnt 0x1
	v_cvt_f32_f16_e32 v8, v3
	s_wait_loadcnt 0x0
	v_cvt_f32_f16_e32 v16, v16
	s_or_b32 exec_lo, exec_lo, s20
	s_and_saveexec_b32 s20, s2
	s_cbranch_execz .LBB80_38
.LBB80_45:                              ;   in Loop: Header=BB80_5 Depth=1
	v_add_nc_u64_e32 v[58:59], v[38:39], v[22:23]
	v_add_nc_u64_e32 v[64:65], v[40:41], v[22:23]
	global_load_u16 v3, v[58:59], off
	global_load_u16 v17, v[64:65], off
	s_wait_loadcnt 0x1
	v_cvt_f32_f16_e32 v9, v3
	s_wait_loadcnt 0x0
	v_cvt_f32_f16_e32 v17, v17
	s_or_b32 exec_lo, exec_lo, s20
	s_and_saveexec_b32 s20, s2
	s_cbranch_execz .LBB80_39
.LBB80_46:                              ;   in Loop: Header=BB80_5 Depth=1
	v_add_nc_u64_e32 v[58:59], v[34:35], v[22:23]
	v_add_nc_u64_e32 v[64:65], v[36:37], v[22:23]
	global_load_u16 v3, v[58:59], off
	global_load_u16 v18, v[64:65], off
	s_wait_loadcnt 0x1
	v_cvt_f32_f16_e32 v10, v3
	s_wait_loadcnt 0x0
	v_cvt_f32_f16_e32 v18, v18
	s_or_b32 exec_lo, exec_lo, s20
	s_and_saveexec_b32 s20, s2
	s_cbranch_execz .LBB80_3
.LBB80_47:                              ;   in Loop: Header=BB80_5 Depth=1
	v_add_nc_u64_e32 v[58:59], v[28:29], v[22:23]
	v_add_nc_u64_e32 v[64:65], v[30:31], v[22:23]
	global_load_u16 v3, v[58:59], off
	global_load_u16 v19, v[64:65], off
	s_wait_loadcnt 0x1
	v_cvt_f32_f16_e32 v11, v3
	s_wait_loadcnt 0x0
	v_cvt_f32_f16_e32 v19, v19
	s_branch .LBB80_3
.LBB80_48:
                                        ; implicit-def: $vgpr33
	s_branch .LBB80_50
.LBB80_49:
	s_cbranch_execnz .LBB80_81
.LBB80_50:
	v_mov_b32_e32 v33, 0
	s_and_not1_b32 vcc_lo, exec_lo, s17
	s_delay_alu instid0(VALU_DEP_1)
	v_mov_b32_e32 v32, v33
	s_cbranch_vccnz .LBB80_81
; %bb.51:
	v_bfe_u32 v1, v0, 10, 10
	v_mov_b32_e32 v2, 0
	v_and_b32_e32 v90, 0x3ff, v0
	s_load_b32 s2, s[0:1], 0x44
	s_mov_b64 s[22:23], 0xffffffffffffff83
	s_delay_alu instid0(VALU_DEP_2) | instskip(SKIP_3) | instid1(VALU_DEP_2)
	v_dual_mov_b32 v5, v2 :: v_dual_lshlrev_b32 v4, 4, v1
	v_dual_mov_b32 v21, v2 :: v_dual_lshlrev_b32 v20, 3, v1
	s_mov_b64 s[24:25], 0xffffffffffffff84
	s_mov_b64 s[26:27], 0xffffffffffffff85
	v_lshl_add_u64 v[8:9], s[18:19], 1, v[4:5]
	s_mov_b64 s[28:29], 0xffffffffffffff86
	v_add_nc_u64_e32 v[4:5], s[18:19], v[20:21]
	s_mov_b64 s[30:31], 0xffffffffffffff87
	s_mov_b64 s[34:35], 0xffffffffffffff88
	v_add_nc_u64_e32 v[10:11], 2, v[8:9]
	v_add_nc_u64_e32 v[12:13], 4, v[8:9]
	;; [unrolled: 1-line block ×4, first 2 shown]
	v_mul_u64_e32 v[6:7], s[6:7], v[4:5]
	v_add_nc_u64_e32 v[44:45], 4, v[4:5]
	v_add_nc_u64_e32 v[18:19], 10, v[8:9]
	v_mad_nc_u64_u32 v[22:23], s6, v10, s[8:9]
	v_mul_lo_u32 v3, s6, v11
	v_mul_lo_u32 v42, s7, v10
	v_mad_nc_u64_u32 v[24:25], s6, v12, s[8:9]
	v_mul_lo_u32 v43, s6, v13
	v_mul_lo_u32 v46, s7, v12
	v_mad_nc_u64_u32 v[34:35], s6, v10, s[10:11]
	v_mad_nc_u64_u32 v[36:37], s6, v12, s[10:11]
	v_add_nc_u64_e32 v[10:11], 7, v[4:5]
	v_add_nc_u64_e32 v[12:13], 6, v[4:5]
	v_mad_nc_u64_u32 v[26:27], s6, v14, s[8:9]
	v_mul_lo_u32 v52, s6, v15
	v_mul_lo_u32 v53, s7, v14
	v_mad_nc_u64_u32 v[28:29], s6, v16, s[8:9]
	v_mul_lo_u32 v54, s6, v17
	v_mul_lo_u32 v55, s7, v16
	v_add3_u32 v23, v42, v23, v3
	v_add3_u32 v25, v46, v25, v43
	v_mad_nc_u64_u32 v[40:41], s6, v14, s[10:11]
	v_mul_u64_e32 v[10:11], s[6:7], v[10:11]
	v_add3_u32 v35, v42, v35, v3
	v_add_nc_u64_e32 v[14:15], 5, v[4:5]
	v_mul_u64_e32 v[12:13], s[6:7], v[12:13]
	v_add3_u32 v37, v46, v37, v43
	v_mad_nc_u64_u32 v[42:43], s6, v16, s[10:11]
	v_add_nc_u64_e32 v[16:17], 3, v[4:5]
	v_add_nc_u64_e32 v[4:5], 2, v[4:5]
	v_mul_u64_e32 v[62:63], s[6:7], v[44:45]
	v_mul_u64_e32 v[14:15], s[6:7], v[14:15]
	v_add_nc_u64_e32 v[32:33], 12, v[8:9]
	v_add_nc_u64_e32 v[8:9], 14, v[8:9]
	v_mad_nc_u64_u32 v[30:31], s6, v18, s[8:9]
	v_mul_u64_e32 v[16:17], s[6:7], v[16:17]
	v_mul_u64_e32 v[4:5], s[6:7], v[4:5]
	v_mul_lo_u32 v19, s6, v19
	v_mul_lo_u32 v56, s7, v18
	v_mad_nc_u64_u32 v[44:45], s6, v18, s[10:11]
	v_mad_nc_u64_u32 v[46:47], s6, v8, s[8:9]
	v_mul_lo_u32 v3, s6, v9
	v_mul_lo_u32 v18, s7, v8
	v_mad_nc_u64_u32 v[50:51], s6, v8, s[10:11]
	v_dual_mov_b32 v9, v2 :: v_dual_add_nc_u32 v8, s3, v90
	v_add3_u32 v27, v53, v27, v52
	v_mad_nc_u64_u32 v[38:39], s6, v32, s[8:9]
	v_mul_lo_u32 v57, s7, v32
	v_add3_u32 v31, v56, v31, v19
	v_mad_nc_u64_u32 v[48:49], s6, v32, s[10:11]
	v_add3_u32 v41, v53, v41, v52
	v_add3_u32 v45, v56, v45, v19
	;; [unrolled: 1-line block ×4, first 2 shown]
	v_lshlrev_b64_e32 v[18:19], 1, v[6:7]
	v_lshlrev_b64_e32 v[10:11], 1, v[10:11]
	v_add_nc_u64_e32 v[6:7], s[6:7], v[6:7]
	v_mov_b32_e32 v32, 0
	v_lshlrev_b64_e32 v[52:53], 1, v[8:9]
	v_lshlrev_b64_e32 v[8:9], 1, v[12:13]
	v_mul_lo_u32 v33, s6, v33
	v_lshlrev_b64_e32 v[12:13], 1, v[62:63]
	v_add_nc_u64_e32 v[58:59], s[8:9], v[10:11]
	v_add_nc_u64_e32 v[60:61], s[10:11], v[10:11]
	v_lshlrev_b64_e32 v[10:11], 1, v[14:15]
	v_lshlrev_b64_e32 v[6:7], 1, v[6:7]
	v_add_nc_u64_e32 v[62:63], s[8:9], v[8:9]
	v_add_nc_u64_e32 v[64:65], s[10:11], v[8:9]
	v_lshlrev_b64_e32 v[8:9], 1, v[16:17]
	v_lshlrev_b64_e32 v[4:5], 1, v[4:5]
	s_mov_b32 s3, 0
	v_add3_u32 v29, v55, v29, v54
	v_add3_u32 v43, v55, v43, v54
	;; [unrolled: 1-line block ×4, first 2 shown]
	v_add_nc_u64_e32 v[54:55], s[8:9], v[18:19]
	v_add_nc_u64_e32 v[56:57], s[10:11], v[18:19]
	;; [unrolled: 1-line block ×12, first 2 shown]
	s_wait_kmcnt 0x0
	s_lshl_b32 s20, s2, 7
	s_mov_b32 s21, s3
	v_mov_b32_e32 v33, v2
	s_mul_u64 s[38:39], s[6:7], s[20:21]
	s_mov_b64 s[8:9], 0xffffffffffffff81
	s_mov_b64 s[10:11], 0xffffffffffffff82
	s_add_nc_u64 s[36:37], s[0:1], 64
	s_lshl_b64 s[38:39], s[38:39], 1
	s_add_nc_u64 s[40:41], s[18:19], 0x7f
	s_branch .LBB80_55
.LBB80_52:                              ;   in Loop: Header=BB80_55 Depth=1
	s_wait_xcnt 0x0
	s_or_b32 exec_lo, exec_lo, s17
.LBB80_53:                              ;   in Loop: Header=BB80_55 Depth=1
	s_delay_alu instid0(SALU_CYCLE_1)
	s_or_b32 exec_lo, exec_lo, s2
	v_add_nc_u64_e32 v[4:5], v[54:55], v[52:53]
	v_add_nc_u64_e32 v[8:9], v[56:57], v[52:53]
	;; [unrolled: 1-line block ×5, first 2 shown]
	s_wait_loadcnt 0x1
	ds_bpermute_b32 v94, v2, v3 offset:4
	ds_bpermute_b32 v96, v2, v3 offset:8
	global_load_u16 v7, v[4:5], off
	global_load_u16 v16, v[8:9], off
	;; [unrolled: 1-line block ×3, first 2 shown]
	s_wait_xcnt 0x2
	v_add_nc_u64_e32 v[4:5], v[36:37], v[52:53]
	s_wait_xcnt 0x1
	v_add_nc_u64_e32 v[8:9], v[26:27], v[52:53]
	global_load_u16 v18, v[12:13], off
	global_load_u16 v19, v[14:15], off
	s_wait_xcnt 0x2
	v_add_nc_u64_e32 v[10:11], v[40:41], v[52:53]
	s_wait_xcnt 0x1
	v_add_nc_u64_e32 v[12:13], v[28:29], v[52:53]
	;; [unrolled: 2-line block ×3, first 2 shown]
	global_load_u16 v32, v[4:5], off
	global_load_u16 v33, v[8:9], off
	;; [unrolled: 1-line block ×3, first 2 shown]
	s_wait_xcnt 0x2
	v_add_nc_u64_e32 v[4:5], v[30:31], v[52:53]
	s_wait_xcnt 0x1
	v_add_nc_u64_e32 v[8:9], v[44:45], v[52:53]
	global_load_u16 v12, v[12:13], off
	global_load_u16 v13, v[14:15], off
	v_add_nc_u64_e32 v[10:11], v[46:47], v[52:53]
	ds_bpermute_b32 v98, v2, v3 offset:12
	s_wait_loadcnt 0xa
	ds_bpermute_b32 v95, v2, v6 offset:8
	ds_bpermute_b32 v100, v2, v3 offset:16
	global_load_u16 v14, v[4:5], off
	s_wait_xcnt 0x0
	v_add_nc_u64_e32 v[4:5], v[48:49], v[52:53]
	global_load_u16 v15, v[8:9], off
	s_wait_xcnt 0x0
	v_add_nc_u64_e32 v[8:9], v[38:39], v[52:53]
	ds_bpermute_b32 v97, v2, v6 offset:12
	ds_bpermute_b32 v99, v2, v6 offset:16
	;; [unrolled: 1-line block ×4, first 2 shown]
	global_load_u16 v89, v[4:5], off
	s_wait_xcnt 0x0
	v_add_nc_u64_e32 v[4:5], v[50:51], v[52:53]
	global_load_u16 v91, v[8:9], off
	global_load_u16 v92, v[4:5], off
	;; [unrolled: 1-line block ×3, first 2 shown]
	s_wait_xcnt 0x2
	ds_bpermute_b32 v9, v2, v3
	s_wait_xcnt 0x1
	ds_bpermute_b32 v5, v2, v6
	s_wait_xcnt 0x0
	ds_bpermute_b32 v11, v2, v6 offset:4
	ds_bpermute_b32 v103, v2, v6 offset:24
	;; [unrolled: 1-line block ×5, first 2 shown]
	s_wait_loadcnt 0xf
	v_cvt_f32_f16_e32 v4, v7
	s_wait_loadcnt 0xe
	v_cvt_f32_f16_e32 v10, v16
	;; [unrolled: 2-line block ×5, first 2 shown]
	s_wait_dscnt 0x6
	s_delay_alu instid0(VALU_DEP_2) | instskip(SKIP_2) | instid1(VALU_DEP_2)
	v_dual_sub_f32 v9, v10, v9 :: v_dual_sub_f32 v7, v7, v94
	s_wait_loadcnt 0xa
	v_cvt_f32_f16_e32 v16, v32
	v_mul_f32_e32 v9, v9, v4
	s_wait_loadcnt 0x8
	v_cvt_f32_f16_e32 v17, v88
	v_cvt_f32_f16_e32 v10, v33
	v_dual_mul_f32 v7, v7, v6 :: v_dual_sub_f32 v16, v16, v96
	s_wait_dscnt 0x5
	v_mul_f32_e32 v5, v9, v5
	s_wait_loadcnt 0x6
	v_cvt_f32_f16_e32 v13, v13
	s_wait_dscnt 0x4
	v_dual_sub_f32 v9, v17, v98 :: v_dual_mul_f32 v7, v7, v11
	v_mul_f32_e32 v16, v16, v8
	v_pk_add_f32 v[4:5], v[86:87], v[4:5]
	v_cvt_f32_f16_e32 v12, v12
	s_wait_loadcnt 0x4
	v_cvt_f32_f16_e32 v11, v15
	v_sub_f32_e32 v13, v13, v100
	v_dual_mul_f32 v15, v9, v10 :: v_dual_mul_f32 v9, v16, v95
	v_pk_add_f32 v[4:5], v[4:5], v[6:7]
	v_cvt_f32_f16_e32 v14, v14
	s_wait_loadcnt 0x3
	v_cvt_f32_f16_e32 v7, v89
	v_dual_sub_f32 v16, v11, v102 :: v_dual_mul_f32 v13, v13, v12
	v_mul_f32_e32 v11, v15, v97
	v_pk_add_f32 v[4:5], v[4:5], v[8:9]
	s_wait_loadcnt 0x2
	v_cvt_f32_f16_e32 v6, v91
	s_wait_dscnt 0x1
	v_dual_sub_f32 v7, v7, v104 :: v_dual_mul_f32 v13, v13, v99
	v_mul_f32_e32 v9, v16, v14
	v_pk_add_f32 v[4:5], v[4:5], v[10:11]
	s_wait_loadcnt 0x1
	v_cvt_f32_f16_e32 v10, v92
	s_wait_loadcnt 0x0
	v_cvt_f32_f16_e32 v8, v93
	v_dual_mul_f32 v7, v7, v6 :: v_dual_mul_f32 v15, v9, v101
	v_pk_add_f32 v[4:5], v[4:5], v[12:13]
	s_wait_dscnt 0x0
	v_sub_f32_e32 v3, v10, v3
	s_delay_alu instid0(VALU_DEP_3) | instskip(NEXT) | instid1(VALU_DEP_3)
	v_mul_f32_e32 v7, v7, v103
	v_pk_add_f32 v[4:5], v[4:5], v[14:15]
	s_delay_alu instid0(VALU_DEP_3) | instskip(NEXT) | instid1(VALU_DEP_2)
	v_mul_f32_e32 v3, v3, v8
	v_pk_add_f32 v[4:5], v[4:5], v[6:7]
	s_delay_alu instid0(VALU_DEP_2) | instskip(NEXT) | instid1(VALU_DEP_1)
	v_mul_f32_e32 v9, v3, v105
	v_pk_add_f32 v[32:33], v[4:5], v[8:9]
.LBB80_54:                              ;   in Loop: Header=BB80_55 Depth=1
	s_add_nc_u64 s[18:19], s[18:19], s[20:21]
	v_add_nc_u64_e32 v[54:55], s[38:39], v[54:55]
	v_cmp_ge_i64_e64 s2, s[18:19], s[4:5]
	v_add_nc_u64_e32 v[56:57], s[38:39], v[56:57]
	v_add_nc_u64_e32 v[22:23], s[38:39], v[22:23]
	;; [unrolled: 1-line block ×29, first 2 shown]
	s_and_b32 vcc_lo, exec_lo, s2
	s_add_nc_u64 s[40:41], s[40:41], s[20:21]
	s_cbranch_vccnz .LBB80_81
.LBB80_55:                              ; =>This Inner Loop Header: Depth=1
	v_cmp_ge_i64_e64 s2, s[40:41], s[4:5]
	v_add_nc_u64_e32 v[88:89], s[40:41], v[20:21]
	v_dual_mov_b32 v86, v32 :: v_dual_mov_b32 v87, v33
                                        ; implicit-def: $vgpr33
	s_and_b32 vcc_lo, exec_lo, s2
	s_mov_b32 s2, -1
	s_cbranch_vccz .LBB80_77
; %bb.56:                               ;   in Loop: Header=BB80_55 Depth=1
	s_load_b32 s2, s[36:37], 0xc
	v_dual_mov_b32 v33, 0 :: v_dual_mov_b32 v32, 0
	s_wait_kmcnt 0x0
	s_and_b32 s2, s2, 0xffff
	s_delay_alu instid0(SALU_CYCLE_1) | instskip(SKIP_1) | instid1(VALU_DEP_1)
	v_mad_u32_u24 v3, v1, s2, v90
	s_mov_b32 s2, exec_lo
	v_and_b32_e32 v4, 31, v3
	s_delay_alu instid0(VALU_DEP_1)
	v_cmpx_gt_u32_e32 8, v4
	s_cbranch_execz .LBB80_60
; %bb.57:                               ;   in Loop: Header=BB80_55 Depth=1
	v_dual_mov_b32 v5, v2 :: v_dual_mov_b32 v33, 0
	v_mov_b32_e32 v32, 0
	s_mov_b32 s17, exec_lo
	s_delay_alu instid0(VALU_DEP_2) | instskip(NEXT) | instid1(VALU_DEP_1)
	v_add_nc_u64_e32 v[4:5], v[88:89], v[4:5]
	v_add_nc_u64_e32 v[4:5], s[8:9], v[4:5]
	s_delay_alu instid0(VALU_DEP_1)
	v_cmpx_gt_i64_e64 s[4:5], v[4:5]
	s_cbranch_execz .LBB80_59
; %bb.58:                               ;   in Loop: Header=BB80_55 Depth=1
	v_lshlrev_b64_e32 v[4:5], 2, v[4:5]
	s_delay_alu instid0(VALU_DEP_1)
	v_add_nc_u64_e32 v[6:7], s[12:13], v[4:5]
	v_add_nc_u64_e32 v[4:5], s[14:15], v[4:5]
	global_load_b32 v33, v[6:7], off
	global_load_b32 v32, v[4:5], off
.LBB80_59:                              ;   in Loop: Header=BB80_55 Depth=1
	s_wait_xcnt 0x0
	s_or_b32 exec_lo, exec_lo, s17
.LBB80_60:                              ;   in Loop: Header=BB80_55 Depth=1
	s_delay_alu instid0(SALU_CYCLE_1)
	s_or_b32 exec_lo, exec_lo, s2
	v_add_nc_u64_e32 v[10:11], s[8:9], v[88:89]
	v_dual_mov_b32 v7, v2 :: v_dual_mov_b32 v8, v2
	v_dual_mov_b32 v9, v2 :: v_dual_mov_b32 v3, v2
	;; [unrolled: 1-line block ×3, first 2 shown]
	v_mov_b32_e32 v6, v2
	s_delay_alu instid0(VALU_DEP_3)
	v_mov_b64_e32 v[18:19], v[8:9]
	v_cmp_gt_i64_e32 vcc_lo, s[4:5], v[10:11]
	v_mov_b64_e32 v[12:13], v[2:3]
	v_mov_b64_e32 v[14:15], v[4:5]
	;; [unrolled: 1-line block ×7, first 2 shown]
	s_and_saveexec_b32 s2, vcc_lo
	s_cbranch_execz .LBB80_62
; %bb.61:                               ;   in Loop: Header=BB80_55 Depth=1
	v_add_nc_u64_e32 v[4:5], v[54:55], v[52:53]
	v_add_nc_u64_e32 v[6:7], v[56:57], v[52:53]
	v_dual_mov_b32 v9, v2 :: v_dual_mov_b32 v10, v2
	v_dual_mov_b32 v11, v2 :: v_dual_mov_b32 v13, v2
	;; [unrolled: 1-line block ×3, first 2 shown]
	global_load_u16 v3, v[4:5], off
	global_load_u16 v12, v[6:7], off
	s_wait_xcnt 0x0
	v_dual_mov_b32 v5, v2 :: v_dual_mov_b32 v6, v2
	v_dual_mov_b32 v7, v2 :: v_dual_mov_b32 v8, v2
	;; [unrolled: 1-line block ×4, first 2 shown]
	s_wait_loadcnt 0x1
	v_cvt_f32_f16_e32 v4, v3
	s_wait_loadcnt 0x0
	v_cvt_f32_f16_e32 v12, v12
.LBB80_62:                              ;   in Loop: Header=BB80_55 Depth=1
	s_or_b32 exec_lo, exec_lo, s2
	v_add_nc_u64_e32 v[92:93], s[10:11], v[88:89]
	s_mov_b32 s2, exec_lo
	s_delay_alu instid0(VALU_DEP_1)
	v_cmpx_gt_i64_e64 s[4:5], v[92:93]
	s_cbranch_execz .LBB80_64
; %bb.63:                               ;   in Loop: Header=BB80_55 Depth=1
	v_add_nc_u64_e32 v[92:93], v[82:83], v[52:53]
	v_add_nc_u64_e32 v[94:95], v[84:85], v[52:53]
	global_load_u16 v3, v[92:93], off
	global_load_u16 v13, v[94:95], off
	s_wait_loadcnt 0x1
	v_cvt_f32_f16_e32 v5, v3
	s_wait_loadcnt 0x0
	v_cvt_f32_f16_e32 v13, v13
.LBB80_64:                              ;   in Loop: Header=BB80_55 Depth=1
	s_or_b32 exec_lo, exec_lo, s2
	v_add_nc_u64_e32 v[92:93], s[22:23], v[88:89]
	s_mov_b32 s2, exec_lo
	s_delay_alu instid0(VALU_DEP_1)
	v_cmpx_gt_i64_e64 s[4:5], v[92:93]
	s_cbranch_execz .LBB80_66
; %bb.65:                               ;   in Loop: Header=BB80_55 Depth=1
	v_add_nc_u64_e32 v[92:93], v[78:79], v[52:53]
	v_add_nc_u64_e32 v[94:95], v[80:81], v[52:53]
	global_load_u16 v3, v[92:93], off
	global_load_u16 v14, v[94:95], off
	s_wait_loadcnt 0x1
	v_cvt_f32_f16_e32 v6, v3
	s_wait_loadcnt 0x0
	v_cvt_f32_f16_e32 v14, v14
.LBB80_66:                              ;   in Loop: Header=BB80_55 Depth=1
	;; [unrolled: 16-line block ×7, first 2 shown]
	s_or_b32 exec_lo, exec_lo, s2
	s_wait_loadcnt 0x1
	ds_bpermute_b32 v3, v2, v33
	ds_bpermute_b32 v91, v2, v33 offset:4
	ds_bpermute_b32 v93, v2, v33 offset:8
	s_wait_loadcnt 0x0
	ds_bpermute_b32 v94, v2, v32
	ds_bpermute_b32 v95, v2, v33 offset:12
	ds_bpermute_b32 v96, v2, v32 offset:4
	;; [unrolled: 1-line block ×10, first 2 shown]
	s_mov_b32 s2, 0
	s_wait_dscnt 0xd
	v_dual_mov_b32 v92, v6 :: v_dual_sub_f32 v3, v12, v3
	s_wait_dscnt 0xc
	v_dual_mov_b32 v12, v4 :: v_dual_sub_f32 v13, v13, v91
	s_wait_dscnt 0x9
	v_sub_f32_e32 v15, v15, v95
	v_dual_mul_f32 v3, v4, v3 :: v_dual_mov_b32 v4, v5
	v_sub_f32_e32 v14, v14, v93
	s_wait_dscnt 0x6
	v_dual_mul_f32 v5, v5, v13 :: v_dual_sub_f32 v16, v16, v100
	s_delay_alu instid0(VALU_DEP_3) | instskip(SKIP_4) | instid1(VALU_DEP_3)
	v_mul_f32_e32 v13, v3, v94
	ds_bpermute_b32 v3, v2, v33 offset:28
	v_dual_mul_f32 v14, v6, v14 :: v_dual_mul_f32 v5, v5, v96
	v_mov_b32_e32 v6, v7
	v_pk_add_f32 v[12:13], v[86:87], v[12:13]
	v_dual_mul_f32 v7, v7, v15 :: v_dual_mul_f32 v93, v14, v97
	ds_bpermute_b32 v14, v2, v32 offset:28
	v_mul_f32_e32 v15, v8, v16
	v_pk_add_f32 v[4:5], v[4:5], v[12:13]
	s_wait_dscnt 0x6
	v_sub_f32_e32 v13, v17, v102
	v_dual_mul_f32 v7, v7, v98 :: v_dual_mov_b32 v12, v8
	s_wait_dscnt 0x4
	v_sub_f32_e32 v8, v18, v104
	v_pk_add_f32 v[4:5], v[92:93], v[4:5]
	v_dual_mul_f32 v16, v9, v13 :: v_dual_mul_f32 v13, v15, v99
	s_delay_alu instid0(VALU_DEP_2) | instskip(SKIP_2) | instid1(VALU_DEP_3)
	v_pk_add_f32 v[4:5], v[6:7], v[4:5]
	s_wait_dscnt 0x1
	v_dual_mov_b32 v6, v9 :: v_dual_sub_f32 v3, v19, v3
	v_dual_mul_f32 v9, v10, v8 :: v_dual_mul_f32 v7, v16, v101
	v_mov_b32_e32 v8, v10
	v_pk_add_f32 v[4:5], v[12:13], v[4:5]
	s_delay_alu instid0(VALU_DEP_4) | instskip(NEXT) | instid1(VALU_DEP_2)
	v_mul_f32_e32 v3, v11, v3
	v_pk_add_f32 v[4:5], v[6:7], v[4:5]
	v_dual_mov_b32 v6, v11 :: v_dual_mul_f32 v9, v9, v103
	s_wait_dscnt 0x0
	s_delay_alu instid0(VALU_DEP_3) | instskip(NEXT) | instid1(VALU_DEP_2)
	v_mul_f32_e32 v7, v3, v14
	v_pk_add_f32 v[4:5], v[8:9], v[4:5]
	s_delay_alu instid0(VALU_DEP_1)
	v_pk_add_f32 v[32:33], v[6:7], v[4:5]
.LBB80_77:                              ;   in Loop: Header=BB80_55 Depth=1
	s_and_b32 vcc_lo, exec_lo, s2
	s_cbranch_vccz .LBB80_54
; %bb.78:                               ;   in Loop: Header=BB80_55 Depth=1
	s_load_b32 s2, s[36:37], 0x0
	v_mov_b32_e32 v6, 0
	s_wait_kmcnt 0x0
	s_cmp_lt_u32 s16, s2
	s_cselect_b32 s2, 12, 18
	s_delay_alu instid0(SALU_CYCLE_1) | instskip(SKIP_4) | instid1(VALU_DEP_1)
	s_add_nc_u64 s[42:43], s[36:37], s[2:3]
	s_load_u16 s2, s[42:43], 0x0
	s_wait_kmcnt 0x0
	v_mad_u32_u24 v3, v1, s2, v90
	s_mov_b32 s2, exec_lo
	v_dual_mov_b32 v3, 0 :: v_dual_bitop2_b32 v4, 31, v3 bitop3:0x40
	s_delay_alu instid0(VALU_DEP_1)
	v_cmpx_gt_u32_e32 8, v4
	s_cbranch_execz .LBB80_53
; %bb.79:                               ;   in Loop: Header=BB80_55 Depth=1
	v_dual_mov_b32 v5, v2 :: v_dual_mov_b32 v3, 0
	v_mov_b32_e32 v6, 0
	s_mov_b32 s17, exec_lo
	s_delay_alu instid0(VALU_DEP_2) | instskip(NEXT) | instid1(VALU_DEP_1)
	v_add_nc_u64_e32 v[4:5], v[88:89], v[4:5]
	v_add_nc_u64_e32 v[4:5], s[8:9], v[4:5]
	s_delay_alu instid0(VALU_DEP_1)
	v_cmpx_gt_i64_e64 s[4:5], v[4:5]
	s_cbranch_execz .LBB80_52
; %bb.80:                               ;   in Loop: Header=BB80_55 Depth=1
	v_lshlrev_b64_e32 v[4:5], 2, v[4:5]
	s_delay_alu instid0(VALU_DEP_1)
	v_add_nc_u64_e32 v[6:7], s[12:13], v[4:5]
	v_add_nc_u64_e32 v[4:5], s[14:15], v[4:5]
	global_load_b32 v3, v[6:7], off
	global_load_b32 v6, v[4:5], off
	s_branch .LBB80_52
.LBB80_81:
	v_and_b32_e32 v1, 0x3ff, v0
	v_bfe_u32 v0, v0, 10, 10
	s_mov_b32 s2, exec_lo
	s_delay_alu instid0(VALU_DEP_1) | instskip(NEXT) | instid1(VALU_DEP_1)
	v_mad_u32_u24 v2, 0x41, v0, v1
	v_lshl_add_u32 v3, v2, 2, 0
	v_sub_nc_u32_e32 v6, v2, v0
	ds_store_b32 v3, v33
	ds_store_b32 v3, v32 offset:4160
	s_wait_dscnt 0x0
	s_barrier_signal -1
	s_barrier_wait -1
	v_cmpx_gt_u32_e32 0x800, v6
	s_cbranch_execz .LBB80_97
; %bb.82:
	s_load_b128 s[8:11], s[0:1], 0x30
	v_dual_lshrrev_b32 v0, 5, v6 :: v_dual_bitop2_b32 v2, 31, v1 bitop3:0x40
	s_wait_xcnt 0x0
	s_delay_alu instid0(VALU_DEP_1)
	v_cmp_gt_u32_e64 s0, 16, v2
	v_mul_u32_u24_e32 v7, 0x41, v2
                                        ; implicit-def: $vgpr2
	s_and_saveexec_b32 s1, s0
	s_cbranch_execz .LBB80_84
; %bb.83:
	s_delay_alu instid0(VALU_DEP_1) | instskip(NEXT) | instid1(VALU_DEP_1)
	v_add_nc_u32_e32 v2, v0, v7
	v_lshl_add_u32 v2, v2, 2, 0
	ds_load_b32 v3, v2
	ds_load_b32 v2, v2 offset:4160
.LBB80_84:
	s_or_b32 exec_lo, exec_lo, s1
	v_mbcnt_lo_u32_b32 v11, -1, 0
	s_mov_b32 s17, 0
	v_cmp_eq_u32_e64 s1, 0, v1
	s_lshl_b64 s[2:3], s[16:17], 6
	s_wait_kmcnt 0x0
	s_cmp_lg_u64 s[8:9], 0
	v_xor_b32_e32 v9, 4, v11
	v_dual_mov_b32 v1, 0 :: v_dual_bitop2_b32 v4, 8, v11 bitop3:0x14
	s_cselect_b32 s5, -1, 0
	s_cmp_lg_u64 s[10:11], 0
	v_xor_b32_e32 v10, 2, v11
	s_delay_alu instid0(VALU_DEP_2)
	v_cmp_gt_i32_e32 vcc_lo, 32, v4
	s_cselect_b32 s4, -1, 0
	v_dual_cndmask_b32 v4, v11, v4, vcc_lo :: v_dual_bitop2_b32 v12, 1, v11 bitop3:0x14
	v_cmp_gt_i32_e32 vcc_lo, 32, v9
	v_cndmask_b32_e32 v9, v11, v9, vcc_lo
	v_cmp_gt_i32_e32 vcc_lo, 32, v10
	s_delay_alu instid0(VALU_DEP_2)
	v_dual_lshlrev_b32 v9, 2, v9 :: v_dual_lshlrev_b32 v8, 2, v4
	v_cndmask_b32_e32 v10, v11, v10, vcc_lo
	v_cmp_gt_i32_e32 vcc_lo, 32, v12
	s_wait_dscnt 0x1
	ds_bpermute_b32 v5, v8, v3
	s_wait_dscnt 0x1
	ds_bpermute_b32 v4, v8, v2
	v_dual_cndmask_b32 v11, v11, v12 :: v_dual_lshlrev_b32 v10, 2, v10
	s_wait_dscnt 0x0
	v_pk_add_f32 v[2:3], v[2:3], v[4:5]
	ds_bpermute_b32 v5, v9, v3
	ds_bpermute_b32 v4, v9, v2
	s_wait_dscnt 0x0
	v_pk_add_f32 v[2:3], v[2:3], v[4:5]
	ds_bpermute_b32 v5, v10, v3
	ds_bpermute_b32 v4, v10, v2
	s_wait_dscnt 0x0
	v_pk_add_f32 v[2:3], v[2:3], v[4:5]
	v_dual_mov_b32 v5, s3 :: v_dual_lshlrev_b32 v11, 2, v11
	v_or_b32_e32 v4, s2, v0
	ds_bpermute_b32 v13, v11, v3
	ds_bpermute_b32 v12, v11, v2
	v_cmp_gt_i64_e32 vcc_lo, s[6:7], v[4:5]
	s_and_b32 s13, s1, vcc_lo
	s_wait_dscnt 0x0
	v_pk_add_f32 v[2:3], v[2:3], v[12:13]
	s_and_saveexec_b32 s12, s13
	s_cbranch_execz .LBB80_89
; %bb.85:
	s_and_not1_b32 vcc_lo, exec_lo, s5
	s_cbranch_vccnz .LBB80_87
; %bb.86:
	v_lshl_add_u64 v[12:13], v[4:5], 1, s[8:9]
	v_cvt_f16_f32_e32 v14, v3
	global_store_b16 v[12:13], v14, off
.LBB80_87:
	s_and_not1_b32 vcc_lo, exec_lo, s4
	s_cbranch_vccnz .LBB80_89
; %bb.88:
	v_lshl_add_u64 v[4:5], v[4:5], 1, s[10:11]
	s_wait_xcnt 0x0
	v_cvt_f16_f32_e32 v12, v2
	global_store_b16 v[4:5], v12, off
.LBB80_89:
	s_wait_xcnt 0x0
	s_or_b32 exec_lo, exec_lo, s12
	v_cmp_gt_u32_e32 vcc_lo, 0x400, v6
	s_and_b32 exec_lo, exec_lo, vcc_lo
	s_cbranch_execz .LBB80_97
; %bb.90:
	s_and_saveexec_b32 s12, s0
	s_cbranch_execz .LBB80_92
; %bb.91:
	v_add_nc_u32_e32 v2, v0, v7
	s_delay_alu instid0(VALU_DEP_1)
	v_lshl_add_u32 v2, v2, 2, 0
	ds_load_b32 v3, v2 offset:128
	ds_load_b32 v2, v2 offset:4288
.LBB80_92:
	s_or_b32 exec_lo, exec_lo, s12
	s_wait_dscnt 0x1
	ds_bpermute_b32 v4, v8, v3
	s_wait_dscnt 0x1
	ds_bpermute_b32 v5, v8, v2
	v_dual_mov_b32 v7, s3 :: v_dual_add_nc_u32 v6, 32, v0
	s_delay_alu instid0(VALU_DEP_1) | instskip(NEXT) | instid1(VALU_DEP_1)
	v_or_b32_e32 v6, s2, v6
	v_cmp_gt_i64_e32 vcc_lo, s[6:7], v[6:7]
	s_and_b32 s0, s1, vcc_lo
	s_wait_dscnt 0x0
	v_dual_add_f32 v3, v3, v4 :: v_dual_add_f32 v2, v2, v5
	ds_bpermute_b32 v4, v9, v3
	ds_bpermute_b32 v5, v9, v2
	s_wait_dscnt 0x0
	v_dual_add_f32 v3, v3, v4 :: v_dual_add_f32 v2, v2, v5
	ds_bpermute_b32 v4, v10, v3
	ds_bpermute_b32 v5, v10, v2
	;; [unrolled: 4-line block ×3, first 2 shown]
	s_and_b32 exec_lo, exec_lo, s0
	s_cbranch_execz .LBB80_97
; %bb.93:
	v_add_nc_u64_e32 v[0:1], s[2:3], v[0:1]
	s_and_not1_b32 vcc_lo, exec_lo, s5
	s_cbranch_vccnz .LBB80_95
; %bb.94:
	s_wait_dscnt 0x1
	v_add_f32_e32 v6, v4, v5
	s_delay_alu instid0(VALU_DEP_2) | instskip(NEXT) | instid1(VALU_DEP_2)
	v_lshl_add_u64 v[4:5], v[0:1], 1, s[8:9]
	v_cvt_f16_f32_e32 v6, v6
	global_store_b16 v[4:5], v6, off offset:64
.LBB80_95:
	s_and_not1_b32 vcc_lo, exec_lo, s4
	s_cbranch_vccnz .LBB80_97
; %bb.96:
	s_wait_dscnt 0x0
	v_add_f32_e32 v2, v2, v3
	v_lshl_add_u64 v[0:1], v[0:1], 1, s[10:11]
	s_delay_alu instid0(VALU_DEP_2)
	v_cvt_f16_f32_e32 v2, v2
	global_store_b16 v[0:1], v2, off offset:64
.LBB80_97:
	s_sendmsg sendmsg(MSG_DEALLOC_VGPRS)
	s_endpgm
	.section	.rodata,"a",@progbits
	.p2align	6, 0x0
	.amdhsa_kernel _ZN2at6native12_GLOBAL__N_135GammaBetaBackwardCUDAKernelTemplateIN3c104HalfEfLj64ELj16ELj128ELb0ELb0ELb0EEEvllPKT_S7_PKT0_SA_PS5_SB_
		.amdhsa_group_segment_fixed_size 0
		.amdhsa_private_segment_fixed_size 0
		.amdhsa_kernarg_size 320
		.amdhsa_user_sgpr_count 2
		.amdhsa_user_sgpr_dispatch_ptr 0
		.amdhsa_user_sgpr_queue_ptr 0
		.amdhsa_user_sgpr_kernarg_segment_ptr 1
		.amdhsa_user_sgpr_dispatch_id 0
		.amdhsa_user_sgpr_kernarg_preload_length 0
		.amdhsa_user_sgpr_kernarg_preload_offset 0
		.amdhsa_user_sgpr_private_segment_size 0
		.amdhsa_wavefront_size32 1
		.amdhsa_uses_dynamic_stack 0
		.amdhsa_enable_private_segment 0
		.amdhsa_system_sgpr_workgroup_id_x 1
		.amdhsa_system_sgpr_workgroup_id_y 1
		.amdhsa_system_sgpr_workgroup_id_z 0
		.amdhsa_system_sgpr_workgroup_info 0
		.amdhsa_system_vgpr_workitem_id 1
		.amdhsa_next_free_vgpr 106
		.amdhsa_next_free_sgpr 52
		.amdhsa_named_barrier_count 0
		.amdhsa_reserve_vcc 1
		.amdhsa_float_round_mode_32 0
		.amdhsa_float_round_mode_16_64 0
		.amdhsa_float_denorm_mode_32 3
		.amdhsa_float_denorm_mode_16_64 3
		.amdhsa_fp16_overflow 0
		.amdhsa_memory_ordered 1
		.amdhsa_forward_progress 1
		.amdhsa_inst_pref_size 57
		.amdhsa_round_robin_scheduling 0
		.amdhsa_exception_fp_ieee_invalid_op 0
		.amdhsa_exception_fp_denorm_src 0
		.amdhsa_exception_fp_ieee_div_zero 0
		.amdhsa_exception_fp_ieee_overflow 0
		.amdhsa_exception_fp_ieee_underflow 0
		.amdhsa_exception_fp_ieee_inexact 0
		.amdhsa_exception_int_div_zero 0
	.end_amdhsa_kernel
	.section	.text._ZN2at6native12_GLOBAL__N_135GammaBetaBackwardCUDAKernelTemplateIN3c104HalfEfLj64ELj16ELj128ELb0ELb0ELb0EEEvllPKT_S7_PKT0_SA_PS5_SB_,"axG",@progbits,_ZN2at6native12_GLOBAL__N_135GammaBetaBackwardCUDAKernelTemplateIN3c104HalfEfLj64ELj16ELj128ELb0ELb0ELb0EEEvllPKT_S7_PKT0_SA_PS5_SB_,comdat
.Lfunc_end80:
	.size	_ZN2at6native12_GLOBAL__N_135GammaBetaBackwardCUDAKernelTemplateIN3c104HalfEfLj64ELj16ELj128ELb0ELb0ELb0EEEvllPKT_S7_PKT0_SA_PS5_SB_, .Lfunc_end80-_ZN2at6native12_GLOBAL__N_135GammaBetaBackwardCUDAKernelTemplateIN3c104HalfEfLj64ELj16ELj128ELb0ELb0ELb0EEEvllPKT_S7_PKT0_SA_PS5_SB_
                                        ; -- End function
	.set _ZN2at6native12_GLOBAL__N_135GammaBetaBackwardCUDAKernelTemplateIN3c104HalfEfLj64ELj16ELj128ELb0ELb0ELb0EEEvllPKT_S7_PKT0_SA_PS5_SB_.num_vgpr, 106
	.set _ZN2at6native12_GLOBAL__N_135GammaBetaBackwardCUDAKernelTemplateIN3c104HalfEfLj64ELj16ELj128ELb0ELb0ELb0EEEvllPKT_S7_PKT0_SA_PS5_SB_.num_agpr, 0
	.set _ZN2at6native12_GLOBAL__N_135GammaBetaBackwardCUDAKernelTemplateIN3c104HalfEfLj64ELj16ELj128ELb0ELb0ELb0EEEvllPKT_S7_PKT0_SA_PS5_SB_.numbered_sgpr, 52
	.set _ZN2at6native12_GLOBAL__N_135GammaBetaBackwardCUDAKernelTemplateIN3c104HalfEfLj64ELj16ELj128ELb0ELb0ELb0EEEvllPKT_S7_PKT0_SA_PS5_SB_.num_named_barrier, 0
	.set _ZN2at6native12_GLOBAL__N_135GammaBetaBackwardCUDAKernelTemplateIN3c104HalfEfLj64ELj16ELj128ELb0ELb0ELb0EEEvllPKT_S7_PKT0_SA_PS5_SB_.private_seg_size, 0
	.set _ZN2at6native12_GLOBAL__N_135GammaBetaBackwardCUDAKernelTemplateIN3c104HalfEfLj64ELj16ELj128ELb0ELb0ELb0EEEvllPKT_S7_PKT0_SA_PS5_SB_.uses_vcc, 1
	.set _ZN2at6native12_GLOBAL__N_135GammaBetaBackwardCUDAKernelTemplateIN3c104HalfEfLj64ELj16ELj128ELb0ELb0ELb0EEEvllPKT_S7_PKT0_SA_PS5_SB_.uses_flat_scratch, 0
	.set _ZN2at6native12_GLOBAL__N_135GammaBetaBackwardCUDAKernelTemplateIN3c104HalfEfLj64ELj16ELj128ELb0ELb0ELb0EEEvllPKT_S7_PKT0_SA_PS5_SB_.has_dyn_sized_stack, 0
	.set _ZN2at6native12_GLOBAL__N_135GammaBetaBackwardCUDAKernelTemplateIN3c104HalfEfLj64ELj16ELj128ELb0ELb0ELb0EEEvllPKT_S7_PKT0_SA_PS5_SB_.has_recursion, 0
	.set _ZN2at6native12_GLOBAL__N_135GammaBetaBackwardCUDAKernelTemplateIN3c104HalfEfLj64ELj16ELj128ELb0ELb0ELb0EEEvllPKT_S7_PKT0_SA_PS5_SB_.has_indirect_call, 0
	.section	.AMDGPU.csdata,"",@progbits
; Kernel info:
; codeLenInByte = 7192
; TotalNumSgprs: 54
; NumVgprs: 106
; ScratchSize: 0
; MemoryBound: 0
; FloatMode: 240
; IeeeMode: 1
; LDSByteSize: 0 bytes/workgroup (compile time only)
; SGPRBlocks: 0
; VGPRBlocks: 6
; NumSGPRsForWavesPerEU: 54
; NumVGPRsForWavesPerEU: 106
; NamedBarCnt: 0
; Occupancy: 9
; WaveLimiterHint : 0
; COMPUTE_PGM_RSRC2:SCRATCH_EN: 0
; COMPUTE_PGM_RSRC2:USER_SGPR: 2
; COMPUTE_PGM_RSRC2:TRAP_HANDLER: 0
; COMPUTE_PGM_RSRC2:TGID_X_EN: 1
; COMPUTE_PGM_RSRC2:TGID_Y_EN: 1
; COMPUTE_PGM_RSRC2:TGID_Z_EN: 0
; COMPUTE_PGM_RSRC2:TIDIG_COMP_CNT: 1
	.section	.text._ZN2at6native12_GLOBAL__N_135GammaBetaBackwardCUDAKernelTemplateIN3c104HalfEfLj64ELj16ELj256ELb0ELb1ELb0EEEvllPKT_S7_PKT0_SA_PS5_SB_,"axG",@progbits,_ZN2at6native12_GLOBAL__N_135GammaBetaBackwardCUDAKernelTemplateIN3c104HalfEfLj64ELj16ELj256ELb0ELb1ELb0EEEvllPKT_S7_PKT0_SA_PS5_SB_,comdat
	.globl	_ZN2at6native12_GLOBAL__N_135GammaBetaBackwardCUDAKernelTemplateIN3c104HalfEfLj64ELj16ELj256ELb0ELb1ELb0EEEvllPKT_S7_PKT0_SA_PS5_SB_ ; -- Begin function _ZN2at6native12_GLOBAL__N_135GammaBetaBackwardCUDAKernelTemplateIN3c104HalfEfLj64ELj16ELj256ELb0ELb1ELb0EEEvllPKT_S7_PKT0_SA_PS5_SB_
	.p2align	8
	.type	_ZN2at6native12_GLOBAL__N_135GammaBetaBackwardCUDAKernelTemplateIN3c104HalfEfLj64ELj16ELj256ELb0ELb1ELb0EEEvllPKT_S7_PKT0_SA_PS5_SB_,@function
_ZN2at6native12_GLOBAL__N_135GammaBetaBackwardCUDAKernelTemplateIN3c104HalfEfLj64ELj16ELj256ELb0ELb1ELb0EEEvllPKT_S7_PKT0_SA_PS5_SB_: ; @_ZN2at6native12_GLOBAL__N_135GammaBetaBackwardCUDAKernelTemplateIN3c104HalfEfLj64ELj16ELj256ELb0ELb1ELb0EEEvllPKT_S7_PKT0_SA_PS5_SB_
; %bb.0:
	s_load_b128 s[12:15], s[0:1], 0x0
	s_bfe_u32 s2, ttmp6, 0x40010
	s_bfe_u32 s4, ttmp6, 0x40004
	s_add_co_i32 s2, s2, 1
	s_getreg_b32 s3, hwreg(HW_REG_IB_STS2, 6, 4)
	s_mul_i32 s2, ttmp7, s2
	s_mov_b32 s17, 0
	s_add_co_i32 s4, s4, s2
	s_cmp_eq_u32 s3, 0
	v_bfe_u32 v11, v0, 10, 10
	s_cselect_b32 s2, ttmp7, s4
	s_delay_alu instid0(SALU_CYCLE_1)
	s_lshl_b32 s16, s2, 8
	s_wait_kmcnt 0x0
	v_cmp_gt_i64_e64 s2, s[12:13], s[16:17]
	s_and_b32 vcc_lo, exec_lo, s2
	s_cbranch_vccnz .LBB81_2
; %bb.1:
	v_bfe_u32 v1, v0, 10, 10
	s_mov_b32 s2, s17
	s_branch .LBB81_3
.LBB81_2:
	s_mov_b32 s2, -1
                                        ; implicit-def: $vgpr1
.LBB81_3:
	v_mov_b32_e32 v9, 0
	v_and_b32_e32 v10, 0x3ff, v0
	s_and_not1_b32 vcc_lo, exec_lo, s2
	s_delay_alu instid0(VALU_DEP_2)
	v_mov_b32_e32 v8, v9
	s_cbranch_vccnz .LBB81_11
; %bb.4:
	v_dual_mov_b32 v1, 0 :: v_dual_lshlrev_b32 v0, 4, v11
	s_clause 0x1
	s_load_b32 s2, s[0:1], 0x44
	s_load_b32 s18, s[0:1], 0x4c
	s_bfe_u32 s21, ttmp6, 0x4000c
	s_and_b32 s20, ttmp6, 15
	s_add_co_i32 s21, s21, 1
	v_add_nc_u64_e32 v[2:3], s[16:17], v[0:1]
	s_mul_i32 s21, ttmp9, s21
	s_load_b256 s[4:11], s[0:1], 0x10
	s_add_co_i32 s20, s20, s21
	v_dual_mov_b32 v21, 44 :: v_dual_mov_b32 v5, v1
	s_mov_b32 s19, 0
	s_delay_alu instid0(VALU_DEP_2)
	v_mul_u64_e32 v[6:7], s[14:15], v[2:3]
	v_dual_mov_b32 v0, 16 :: v_dual_mov_b32 v12, 4
	v_dual_mov_b32 v13, 8 :: v_dual_mov_b32 v14, 12
	;; [unrolled: 1-line block ×4, first 2 shown]
	s_wait_kmcnt 0x0
	s_and_b32 s18, s18, 0xffff
	s_cmp_eq_u32 s3, 0
	v_mad_u32_u24 v4, v11, s18, v10
	v_mov_b32_e32 v9, v1
	s_cselect_b32 s18, ttmp9, s20
	v_dual_mov_b32 v19, 36 :: v_dual_mov_b32 v20, 40
	s_delay_alu instid0(VALU_DEP_3) | instskip(SKIP_3) | instid1(VALU_DEP_3)
	v_and_b32_e32 v4, 31, v4
	v_lshl_add_u32 v8, s18, 6, v10
	s_lshl_b32 s18, s2, 8
	v_dual_mov_b32 v22, 48 :: v_dual_mov_b32 v23, 52
	v_add_nc_u64_e32 v[2:3], v[2:3], v[4:5]
	s_delay_alu instid0(VALU_DEP_3)
	v_lshlrev_b64_e32 v[26:27], 1, v[8:9]
	v_cmp_gt_u32_e64 s2, 16, v4
	v_dual_mov_b32 v24, 56 :: v_dual_mov_b32 v25, 60
	v_mov_b32_e32 v8, 0
	s_mul_u64 s[22:23], s[14:15], s[18:19]
	v_lshlrev_b64_e32 v[4:5], 2, v[2:3]
	s_lshl_b64 s[20:21], s[18:19], 2
	s_lshl_b64 s[22:23], s[22:23], 1
	;; [unrolled: 1-line block ×3, first 2 shown]
	v_lshl_add_u64 v[6:7], v[6:7], 1, v[26:27]
	s_branch .LBB81_7
.LBB81_5:                               ;   in Loop: Header=BB81_7 Depth=1
	s_wait_xcnt 0x0
	s_or_b32 exec_lo, exec_lo, s25
.LBB81_6:                               ;   in Loop: Header=BB81_7 Depth=1
	s_delay_alu instid0(SALU_CYCLE_1)
	s_or_b32 exec_lo, exec_lo, s24
	v_add_nc_u64_e32 v[28:29], s[6:7], v[6:7]
	v_add_nc_u64_e32 v[30:31], s[4:5], v[6:7]
	s_wait_loadcnt 0x1
	ds_bpermute_b32 v54, v1, v27
	s_wait_loadcnt 0x0
	ds_bpermute_b32 v58, v1, v26
	s_add_nc_u64 s[16:17], s[16:17], s[18:19]
	v_add_nc_u64_e32 v[4:5], s[20:21], v[4:5]
	v_cmp_lt_i64_e64 s24, s[16:17], s[12:13]
	global_load_u16 v40, v[28:29], off
	global_load_u16 v41, v[30:31], off
	s_wait_xcnt 0x1
	v_add_nc_u64_e32 v[28:29], s[14:15], v[28:29]
	s_wait_xcnt 0x0
	v_add_nc_u64_e32 v[30:31], s[14:15], v[30:31]
	v_add_nc_u64_e32 v[2:3], s[18:19], v[2:3]
	;; [unrolled: 1-line block ×3, first 2 shown]
	global_load_u16 v42, v[28:29], off
	global_load_u16 v43, v[30:31], off
	s_wait_xcnt 0x1
	v_add_nc_u64_e32 v[28:29], s[14:15], v[28:29]
	s_wait_xcnt 0x0
	v_add_nc_u64_e32 v[30:31], s[14:15], v[30:31]
	s_and_b32 vcc_lo, exec_lo, s24
	global_load_u16 v44, v[28:29], off
	global_load_u16 v45, v[30:31], off
	s_wait_xcnt 0x1
	v_add_nc_u64_e32 v[28:29], s[14:15], v[28:29]
	s_wait_xcnt 0x0
	v_add_nc_u64_e32 v[30:31], s[14:15], v[30:31]
	global_load_u16 v46, v[28:29], off
	s_wait_xcnt 0x0
	v_add_nc_u64_e32 v[28:29], s[14:15], v[28:29]
	global_load_u16 v47, v[30:31], off
	;; [unrolled: 3-line block ×3, first 2 shown]
	s_wait_xcnt 0x0
	v_add_nc_u64_e32 v[28:29], s[14:15], v[28:29]
	v_add_nc_u64_e32 v[32:33], s[14:15], v[30:31]
	global_load_u16 v49, v[30:31], off
	global_load_u16 v50, v[28:29], off
	;; [unrolled: 1-line block ×3, first 2 shown]
	s_wait_xcnt 0x2
	v_add_nc_u64_e32 v[30:31], s[14:15], v[28:29]
	s_wait_xcnt 0x1
	v_add_nc_u64_e32 v[28:29], s[14:15], v[32:33]
	s_delay_alu instid0(VALU_DEP_2) | instskip(SKIP_1) | instid1(VALU_DEP_2)
	v_add_nc_u64_e32 v[34:35], s[14:15], v[30:31]
	s_wait_xcnt 0x0
	v_add_nc_u64_e32 v[32:33], s[14:15], v[28:29]
	global_load_u16 v52, v[30:31], off
	global_load_u16 v53, v[28:29], off
	s_wait_xcnt 0x1
	v_add_nc_u64_e32 v[30:31], s[14:15], v[34:35]
	s_wait_xcnt 0x0
	v_add_nc_u64_e32 v[28:29], s[14:15], v[32:33]
	global_load_u16 v55, v[34:35], off
	global_load_u16 v56, v[32:33], off
	v_add_nc_u64_e32 v[36:37], s[14:15], v[30:31]
	v_add_nc_u64_e32 v[38:39], s[14:15], v[28:29]
	global_load_u16 v57, v[30:31], off
	global_load_u16 v59, v[28:29], off
	;; [unrolled: 1-line block ×3, first 2 shown]
	s_wait_xcnt 0x4
	v_add_nc_u64_e32 v[34:35], s[14:15], v[36:37]
	s_wait_xcnt 0x3
	v_add_nc_u64_e32 v[32:33], s[14:15], v[38:39]
	global_load_u16 v38, v[38:39], off
	s_wait_xcnt 0x3
	v_add_nc_u64_e32 v[30:31], s[14:15], v[34:35]
	s_wait_xcnt 0x2
	v_add_nc_u64_e32 v[28:29], s[14:15], v[32:33]
	global_load_u16 v39, v[32:33], off
	v_add_nc_u64_e32 v[36:37], s[14:15], v[30:31]
	s_wait_loadcnt 0x14
	v_cvt_f32_f16_e32 v40, v40
	s_wait_loadcnt 0x13
	s_wait_xcnt 0x0
	v_cvt_f32_f16_e32 v32, v41
	global_load_u16 v41, v[28:29], off
	s_wait_dscnt 0x1
	v_sub_f32_e32 v33, v40, v54
	global_load_u16 v40, v[34:35], off
	s_wait_xcnt 0x0
	v_add_nc_u64_e32 v[34:35], s[14:15], v[28:29]
	v_add_nc_u64_e32 v[28:29], s[14:15], v[36:37]
	global_load_u16 v54, v[30:31], off
	global_load_u16 v61, v[36:37], off
	v_mul_f32_e32 v33, v33, v32
	s_wait_xcnt 0x1
	v_add_nc_u64_e32 v[30:31], s[14:15], v[34:35]
	s_wait_xcnt 0x0
	v_add_nc_u64_e32 v[36:37], s[14:15], v[28:29]
	s_wait_dscnt 0x0
	v_mul_f32_e32 v33, v33, v58
	global_load_u16 v58, v[34:35], off
	global_load_u16 v62, v[30:31], off
	;; [unrolled: 1-line block ×3, first 2 shown]
                                        ; kill: killed $vgpr28_vgpr29
                                        ; kill: killed $vgpr34_vgpr35
	global_load_u16 v34, v[36:37], off
	s_wait_xcnt 0x2
	v_add_nc_u64_e32 v[30:31], s[14:15], v[30:31]
	s_wait_xcnt 0x1
	v_add_nc_u64_e32 v[28:29], s[14:15], v[36:37]
	global_load_u16 v35, v[28:29], off
	global_load_u16 v36, v[30:31], off
	s_wait_xcnt 0x1
	v_add_nc_u64_e32 v[28:29], s[14:15], v[30:31]
	s_wait_loadcnt 0x1c
	s_wait_xcnt 0x0
	v_cvt_f32_f16_e32 v30, v42
	ds_bpermute_b32 v31, v13, v27
	ds_bpermute_b32 v42, v14, v26
	global_load_u16 v37, v[28:29], off
	s_wait_xcnt 0x0
	ds_bpermute_b32 v28, v12, v27
	ds_bpermute_b32 v29, v12, v26
	s_wait_dscnt 0x1
	v_sub_f32_e32 v30, v30, v28
	s_wait_loadcnt 0x1c
	v_cvt_f32_f16_e32 v28, v43
	s_wait_loadcnt 0x19
	v_cvt_f32_f16_e32 v43, v46
	ds_bpermute_b32 v46, v16, v27
	v_mul_f32_e32 v30, v30, v28
	v_pk_add_f32 v[8:9], v[8:9], v[32:33]
	ds_bpermute_b32 v33, v14, v27
	ds_bpermute_b32 v32, v13, v26
	s_wait_dscnt 0x3
	v_mul_f32_e32 v29, v30, v29
	v_cvt_f32_f16_e32 v30, v44
	s_wait_loadcnt 0x17
	v_cvt_f32_f16_e32 v44, v48
	ds_bpermute_b32 v48, v18, v26
	v_pk_add_f32 v[8:9], v[8:9], v[28:29]
	v_sub_f32_e32 v31, v30, v31
	v_cvt_f32_f16_e32 v30, v45
	ds_bpermute_b32 v29, v0, v27
	ds_bpermute_b32 v45, v15, v26
	s_wait_dscnt 0x4
	v_sub_f32_e32 v33, v43, v33
	v_mul_f32_e32 v28, v31, v30
	ds_bpermute_b32 v43, v0, v26
	s_wait_dscnt 0x4
	v_mul_f32_e32 v31, v28, v32
	ds_bpermute_b32 v32, v15, v27
	v_cvt_f32_f16_e32 v28, v47
	ds_bpermute_b32 v47, v17, v27
	v_pk_add_f32 v[8:9], v[8:9], v[30:31]
	s_wait_dscnt 0x4
	v_sub_f32_e32 v31, v44, v29
	s_wait_loadcnt 0x16
	v_cvt_f32_f16_e32 v30, v49
	v_mul_f32_e32 v33, v33, v28
	s_wait_loadcnt 0x15
	v_cvt_f32_f16_e32 v44, v50
	ds_bpermute_b32 v49, v19, v27
	ds_bpermute_b32 v50, v21, v27
	v_mul_f32_e32 v31, v31, v30
	v_mul_f32_e32 v29, v33, v42
	ds_bpermute_b32 v33, v16, v26
	ds_bpermute_b32 v42, v17, v26
	s_wait_dscnt 0x6
	v_mul_f32_e32 v31, v31, v43
	v_pk_add_f32 v[8:9], v[8:9], v[28:29]
	s_wait_loadcnt 0x14
	v_cvt_f32_f16_e32 v28, v51
	ds_bpermute_b32 v43, v19, v26
	s_wait_dscnt 0x6
	v_sub_f32_e32 v29, v44, v32
	ds_bpermute_b32 v32, v18, v27
	s_wait_loadcnt 0x13
	v_cvt_f32_f16_e32 v44, v52
	v_pk_add_f32 v[8:9], v[8:9], v[30:31]
	s_wait_loadcnt 0x12
	v_cvt_f32_f16_e32 v30, v53
	v_mul_f32_e32 v29, v29, v28
	ds_bpermute_b32 v52, v22, v27
	v_sub_f32_e32 v31, v44, v46
	ds_bpermute_b32 v44, v20, v26
	ds_bpermute_b32 v46, v21, v26
	v_mul_f32_e32 v29, v29, v45
	ds_bpermute_b32 v45, v20, v27
	v_mul_f32_e32 v31, v31, v30
	ds_bpermute_b32 v53, v23, v27
	ds_bpermute_b32 v51, v22, v26
	v_pk_add_f32 v[8:9], v[8:9], v[28:29]
	s_wait_loadcnt 0x11
	v_cvt_f32_f16_e32 v29, v55
	s_wait_dscnt 0x9
	v_mul_f32_e32 v31, v31, v33
	s_wait_loadcnt 0xf
	v_cvt_f32_f16_e32 v33, v57
	v_cvt_f32_f16_e32 v28, v56
	ds_bpermute_b32 v55, v24, v26
	v_sub_f32_e32 v29, v29, v47
	v_pk_add_f32 v[8:9], v[8:9], v[30:31]
	s_wait_dscnt 0x7
	v_sub_f32_e32 v31, v33, v32
	s_wait_loadcnt 0xd
	v_cvt_f32_f16_e32 v33, v60
	v_cvt_f32_f16_e32 v30, v59
	s_wait_loadcnt 0xc
	v_cvt_f32_f16_e32 v32, v38
	ds_bpermute_b32 v38, v25, v27
	ds_bpermute_b32 v47, v23, v26
	v_sub_f32_e32 v33, v33, v49
	v_dual_mul_f32 v29, v29, v28 :: v_dual_mul_f32 v31, v31, v30
	s_delay_alu instid0(VALU_DEP_1) | instskip(SKIP_4) | instid1(VALU_DEP_2)
	v_dual_mul_f32 v29, v29, v42 :: v_dual_mul_f32 v31, v31, v48
	ds_bpermute_b32 v42, v24, v27
	v_pk_add_f32 v[8:9], v[8:9], v[28:29]
	s_wait_loadcnt 0xb
	v_cvt_f32_f16_e32 v28, v39
	v_pk_add_f32 v[8:9], v[8:9], v[30:31]
	s_wait_loadcnt 0xa
	v_cvt_f32_f16_e32 v30, v41
	s_wait_loadcnt 0x9
	v_cvt_f32_f16_e32 v27, v40
	v_mul_f32_e32 v29, v33, v32
	s_wait_loadcnt 0x8
	v_cvt_f32_f16_e32 v39, v54
	s_wait_dscnt 0x6
	s_delay_alu instid0(VALU_DEP_2) | instskip(NEXT) | instid1(VALU_DEP_2)
	v_dual_sub_f32 v27, v27, v45 :: v_dual_mul_f32 v33, v29, v43
	v_sub_f32_e32 v31, v39, v50
	s_wait_loadcnt 0x7
	v_cvt_f32_f16_e32 v39, v61
	s_delay_alu instid0(VALU_DEP_3)
	v_mul_f32_e32 v27, v27, v28
	v_pk_add_f32 v[8:9], v[8:9], v[32:33]
	s_wait_loadcnt 0x6
	v_cvt_f32_f16_e32 v32, v58
	v_sub_f32_e32 v33, v39, v52
	s_wait_loadcnt 0x4
	v_cvt_f32_f16_e32 v40, v63
	v_mul_f32_e32 v29, v27, v44
	v_mul_f32_e32 v27, v31, v30
	ds_bpermute_b32 v39, v25, v26
	v_cvt_f32_f16_e32 v26, v62
	s_wait_loadcnt 0x3
	v_cvt_f32_f16_e32 v34, v34
	v_mul_f32_e32 v31, v27, v46
	v_pk_add_f32 v[8:9], v[8:9], v[28:29]
	s_wait_dscnt 0x6
	v_dual_mul_f32 v27, v33, v32 :: v_dual_sub_f32 v29, v40, v53
	s_wait_loadcnt 0x1
	v_cvt_f32_f16_e32 v28, v36
	v_pk_add_f32 v[8:9], v[8:9], v[30:31]
	s_wait_dscnt 0x5
	v_dual_mul_f32 v33, v27, v51 :: v_dual_mul_f32 v27, v29, v26
	s_wait_dscnt 0x1
	v_sub_f32_e32 v29, v34, v42
	v_cvt_f32_f16_e32 v31, v35
	s_wait_loadcnt 0x0
	v_cvt_f32_f16_e32 v30, v37
	v_pk_add_f32 v[8:9], v[8:9], v[32:33]
	v_dual_mul_f32 v27, v27, v47 :: v_dual_mul_f32 v29, v29, v28
	v_sub_f32_e32 v31, v31, v38
	s_delay_alu instid0(VALU_DEP_2) | instskip(NEXT) | instid1(VALU_DEP_2)
	v_pk_add_f32 v[8:9], v[8:9], v[26:27]
	v_dual_mul_f32 v29, v29, v55 :: v_dual_mul_f32 v26, v31, v30
	s_delay_alu instid0(VALU_DEP_1) | instskip(SKIP_1) | instid1(VALU_DEP_2)
	v_pk_add_f32 v[8:9], v[8:9], v[28:29]
	s_wait_dscnt 0x0
	v_mul_f32_e32 v31, v26, v39
	s_delay_alu instid0(VALU_DEP_1)
	v_pk_add_f32 v[8:9], v[8:9], v[30:31]
	s_cbranch_vccz .LBB81_10
.LBB81_7:                               ; =>This Inner Loop Header: Depth=1
	v_dual_mov_b32 v26, 0 :: v_dual_mov_b32 v27, 0
	s_and_saveexec_b32 s24, s2
	s_cbranch_execz .LBB81_6
; %bb.8:                                ;   in Loop: Header=BB81_7 Depth=1
	v_dual_mov_b32 v27, 0 :: v_dual_mov_b32 v26, 0
	s_mov_b32 s25, exec_lo
	v_cmpx_gt_i64_e64 s[12:13], v[2:3]
	s_cbranch_execz .LBB81_5
; %bb.9:                                ;   in Loop: Header=BB81_7 Depth=1
	v_add_nc_u64_e32 v[28:29], s[8:9], v[4:5]
	v_add_nc_u64_e32 v[30:31], s[10:11], v[4:5]
	global_load_b32 v27, v[28:29], off
	global_load_b32 v26, v[30:31], off
	s_branch .LBB81_5
.LBB81_10:
	v_mov_b32_e32 v1, v11
.LBB81_11:
	s_load_b128 s[4:7], s[0:1], 0x30
	s_delay_alu instid0(VALU_DEP_1) | instskip(SKIP_2) | instid1(VALU_DEP_1)
	v_mad_u32_u24 v0, 0x41, v1, v10
	s_wait_xcnt 0x0
	s_mov_b32 s0, exec_lo
	v_lshl_add_u32 v2, v0, 2, 0
	v_sub_nc_u32_e32 v6, v0, v1
	ds_store_b32 v2, v9
	ds_store_b32 v2, v8 offset:4160
	s_wait_dscnt 0x0
	s_barrier_signal -1
	s_barrier_wait -1
	v_cmpx_gt_u32_e32 0x800, v6
	s_cbranch_execz .LBB81_27
; %bb.12:
	v_and_b32_e32 v1, 31, v10
	v_lshrrev_b32_e32 v0, 5, v6
                                        ; implicit-def: $vgpr2
	s_delay_alu instid0(VALU_DEP_2)
	v_cmp_gt_u32_e64 s0, 16, v1
	v_mul_u32_u24_e32 v7, 0x41, v1
	s_and_saveexec_b32 s1, s0
	s_cbranch_execz .LBB81_14
; %bb.13:
	s_delay_alu instid0(VALU_DEP_1) | instskip(NEXT) | instid1(VALU_DEP_1)
	v_add_nc_u32_e32 v1, v0, v7
	v_lshl_add_u32 v1, v1, 2, 0
	ds_load_b32 v3, v1
	ds_load_b32 v2, v1 offset:4160
.LBB81_14:
	s_or_b32 exec_lo, exec_lo, s1
	v_mbcnt_lo_u32_b32 v1, -1, 0
	s_bfe_u32 s1, ttmp6, 0x4000c
	s_and_b32 s2, ttmp6, 15
	s_add_co_i32 s1, s1, 1
	s_delay_alu instid0(SALU_CYCLE_1)
	s_mul_i32 s1, ttmp9, s1
	v_xor_b32_e32 v12, 1, v1
	v_xor_b32_e32 v11, 2, v1
	;; [unrolled: 1-line block ×3, first 2 shown]
	s_add_co_i32 s2, s2, s1
	s_cmp_eq_u32 s3, 0
	s_mov_b32 s3, 0
	s_cselect_b32 s2, ttmp9, s2
	v_cmp_gt_i32_e32 vcc_lo, 32, v4
	s_lshl_b64 s[2:3], s[2:3], 6
	v_xor_b32_e32 v9, 4, v1
	s_wait_kmcnt 0x0
	s_cmp_lg_u64 s[4:5], 0
	v_cmp_eq_u32_e64 s1, 0, v10
	v_cndmask_b32_e32 v4, v1, v4, vcc_lo
	s_cselect_b32 s9, -1, 0
	v_cmp_gt_i32_e32 vcc_lo, 32, v9
	s_cmp_lg_u64 s[6:7], 0
	s_delay_alu instid0(VALU_DEP_2)
	v_lshlrev_b32_e32 v8, 2, v4
	s_cselect_b32 s8, -1, 0
	v_cndmask_b32_e32 v9, v1, v9, vcc_lo
	v_cmp_gt_i32_e32 vcc_lo, 32, v11
	s_wait_dscnt 0x1
	ds_bpermute_b32 v5, v8, v3
	s_wait_dscnt 0x1
	ds_bpermute_b32 v4, v8, v2
	v_dual_cndmask_b32 v11, v1, v11, vcc_lo :: v_dual_lshlrev_b32 v9, 2, v9
	v_cmp_gt_i32_e32 vcc_lo, 32, v12
	s_delay_alu instid0(VALU_DEP_2) | instskip(NEXT) | instid1(VALU_DEP_1)
	v_dual_lshlrev_b32 v11, 2, v11 :: v_dual_cndmask_b32 v1, v1, v12, vcc_lo
	v_dual_mov_b32 v1, 0 :: v_dual_lshlrev_b32 v12, 2, v1
	s_wait_dscnt 0x0
	v_pk_add_f32 v[2:3], v[2:3], v[4:5]
	ds_bpermute_b32 v5, v9, v3
	ds_bpermute_b32 v4, v9, v2
	s_wait_dscnt 0x0
	v_pk_add_f32 v[2:3], v[2:3], v[4:5]
	ds_bpermute_b32 v5, v11, v3
	ds_bpermute_b32 v4, v11, v2
	;; [unrolled: 4-line block ×3, first 2 shown]
	s_wait_dscnt 0x0
	v_pk_add_f32 v[2:3], v[2:3], v[4:5]
	s_and_saveexec_b32 s10, s1
	s_cbranch_execz .LBB81_19
; %bb.15:
	v_dual_mov_b32 v5, s3 :: v_dual_bitop2_b32 v4, s2, v0 bitop3:0x54
	s_and_not1_b32 vcc_lo, exec_lo, s9
	s_cbranch_vccnz .LBB81_17
; %bb.16:
	s_delay_alu instid0(VALU_DEP_1)
	v_lshl_add_u64 v[14:15], v[4:5], 1, s[4:5]
	v_cvt_f16_f32_e32 v10, v3
	global_store_b16 v[14:15], v10, off
.LBB81_17:
	s_and_not1_b32 vcc_lo, exec_lo, s8
	s_cbranch_vccnz .LBB81_19
; %bb.18:
	v_lshl_add_u64 v[4:5], v[4:5], 1, s[6:7]
	s_wait_xcnt 0x0
	v_cvt_f16_f32_e32 v10, v2
	global_store_b16 v[4:5], v10, off
.LBB81_19:
	s_wait_xcnt 0x0
	s_or_b32 exec_lo, exec_lo, s10
	v_cmp_gt_u32_e32 vcc_lo, 0x400, v6
	s_and_b32 exec_lo, exec_lo, vcc_lo
	s_cbranch_execz .LBB81_27
; %bb.20:
	s_and_saveexec_b32 s10, s0
	s_cbranch_execz .LBB81_22
; %bb.21:
	v_add_nc_u32_e32 v2, v0, v7
	s_delay_alu instid0(VALU_DEP_1)
	v_lshl_add_u32 v2, v2, 2, 0
	ds_load_b32 v3, v2 offset:128
	ds_load_b32 v2, v2 offset:4288
.LBB81_22:
	s_or_b32 exec_lo, exec_lo, s10
	s_wait_dscnt 0x1
	ds_bpermute_b32 v4, v8, v3
	s_wait_dscnt 0x1
	ds_bpermute_b32 v5, v8, v2
	s_wait_dscnt 0x0
	v_dual_add_f32 v3, v3, v4 :: v_dual_add_f32 v2, v2, v5
	ds_bpermute_b32 v4, v9, v3
	ds_bpermute_b32 v5, v9, v2
	s_wait_dscnt 0x0
	v_dual_add_f32 v3, v3, v4 :: v_dual_add_f32 v2, v2, v5
	ds_bpermute_b32 v4, v11, v3
	;; [unrolled: 4-line block ×3, first 2 shown]
	ds_bpermute_b32 v3, v12, v2
	s_and_b32 exec_lo, exec_lo, s1
	s_cbranch_execz .LBB81_27
; %bb.23:
	v_add_nc_u64_e32 v[0:1], s[2:3], v[0:1]
	s_and_not1_b32 vcc_lo, exec_lo, s9
	s_cbranch_vccnz .LBB81_25
; %bb.24:
	s_wait_dscnt 0x1
	v_add_f32_e32 v6, v4, v5
	s_delay_alu instid0(VALU_DEP_2) | instskip(NEXT) | instid1(VALU_DEP_2)
	v_lshl_add_u64 v[4:5], v[0:1], 1, s[4:5]
	v_cvt_f16_f32_e32 v6, v6
	global_store_b16 v[4:5], v6, off offset:64
.LBB81_25:
	s_and_not1_b32 vcc_lo, exec_lo, s8
	s_cbranch_vccnz .LBB81_27
; %bb.26:
	s_wait_dscnt 0x0
	v_add_f32_e32 v2, v2, v3
	v_lshl_add_u64 v[0:1], v[0:1], 1, s[6:7]
	s_delay_alu instid0(VALU_DEP_2)
	v_cvt_f16_f32_e32 v2, v2
	global_store_b16 v[0:1], v2, off offset:64
.LBB81_27:
	s_endpgm
	.section	.rodata,"a",@progbits
	.p2align	6, 0x0
	.amdhsa_kernel _ZN2at6native12_GLOBAL__N_135GammaBetaBackwardCUDAKernelTemplateIN3c104HalfEfLj64ELj16ELj256ELb0ELb1ELb0EEEvllPKT_S7_PKT0_SA_PS5_SB_
		.amdhsa_group_segment_fixed_size 0
		.amdhsa_private_segment_fixed_size 0
		.amdhsa_kernarg_size 320
		.amdhsa_user_sgpr_count 2
		.amdhsa_user_sgpr_dispatch_ptr 0
		.amdhsa_user_sgpr_queue_ptr 0
		.amdhsa_user_sgpr_kernarg_segment_ptr 1
		.amdhsa_user_sgpr_dispatch_id 0
		.amdhsa_user_sgpr_kernarg_preload_length 0
		.amdhsa_user_sgpr_kernarg_preload_offset 0
		.amdhsa_user_sgpr_private_segment_size 0
		.amdhsa_wavefront_size32 1
		.amdhsa_uses_dynamic_stack 0
		.amdhsa_enable_private_segment 0
		.amdhsa_system_sgpr_workgroup_id_x 1
		.amdhsa_system_sgpr_workgroup_id_y 1
		.amdhsa_system_sgpr_workgroup_id_z 0
		.amdhsa_system_sgpr_workgroup_info 0
		.amdhsa_system_vgpr_workitem_id 1
		.amdhsa_next_free_vgpr 64
		.amdhsa_next_free_sgpr 26
		.amdhsa_named_barrier_count 0
		.amdhsa_reserve_vcc 1
		.amdhsa_float_round_mode_32 0
		.amdhsa_float_round_mode_16_64 0
		.amdhsa_float_denorm_mode_32 3
		.amdhsa_float_denorm_mode_16_64 3
		.amdhsa_fp16_overflow 0
		.amdhsa_memory_ordered 1
		.amdhsa_forward_progress 1
		.amdhsa_inst_pref_size 23
		.amdhsa_round_robin_scheduling 0
		.amdhsa_exception_fp_ieee_invalid_op 0
		.amdhsa_exception_fp_denorm_src 0
		.amdhsa_exception_fp_ieee_div_zero 0
		.amdhsa_exception_fp_ieee_overflow 0
		.amdhsa_exception_fp_ieee_underflow 0
		.amdhsa_exception_fp_ieee_inexact 0
		.amdhsa_exception_int_div_zero 0
	.end_amdhsa_kernel
	.section	.text._ZN2at6native12_GLOBAL__N_135GammaBetaBackwardCUDAKernelTemplateIN3c104HalfEfLj64ELj16ELj256ELb0ELb1ELb0EEEvllPKT_S7_PKT0_SA_PS5_SB_,"axG",@progbits,_ZN2at6native12_GLOBAL__N_135GammaBetaBackwardCUDAKernelTemplateIN3c104HalfEfLj64ELj16ELj256ELb0ELb1ELb0EEEvllPKT_S7_PKT0_SA_PS5_SB_,comdat
.Lfunc_end81:
	.size	_ZN2at6native12_GLOBAL__N_135GammaBetaBackwardCUDAKernelTemplateIN3c104HalfEfLj64ELj16ELj256ELb0ELb1ELb0EEEvllPKT_S7_PKT0_SA_PS5_SB_, .Lfunc_end81-_ZN2at6native12_GLOBAL__N_135GammaBetaBackwardCUDAKernelTemplateIN3c104HalfEfLj64ELj16ELj256ELb0ELb1ELb0EEEvllPKT_S7_PKT0_SA_PS5_SB_
                                        ; -- End function
	.set _ZN2at6native12_GLOBAL__N_135GammaBetaBackwardCUDAKernelTemplateIN3c104HalfEfLj64ELj16ELj256ELb0ELb1ELb0EEEvllPKT_S7_PKT0_SA_PS5_SB_.num_vgpr, 64
	.set _ZN2at6native12_GLOBAL__N_135GammaBetaBackwardCUDAKernelTemplateIN3c104HalfEfLj64ELj16ELj256ELb0ELb1ELb0EEEvllPKT_S7_PKT0_SA_PS5_SB_.num_agpr, 0
	.set _ZN2at6native12_GLOBAL__N_135GammaBetaBackwardCUDAKernelTemplateIN3c104HalfEfLj64ELj16ELj256ELb0ELb1ELb0EEEvllPKT_S7_PKT0_SA_PS5_SB_.numbered_sgpr, 26
	.set _ZN2at6native12_GLOBAL__N_135GammaBetaBackwardCUDAKernelTemplateIN3c104HalfEfLj64ELj16ELj256ELb0ELb1ELb0EEEvllPKT_S7_PKT0_SA_PS5_SB_.num_named_barrier, 0
	.set _ZN2at6native12_GLOBAL__N_135GammaBetaBackwardCUDAKernelTemplateIN3c104HalfEfLj64ELj16ELj256ELb0ELb1ELb0EEEvllPKT_S7_PKT0_SA_PS5_SB_.private_seg_size, 0
	.set _ZN2at6native12_GLOBAL__N_135GammaBetaBackwardCUDAKernelTemplateIN3c104HalfEfLj64ELj16ELj256ELb0ELb1ELb0EEEvllPKT_S7_PKT0_SA_PS5_SB_.uses_vcc, 1
	.set _ZN2at6native12_GLOBAL__N_135GammaBetaBackwardCUDAKernelTemplateIN3c104HalfEfLj64ELj16ELj256ELb0ELb1ELb0EEEvllPKT_S7_PKT0_SA_PS5_SB_.uses_flat_scratch, 0
	.set _ZN2at6native12_GLOBAL__N_135GammaBetaBackwardCUDAKernelTemplateIN3c104HalfEfLj64ELj16ELj256ELb0ELb1ELb0EEEvllPKT_S7_PKT0_SA_PS5_SB_.has_dyn_sized_stack, 0
	.set _ZN2at6native12_GLOBAL__N_135GammaBetaBackwardCUDAKernelTemplateIN3c104HalfEfLj64ELj16ELj256ELb0ELb1ELb0EEEvllPKT_S7_PKT0_SA_PS5_SB_.has_recursion, 0
	.set _ZN2at6native12_GLOBAL__N_135GammaBetaBackwardCUDAKernelTemplateIN3c104HalfEfLj64ELj16ELj256ELb0ELb1ELb0EEEvllPKT_S7_PKT0_SA_PS5_SB_.has_indirect_call, 0
	.section	.AMDGPU.csdata,"",@progbits
; Kernel info:
; codeLenInByte = 2884
; TotalNumSgprs: 28
; NumVgprs: 64
; ScratchSize: 0
; MemoryBound: 0
; FloatMode: 240
; IeeeMode: 1
; LDSByteSize: 0 bytes/workgroup (compile time only)
; SGPRBlocks: 0
; VGPRBlocks: 3
; NumSGPRsForWavesPerEU: 28
; NumVGPRsForWavesPerEU: 64
; NamedBarCnt: 0
; Occupancy: 16
; WaveLimiterHint : 0
; COMPUTE_PGM_RSRC2:SCRATCH_EN: 0
; COMPUTE_PGM_RSRC2:USER_SGPR: 2
; COMPUTE_PGM_RSRC2:TRAP_HANDLER: 0
; COMPUTE_PGM_RSRC2:TGID_X_EN: 1
; COMPUTE_PGM_RSRC2:TGID_Y_EN: 1
; COMPUTE_PGM_RSRC2:TGID_Z_EN: 0
; COMPUTE_PGM_RSRC2:TIDIG_COMP_CNT: 1
	.section	.text._ZN2at6native12_GLOBAL__N_135GammaBetaBackwardCUDAKernelTemplateIN3c104HalfEfLj64ELj16ELj256ELb0ELb0ELb0EEEvllPKT_S7_PKT0_SA_PS5_SB_,"axG",@progbits,_ZN2at6native12_GLOBAL__N_135GammaBetaBackwardCUDAKernelTemplateIN3c104HalfEfLj64ELj16ELj256ELb0ELb0ELb0EEEvllPKT_S7_PKT0_SA_PS5_SB_,comdat
	.globl	_ZN2at6native12_GLOBAL__N_135GammaBetaBackwardCUDAKernelTemplateIN3c104HalfEfLj64ELj16ELj256ELb0ELb0ELb0EEEvllPKT_S7_PKT0_SA_PS5_SB_ ; -- Begin function _ZN2at6native12_GLOBAL__N_135GammaBetaBackwardCUDAKernelTemplateIN3c104HalfEfLj64ELj16ELj256ELb0ELb0ELb0EEEvllPKT_S7_PKT0_SA_PS5_SB_
	.p2align	8
	.type	_ZN2at6native12_GLOBAL__N_135GammaBetaBackwardCUDAKernelTemplateIN3c104HalfEfLj64ELj16ELj256ELb0ELb0ELb0EEEvllPKT_S7_PKT0_SA_PS5_SB_,@function
_ZN2at6native12_GLOBAL__N_135GammaBetaBackwardCUDAKernelTemplateIN3c104HalfEfLj64ELj16ELj256ELb0ELb0ELb0EEEvllPKT_S7_PKT0_SA_PS5_SB_: ; @_ZN2at6native12_GLOBAL__N_135GammaBetaBackwardCUDAKernelTemplateIN3c104HalfEfLj64ELj16ELj256ELb0ELb0ELb0EEEvllPKT_S7_PKT0_SA_PS5_SB_
; %bb.0:
	s_load_b256 s[4:11], s[0:1], 0x0
	s_bfe_u32 s3, ttmp6, 0x4000c
	s_bfe_u32 s12, ttmp6, 0x40010
	s_add_co_i32 s3, s3, 1
	s_add_co_i32 s12, s12, 1
	s_and_b32 s2, ttmp6, 15
	s_bfe_u32 s13, ttmp6, 0x40004
	s_mul_i32 s3, ttmp9, s3
	s_mul_i32 s12, ttmp7, s12
	s_getreg_b32 s14, hwreg(HW_REG_IB_STS2, 6, 4)
	s_add_co_i32 s2, s2, s3
	s_add_co_i32 s3, s13, s12
	s_cmp_eq_u32 s14, 0
	s_mov_b32 s19, 0
	s_cselect_b32 s16, ttmp9, s2
	s_cselect_b32 s2, ttmp7, s3
	s_lshl_b32 s3, s16, 6
	s_load_b128 s[12:15], s[0:1], 0x20
	s_or_b32 s18, s3, 63
	s_wait_kmcnt 0x0
	v_cmp_le_i64_e64 s20, s[6:7], s[18:19]
	s_lshl_b32 s18, s2, 8
	s_delay_alu instid0(SALU_CYCLE_1) | instskip(SKIP_2) | instid1(VALU_DEP_1)
	v_cmp_gt_i64_e64 s17, s[4:5], s[18:19]
	s_and_b32 vcc_lo, exec_lo, s20
	v_cndmask_b32_e64 v1, 0, 1, s17
	v_cmp_ne_u32_e64 s2, 1, v1
	s_cbranch_vccz .LBB82_80
; %bb.1:
	v_mov_b32_e32 v105, 0
	s_and_b32 vcc_lo, exec_lo, s2
	s_delay_alu instid0(VALU_DEP_1)
	v_mov_b32_e32 v104, v105
	s_cbranch_vccnz .LBB82_81
; %bb.2:
	v_bfe_u32 v108, v0, 10, 10
	v_mov_b32_e32 v2, 0
	v_and_b32_e32 v109, 0x3ff, v0
	s_load_b32 s20, s[0:1], 0x44
	s_mov_b32 s21, 0
	s_delay_alu instid0(VALU_DEP_2) | instskip(NEXT) | instid1(VALU_DEP_2)
	v_dual_mov_b32 v37, v2 :: v_dual_lshlrev_b32 v36, 4, v108
	v_dual_mov_b32 v21, v2 :: v_dual_add_nc_u32 v20, s3, v109
	v_mov_b32_e32 v104, 0
	s_mov_b32 s25, s21
	s_delay_alu instid0(VALU_DEP_3)
	v_add_nc_u64_e32 v[34:35], s[18:19], v[36:37]
	v_mov_b32_e32 v105, v2
	v_cmp_gt_i64_e64 s2, s[6:7], v[20:21]
	v_lshlrev_b64_e32 v[116:117], 1, v[20:21]
	s_add_nc_u64 s[22:23], s[0:1], 64
	s_mov_b64 s[26:27], 0xffffffffffffff01
	s_mov_b64 s[28:29], 0xffffffffffffff02
	v_add_nc_u64_e32 v[6:7], 15, v[34:35]
	v_add_nc_u64_e32 v[8:9], 14, v[34:35]
	;; [unrolled: 1-line block ×7, first 2 shown]
	v_mul_u64_e32 v[6:7], s[6:7], v[6:7]
	v_mul_u64_e32 v[8:9], s[6:7], v[8:9]
	;; [unrolled: 1-line block ×4, first 2 shown]
	v_add_nc_u64_e32 v[14:15], 11, v[34:35]
	v_add_nc_u64_e32 v[16:17], 10, v[34:35]
	;; [unrolled: 1-line block ×3, first 2 shown]
	v_mul_u64_e32 v[12:13], s[6:7], v[12:13]
	v_add_nc_u64_e32 v[28:29], 5, v[34:35]
	v_add_nc_u64_e32 v[30:31], 4, v[34:35]
	v_mul_u64_e32 v[22:23], s[6:7], v[22:23]
	v_add_nc_u64_e32 v[32:33], 3, v[34:35]
	v_mul_u64_e32 v[24:25], s[6:7], v[24:25]
	;; [unrolled: 2-line block ×3, first 2 shown]
	v_mul_u64_e32 v[14:15], s[6:7], v[14:15]
	v_mul_u64_e32 v[16:17], s[6:7], v[16:17]
	;; [unrolled: 1-line block ×7, first 2 shown]
	s_wait_kmcnt 0x0
	s_lshl_b32 s24, s20, 8
	s_mov_b64 s[30:31], 0xffffffffffffff03
	s_mul_u64 s[60:61], s[6:7], s[24:25]
	s_mov_b64 s[34:35], 0xffffffffffffff04
	s_mov_b64 s[36:37], 0xffffffffffffff05
	;; [unrolled: 1-line block ×7, first 2 shown]
	v_lshlrev_b64_e32 v[6:7], 1, v[6:7]
	v_lshlrev_b64_e32 v[8:9], 1, v[8:9]
	v_lshlrev_b64_e32 v[10:11], 1, v[10:11]
	v_lshlrev_b64_e32 v[40:41], 1, v[4:5]
	v_add_nc_u64_e32 v[4:5], s[6:7], v[4:5]
	s_mov_b64 s[48:49], 0xffffffffffffff0b
	s_mov_b64 s[50:51], 0xffffffffffffff0c
	v_lshlrev_b64_e32 v[12:13], 1, v[12:13]
	v_add_nc_u64_e32 v[42:43], s[8:9], v[6:7]
	v_add_nc_u64_e32 v[44:45], s[10:11], v[6:7]
	;; [unrolled: 1-line block ×6, first 2 shown]
	v_lshlrev_b64_e32 v[6:7], 1, v[22:23]
	v_lshlrev_b64_e32 v[8:9], 1, v[24:25]
	;; [unrolled: 1-line block ×6, first 2 shown]
	v_add_nc_u64_e32 v[54:55], s[8:9], v[12:13]
	v_add_nc_u64_e32 v[56:57], s[10:11], v[12:13]
	v_add_nc_u64_e32 v[70:71], s[8:9], v[6:7]
	v_add_nc_u64_e32 v[72:73], s[10:11], v[6:7]
	v_add_nc_u64_e32 v[74:75], s[8:9], v[8:9]
	v_lshlrev_b64_e32 v[6:7], 1, v[20:21]
	v_add_nc_u64_e32 v[76:77], s[10:11], v[8:9]
	v_add_nc_u64_e32 v[78:79], s[8:9], v[10:11]
	v_lshlrev_b64_e32 v[8:9], 1, v[28:29]
	v_add_nc_u64_e32 v[80:81], s[10:11], v[10:11]
	v_lshlrev_b64_e32 v[10:11], 1, v[30:31]
	v_lshlrev_b64_e32 v[12:13], 1, v[32:33]
	;; [unrolled: 1-line block ×3, first 2 shown]
	v_add_nc_u64_e32 v[38:39], s[8:9], v[40:41]
	v_add_nc_u64_e32 v[40:41], s[10:11], v[40:41]
	;; [unrolled: 1-line block ×18, first 2 shown]
	s_mov_b64 s[52:53], 0xffffffffffffff0d
	s_mov_b64 s[54:55], 0xffffffffffffff0e
	;; [unrolled: 1-line block ×4, first 2 shown]
	s_lshl_b64 s[60:61], s[60:61], 1
	s_add_nc_u64 s[62:63], s[18:19], 0xff
	s_mov_b64 s[64:65], s[18:19]
	s_branch .LBB82_5
.LBB82_3:                               ;   in Loop: Header=BB82_5 Depth=1
	s_or_b32 exec_lo, exec_lo, s20
	s_wait_loadcnt 0x1
	ds_bpermute_b32 v102, v2, v110
	s_wait_loadcnt 0x0
	ds_bpermute_b32 v3, v2, v111
	v_dual_mov_b32 v106, v6 :: v_dual_mov_b32 v112, v8
	s_wait_dscnt 0x1
	v_sub_f32_e32 v20, v20, v102
	s_delay_alu instid0(VALU_DEP_1) | instskip(SKIP_1) | instid1(VALU_DEP_1)
	v_dual_mov_b32 v102, v4 :: v_dual_mul_f32 v20, v4, v20
	s_wait_dscnt 0x0
	v_mul_f32_e32 v103, v20, v3
	ds_bpermute_b32 v20, v2, v110 offset:4
	ds_bpermute_b32 v3, v2, v111 offset:4
	s_wait_dscnt 0x1
	v_sub_f32_e32 v20, v21, v20
	v_pk_add_f32 v[102:103], v[104:105], v[102:103]
	s_delay_alu instid0(VALU_DEP_2) | instskip(SKIP_1) | instid1(VALU_DEP_1)
	v_mul_f32_e32 v20, v5, v20
	s_wait_dscnt 0x0
	v_mul_f32_e32 v21, v20, v3
	ds_bpermute_b32 v20, v2, v110 offset:8
	ds_bpermute_b32 v3, v2, v111 offset:8
	s_wait_dscnt 0x1
	v_dual_sub_f32 v20, v22, v20 :: v_dual_mov_b32 v22, v7
	s_delay_alu instid0(VALU_DEP_1)
	v_mul_f32_e32 v20, v6, v20
	ds_bpermute_b32 v6, v2, v110 offset:24
	s_wait_dscnt 0x1
	v_mul_f32_e32 v107, v20, v3
	ds_bpermute_b32 v20, v2, v110 offset:12
	ds_bpermute_b32 v3, v2, v111 offset:12
	s_wait_dscnt 0x2
	v_dual_sub_f32 v6, v26, v6 :: v_dual_mov_b32 v26, v15
	s_wait_dscnt 0x1
	s_delay_alu instid0(VALU_DEP_1) | instskip(NEXT) | instid1(VALU_DEP_1)
	v_dual_sub_f32 v20, v23, v20 :: v_dual_mul_f32 v6, v10, v6
	v_mul_f32_e32 v20, v7, v20
	s_wait_dscnt 0x0
	s_delay_alu instid0(VALU_DEP_1) | instskip(SKIP_4) | instid1(VALU_DEP_1)
	v_mul_f32_e32 v23, v20, v3
	ds_bpermute_b32 v20, v2, v110 offset:16
	ds_bpermute_b32 v3, v2, v111 offset:16
	s_wait_dscnt 0x1
	v_dual_sub_f32 v20, v24, v20 :: v_dual_mov_b32 v24, v9
	v_dual_mul_f32 v20, v8, v20 :: v_dual_mov_b32 v8, v11
	s_wait_dscnt 0x0
	s_delay_alu instid0(VALU_DEP_1) | instskip(SKIP_4) | instid1(VALU_DEP_1)
	v_mul_f32_e32 v113, v20, v3
	ds_bpermute_b32 v20, v2, v110 offset:20
	ds_bpermute_b32 v3, v2, v111 offset:20
	s_wait_dscnt 0x1
	v_sub_f32_e32 v20, v25, v20
	v_mul_f32_e32 v20, v9, v20
	s_wait_dscnt 0x0
	s_delay_alu instid0(VALU_DEP_1) | instskip(SKIP_3) | instid1(VALU_DEP_2)
	v_dual_mul_f32 v25, v20, v3 :: v_dual_mov_b32 v20, v5
	ds_bpermute_b32 v3, v2, v111 offset:24
	v_pk_add_f32 v[4:5], v[20:21], v[102:103]
	v_mov_b32_e32 v20, v12
	v_pk_add_f32 v[4:5], v[106:107], v[4:5]
	s_delay_alu instid0(VALU_DEP_1) | instskip(SKIP_1) | instid1(VALU_DEP_2)
	v_pk_add_f32 v[4:5], v[22:23], v[4:5]
	v_mov_b32_e32 v22, v13
	v_pk_add_f32 v[4:5], v[112:113], v[4:5]
	s_wait_dscnt 0x0
	v_mul_f32_e32 v7, v6, v3
	ds_bpermute_b32 v6, v2, v110 offset:28
	ds_bpermute_b32 v3, v2, v111 offset:28
	v_pk_add_f32 v[4:5], v[24:25], v[4:5]
	s_wait_dscnt 0x1
	v_dual_mov_b32 v24, v14 :: v_dual_sub_f32 v6, v27, v6
	s_delay_alu instid0(VALU_DEP_1) | instskip(SKIP_1) | instid1(VALU_DEP_1)
	v_mul_f32_e32 v6, v11, v6
	s_wait_dscnt 0x0
	v_mul_f32_e32 v9, v6, v3
	ds_bpermute_b32 v6, v2, v110 offset:32
	ds_bpermute_b32 v3, v2, v111 offset:32
	s_wait_dscnt 0x1
	v_sub_f32_e32 v6, v28, v6
	v_mov_b32_e32 v28, v16
	s_delay_alu instid0(VALU_DEP_2) | instskip(SKIP_1) | instid1(VALU_DEP_1)
	v_mul_f32_e32 v6, v12, v6
	s_wait_dscnt 0x0
	v_mul_f32_e32 v21, v6, v3
	ds_bpermute_b32 v6, v2, v110 offset:36
	ds_bpermute_b32 v3, v2, v111 offset:36
	s_wait_dscnt 0x1
	v_sub_f32_e32 v6, v29, v6
	s_delay_alu instid0(VALU_DEP_1) | instskip(SKIP_1) | instid1(VALU_DEP_1)
	v_mul_f32_e32 v6, v13, v6
	s_wait_dscnt 0x0
	v_mul_f32_e32 v23, v6, v3
	ds_bpermute_b32 v6, v2, v110 offset:40
	ds_bpermute_b32 v3, v2, v111 offset:40
	s_wait_dscnt 0x1
	v_dual_sub_f32 v6, v30, v6 :: v_dual_mov_b32 v30, v17
	s_delay_alu instid0(VALU_DEP_1) | instskip(SKIP_1) | instid1(VALU_DEP_1)
	v_mul_f32_e32 v6, v14, v6
	s_wait_dscnt 0x0
	v_mul_f32_e32 v25, v6, v3
	ds_bpermute_b32 v6, v2, v110 offset:44
	ds_bpermute_b32 v3, v2, v111 offset:44
	s_wait_dscnt 0x1
	v_sub_f32_e32 v6, v31, v6
	s_delay_alu instid0(VALU_DEP_1) | instskip(SKIP_1) | instid1(VALU_DEP_1)
	v_mul_f32_e32 v6, v15, v6
	s_wait_dscnt 0x0
	v_mul_f32_e32 v27, v6, v3
	ds_bpermute_b32 v6, v2, v110 offset:48
	ds_bpermute_b32 v3, v2, v111 offset:48
	s_wait_dscnt 0x1
	v_sub_f32_e32 v6, v32, v6
	;; [unrolled: 8-line block ×3, first 2 shown]
	s_delay_alu instid0(VALU_DEP_1) | instskip(SKIP_1) | instid1(VALU_DEP_1)
	v_mul_f32_e32 v6, v17, v6
	s_wait_dscnt 0x0
	v_mul_f32_e32 v31, v6, v3
	v_mov_b32_e32 v6, v10
	ds_bpermute_b32 v3, v2, v111 offset:56
	v_pk_add_f32 v[4:5], v[6:7], v[4:5]
	ds_bpermute_b32 v6, v2, v110 offset:56
	v_pk_add_f32 v[4:5], v[8:9], v[4:5]
	s_delay_alu instid0(VALU_DEP_1) | instskip(NEXT) | instid1(VALU_DEP_1)
	v_pk_add_f32 v[4:5], v[20:21], v[4:5]
	v_pk_add_f32 v[4:5], v[22:23], v[4:5]
	s_delay_alu instid0(VALU_DEP_1) | instskip(SKIP_2) | instid1(VALU_DEP_2)
	v_pk_add_f32 v[4:5], v[24:25], v[4:5]
	s_wait_dscnt 0x0
	v_sub_f32_e32 v6, v34, v6
	v_pk_add_f32 v[4:5], v[26:27], v[4:5]
	s_delay_alu instid0(VALU_DEP_2) | instskip(NEXT) | instid1(VALU_DEP_2)
	v_mul_f32_e32 v6, v18, v6
	v_pk_add_f32 v[4:5], v[28:29], v[4:5]
	s_delay_alu instid0(VALU_DEP_2) | instskip(SKIP_3) | instid1(VALU_DEP_1)
	v_mul_f32_e32 v7, v6, v3
	v_mov_b32_e32 v6, v18
	ds_bpermute_b32 v3, v2, v111 offset:60
	v_pk_add_f32 v[4:5], v[30:31], v[4:5]
	v_pk_add_f32 v[106:107], v[6:7], v[4:5]
	ds_bpermute_b32 v4, v2, v110 offset:60
.LBB82_4:                               ;   in Loop: Header=BB82_5 Depth=1
	s_wait_dscnt 0x0
	v_sub_f32_e32 v5, v35, v4
	v_mov_b32_e32 v4, v19
	s_add_nc_u64 s[64:65], s[64:65], s[24:25]
	v_add_nc_u64_e32 v[38:39], s[60:61], v[38:39]
	v_cmp_lt_i64_e64 s20, s[64:65], s[4:5]
	v_mul_f32_e32 v5, v19, v5
	v_add_nc_u64_e32 v[40:41], s[60:61], v[40:41]
	v_add_nc_u64_e32 v[42:43], s[60:61], v[42:43]
	;; [unrolled: 1-line block ×4, first 2 shown]
	v_mul_f32_e32 v5, v5, v3
	v_add_nc_u64_e32 v[48:49], s[60:61], v[48:49]
	v_add_nc_u64_e32 v[50:51], s[60:61], v[50:51]
	;; [unrolled: 1-line block ×27, first 2 shown]
	v_pk_add_f32 v[104:105], v[106:107], v[4:5]
	s_and_b32 vcc_lo, exec_lo, s20
	s_add_nc_u64 s[62:63], s[62:63], s[24:25]
	s_cbranch_vccz .LBB82_81
.LBB82_5:                               ; =>This Inner Loop Header: Depth=1
	v_cmp_ge_i64_e64 s20, s[62:63], s[4:5]
	v_add_nc_u64_e32 v[102:103], s[62:63], v[36:37]
                                        ; implicit-def: $vgpr4_vgpr5_vgpr6_vgpr7_vgpr8_vgpr9_vgpr10_vgpr11_vgpr12_vgpr13_vgpr14_vgpr15_vgpr16_vgpr17_vgpr18_vgpr19
                                        ; implicit-def: $vgpr106_vgpr107
                                        ; implicit-def: $vgpr3
                                        ; implicit-def: $vgpr20_vgpr21_vgpr22_vgpr23_vgpr24_vgpr25_vgpr26_vgpr27_vgpr28_vgpr29_vgpr30_vgpr31_vgpr32_vgpr33_vgpr34_vgpr35
                                        ; implicit-def: $vgpr4
	s_and_b32 vcc_lo, exec_lo, s20
	s_mov_b32 s20, -1
	s_cbranch_vccz .LBB82_43
; %bb.6:                                ;   in Loop: Header=BB82_5 Depth=1
	s_load_b32 s20, s[22:23], 0xc
	v_dual_mov_b32 v110, 0 :: v_dual_mov_b32 v111, 0
	s_wait_kmcnt 0x0
	s_and_b32 s20, s20, 0xffff
	s_delay_alu instid0(SALU_CYCLE_1) | instskip(SKIP_1) | instid1(VALU_DEP_1)
	v_mad_u32_u24 v3, v108, s20, v109
	s_mov_b32 s20, exec_lo
	v_and_b32_e32 v4, 31, v3
	s_delay_alu instid0(VALU_DEP_1)
	v_cmpx_gt_u32_e32 16, v4
	s_cbranch_execz .LBB82_10
; %bb.7:                                ;   in Loop: Header=BB82_5 Depth=1
	v_dual_mov_b32 v5, v2 :: v_dual_mov_b32 v110, 0
	v_mov_b32_e32 v111, 0
	s_mov_b32 s33, exec_lo
	s_delay_alu instid0(VALU_DEP_2) | instskip(NEXT) | instid1(VALU_DEP_1)
	v_add_nc_u64_e32 v[4:5], v[102:103], v[4:5]
	v_add_nc_u64_e32 v[4:5], s[26:27], v[4:5]
	s_delay_alu instid0(VALU_DEP_1)
	v_cmpx_gt_i64_e64 s[4:5], v[4:5]
	s_cbranch_execz .LBB82_9
; %bb.8:                                ;   in Loop: Header=BB82_5 Depth=1
	v_lshlrev_b64_e32 v[4:5], 2, v[4:5]
	s_delay_alu instid0(VALU_DEP_1)
	v_add_nc_u64_e32 v[6:7], s[12:13], v[4:5]
	v_add_nc_u64_e32 v[4:5], s[14:15], v[4:5]
	global_load_b32 v110, v[6:7], off
	global_load_b32 v111, v[4:5], off
.LBB82_9:                               ;   in Loop: Header=BB82_5 Depth=1
	s_wait_xcnt 0x0
	s_or_b32 exec_lo, exec_lo, s33
.LBB82_10:                              ;   in Loop: Header=BB82_5 Depth=1
	s_delay_alu instid0(SALU_CYCLE_1)
	s_or_b32 exec_lo, exec_lo, s20
	v_add_nc_u64_e32 v[18:19], s[26:27], v[102:103]
	v_dual_mov_b32 v15, v2 :: v_dual_mov_b32 v16, v2
	v_dual_mov_b32 v17, v2 :: v_dual_mov_b32 v3, v2
	;; [unrolled: 1-line block ×7, first 2 shown]
	v_mov_b32_e32 v14, v2
	v_cmp_gt_i64_e32 vcc_lo, s[4:5], v[18:19]
	v_mov_b64_e32 v[34:35], v[16:17]
	v_mov_b64_e32 v[28:29], v[10:11]
	;; [unrolled: 1-line block ×16, first 2 shown]
	s_and_b32 s33, s2, vcc_lo
	s_delay_alu instid0(SALU_CYCLE_1)
	s_and_saveexec_b32 s20, s33
	s_cbranch_execz .LBB82_12
; %bb.11:                               ;   in Loop: Header=BB82_5 Depth=1
	v_add_nc_u64_e32 v[4:5], v[38:39], v[116:117]
	v_add_nc_u64_e32 v[6:7], v[40:41], v[116:117]
	v_dual_mov_b32 v9, v2 :: v_dual_mov_b32 v10, v2
	v_dual_mov_b32 v11, v2 :: v_dual_mov_b32 v12, v2
	;; [unrolled: 1-line block ×3, first 2 shown]
	global_load_u16 v3, v[4:5], off
	global_load_u16 v20, v[6:7], off
	s_wait_xcnt 0x0
	v_dual_mov_b32 v5, v2 :: v_dual_mov_b32 v6, v2
	v_dual_mov_b32 v7, v2 :: v_dual_mov_b32 v8, v2
	v_dual_mov_b32 v15, v2 :: v_dual_mov_b32 v16, v2
	v_dual_mov_b32 v17, v2 :: v_dual_mov_b32 v18, v2
	v_dual_mov_b32 v19, v2 :: v_dual_mov_b32 v21, v2
	v_dual_mov_b32 v22, v2 :: v_dual_mov_b32 v23, v2
	v_dual_mov_b32 v24, v2 :: v_dual_mov_b32 v25, v2
	v_dual_mov_b32 v26, v2 :: v_dual_mov_b32 v27, v2
	v_dual_mov_b32 v28, v2 :: v_dual_mov_b32 v29, v2
	v_dual_mov_b32 v30, v2 :: v_dual_mov_b32 v31, v2
	v_dual_mov_b32 v32, v2 :: v_dual_mov_b32 v33, v2
	v_dual_mov_b32 v34, v2 :: v_dual_mov_b32 v35, v2
	s_wait_loadcnt 0x1
	v_cvt_f32_f16_e32 v4, v3
	s_wait_loadcnt 0x0
	v_cvt_f32_f16_e32 v20, v20
.LBB82_12:                              ;   in Loop: Header=BB82_5 Depth=1
	s_or_b32 exec_lo, exec_lo, s20
	v_add_nc_u64_e32 v[106:107], s[28:29], v[102:103]
	s_delay_alu instid0(VALU_DEP_1) | instskip(SKIP_1) | instid1(SALU_CYCLE_1)
	v_cmp_gt_i64_e32 vcc_lo, s[4:5], v[106:107]
	s_and_b32 s33, s2, vcc_lo
	s_and_saveexec_b32 s20, s33
	s_cbranch_execz .LBB82_14
; %bb.13:                               ;   in Loop: Header=BB82_5 Depth=1
	v_add_nc_u64_e32 v[106:107], v[98:99], v[116:117]
	v_add_nc_u64_e32 v[112:113], v[100:101], v[116:117]
	global_load_u16 v3, v[106:107], off
	global_load_u16 v21, v[112:113], off
	s_wait_loadcnt 0x1
	v_cvt_f32_f16_e32 v5, v3
	s_wait_loadcnt 0x0
	v_cvt_f32_f16_e32 v21, v21
.LBB82_14:                              ;   in Loop: Header=BB82_5 Depth=1
	s_or_b32 exec_lo, exec_lo, s20
	v_add_nc_u64_e32 v[106:107], s[30:31], v[102:103]
	s_delay_alu instid0(VALU_DEP_1) | instskip(SKIP_1) | instid1(SALU_CYCLE_1)
	v_cmp_gt_i64_e32 vcc_lo, s[4:5], v[106:107]
	s_and_b32 s33, s2, vcc_lo
	s_and_saveexec_b32 s20, s33
	s_cbranch_execz .LBB82_16
; %bb.15:                               ;   in Loop: Header=BB82_5 Depth=1
	v_add_nc_u64_e32 v[106:107], v[94:95], v[116:117]
	v_add_nc_u64_e32 v[112:113], v[96:97], v[116:117]
	global_load_u16 v3, v[106:107], off
	global_load_u16 v22, v[112:113], off
	s_wait_loadcnt 0x1
	v_cvt_f32_f16_e32 v6, v3
	s_wait_loadcnt 0x0
	v_cvt_f32_f16_e32 v22, v22
.LBB82_16:                              ;   in Loop: Header=BB82_5 Depth=1
	;; [unrolled: 17-line block ×15, first 2 shown]
	s_or_b32 exec_lo, exec_lo, s20
	s_wait_loadcnt 0x1
	ds_bpermute_b32 v106, v2, v110
	s_wait_loadcnt 0x0
	ds_bpermute_b32 v3, v2, v111
	s_mov_b32 s20, 0
	v_dual_mov_b32 v112, v6 :: v_dual_mov_b32 v114, v8
	s_wait_dscnt 0x1
	v_sub_f32_e32 v20, v20, v106
	s_delay_alu instid0(VALU_DEP_1) | instskip(SKIP_1) | instid1(VALU_DEP_1)
	v_dual_mov_b32 v106, v4 :: v_dual_mul_f32 v20, v4, v20
	s_wait_dscnt 0x0
	v_mul_f32_e32 v107, v20, v3
	ds_bpermute_b32 v20, v2, v110 offset:4
	ds_bpermute_b32 v3, v2, v111 offset:4
	s_wait_dscnt 0x1
	v_sub_f32_e32 v20, v21, v20
	v_pk_add_f32 v[106:107], v[104:105], v[106:107]
	s_delay_alu instid0(VALU_DEP_2) | instskip(SKIP_1) | instid1(VALU_DEP_1)
	v_mul_f32_e32 v20, v5, v20
	s_wait_dscnt 0x0
	v_mul_f32_e32 v21, v20, v3
	ds_bpermute_b32 v20, v2, v110 offset:8
	ds_bpermute_b32 v3, v2, v111 offset:8
	s_wait_dscnt 0x1
	v_dual_sub_f32 v20, v22, v20 :: v_dual_mov_b32 v22, v7
	s_delay_alu instid0(VALU_DEP_1)
	v_mul_f32_e32 v20, v6, v20
	ds_bpermute_b32 v6, v2, v110 offset:24
	s_wait_dscnt 0x1
	v_mul_f32_e32 v113, v20, v3
	ds_bpermute_b32 v20, v2, v110 offset:12
	ds_bpermute_b32 v3, v2, v111 offset:12
	s_wait_dscnt 0x2
	v_dual_sub_f32 v6, v26, v6 :: v_dual_mov_b32 v26, v15
	s_wait_dscnt 0x1
	s_delay_alu instid0(VALU_DEP_1) | instskip(NEXT) | instid1(VALU_DEP_1)
	v_dual_sub_f32 v20, v23, v20 :: v_dual_mul_f32 v6, v10, v6
	v_mul_f32_e32 v20, v7, v20
	s_wait_dscnt 0x0
	s_delay_alu instid0(VALU_DEP_1) | instskip(SKIP_4) | instid1(VALU_DEP_1)
	v_mul_f32_e32 v23, v20, v3
	ds_bpermute_b32 v20, v2, v110 offset:16
	ds_bpermute_b32 v3, v2, v111 offset:16
	s_wait_dscnt 0x1
	v_dual_sub_f32 v20, v24, v20 :: v_dual_mov_b32 v24, v9
	v_dual_mul_f32 v20, v8, v20 :: v_dual_mov_b32 v8, v11
	s_wait_dscnt 0x0
	s_delay_alu instid0(VALU_DEP_1) | instskip(SKIP_4) | instid1(VALU_DEP_1)
	v_mul_f32_e32 v115, v20, v3
	ds_bpermute_b32 v20, v2, v110 offset:20
	ds_bpermute_b32 v3, v2, v111 offset:20
	s_wait_dscnt 0x1
	v_sub_f32_e32 v20, v25, v20
	v_mul_f32_e32 v20, v9, v20
	s_wait_dscnt 0x0
	s_delay_alu instid0(VALU_DEP_1) | instskip(SKIP_3) | instid1(VALU_DEP_2)
	v_dual_mul_f32 v25, v20, v3 :: v_dual_mov_b32 v20, v5
	ds_bpermute_b32 v3, v2, v111 offset:24
	v_pk_add_f32 v[4:5], v[20:21], v[106:107]
	v_mov_b32_e32 v20, v12
	v_pk_add_f32 v[4:5], v[112:113], v[4:5]
	s_delay_alu instid0(VALU_DEP_1) | instskip(SKIP_1) | instid1(VALU_DEP_2)
	v_pk_add_f32 v[4:5], v[22:23], v[4:5]
	v_mov_b32_e32 v22, v13
	v_pk_add_f32 v[4:5], v[114:115], v[4:5]
	s_wait_dscnt 0x0
	v_mul_f32_e32 v7, v6, v3
	ds_bpermute_b32 v6, v2, v110 offset:28
	ds_bpermute_b32 v3, v2, v111 offset:28
	v_pk_add_f32 v[4:5], v[24:25], v[4:5]
	s_wait_dscnt 0x1
	v_dual_mov_b32 v24, v14 :: v_dual_sub_f32 v6, v27, v6
	s_delay_alu instid0(VALU_DEP_1) | instskip(SKIP_1) | instid1(VALU_DEP_1)
	v_mul_f32_e32 v6, v11, v6
	s_wait_dscnt 0x0
	v_mul_f32_e32 v9, v6, v3
	ds_bpermute_b32 v6, v2, v110 offset:32
	ds_bpermute_b32 v3, v2, v111 offset:32
	s_wait_dscnt 0x1
	v_sub_f32_e32 v6, v28, v6
	v_mov_b32_e32 v28, v16
	s_delay_alu instid0(VALU_DEP_2) | instskip(SKIP_1) | instid1(VALU_DEP_1)
	v_mul_f32_e32 v6, v12, v6
	s_wait_dscnt 0x0
	v_mul_f32_e32 v21, v6, v3
	ds_bpermute_b32 v6, v2, v110 offset:36
	ds_bpermute_b32 v3, v2, v111 offset:36
	s_wait_dscnt 0x1
	v_sub_f32_e32 v6, v29, v6
	s_delay_alu instid0(VALU_DEP_1) | instskip(SKIP_1) | instid1(VALU_DEP_1)
	v_mul_f32_e32 v6, v13, v6
	s_wait_dscnt 0x0
	v_mul_f32_e32 v23, v6, v3
	ds_bpermute_b32 v6, v2, v110 offset:40
	ds_bpermute_b32 v3, v2, v111 offset:40
	s_wait_dscnt 0x1
	v_dual_sub_f32 v6, v30, v6 :: v_dual_mov_b32 v30, v17
	s_delay_alu instid0(VALU_DEP_1) | instskip(SKIP_1) | instid1(VALU_DEP_1)
	v_mul_f32_e32 v6, v14, v6
	s_wait_dscnt 0x0
	v_mul_f32_e32 v25, v6, v3
	ds_bpermute_b32 v6, v2, v110 offset:44
	ds_bpermute_b32 v3, v2, v111 offset:44
	s_wait_dscnt 0x1
	v_sub_f32_e32 v6, v31, v6
	s_delay_alu instid0(VALU_DEP_1) | instskip(SKIP_1) | instid1(VALU_DEP_1)
	v_mul_f32_e32 v6, v15, v6
	s_wait_dscnt 0x0
	v_mul_f32_e32 v27, v6, v3
	ds_bpermute_b32 v6, v2, v110 offset:48
	ds_bpermute_b32 v3, v2, v111 offset:48
	s_wait_dscnt 0x1
	v_sub_f32_e32 v6, v32, v6
	;; [unrolled: 8-line block ×3, first 2 shown]
	s_delay_alu instid0(VALU_DEP_1) | instskip(SKIP_1) | instid1(VALU_DEP_1)
	v_mul_f32_e32 v6, v17, v6
	s_wait_dscnt 0x0
	v_mul_f32_e32 v31, v6, v3
	v_mov_b32_e32 v6, v10
	ds_bpermute_b32 v3, v2, v111 offset:56
	v_pk_add_f32 v[4:5], v[6:7], v[4:5]
	ds_bpermute_b32 v6, v2, v110 offset:56
	v_pk_add_f32 v[4:5], v[8:9], v[4:5]
	s_delay_alu instid0(VALU_DEP_1) | instskip(NEXT) | instid1(VALU_DEP_1)
	v_pk_add_f32 v[4:5], v[20:21], v[4:5]
	v_pk_add_f32 v[4:5], v[22:23], v[4:5]
	s_delay_alu instid0(VALU_DEP_1) | instskip(SKIP_2) | instid1(VALU_DEP_2)
	v_pk_add_f32 v[4:5], v[24:25], v[4:5]
	s_wait_dscnt 0x0
	v_sub_f32_e32 v6, v34, v6
	v_pk_add_f32 v[4:5], v[26:27], v[4:5]
	s_delay_alu instid0(VALU_DEP_2) | instskip(NEXT) | instid1(VALU_DEP_2)
	v_mul_f32_e32 v6, v18, v6
	v_pk_add_f32 v[4:5], v[28:29], v[4:5]
	s_delay_alu instid0(VALU_DEP_2) | instskip(SKIP_3) | instid1(VALU_DEP_1)
	v_mul_f32_e32 v7, v6, v3
	v_mov_b32_e32 v6, v18
	ds_bpermute_b32 v3, v2, v111 offset:60
	v_pk_add_f32 v[4:5], v[30:31], v[4:5]
	v_pk_add_f32 v[106:107], v[6:7], v[4:5]
	ds_bpermute_b32 v4, v2, v110 offset:60
.LBB82_43:                              ;   in Loop: Header=BB82_5 Depth=1
	s_and_b32 vcc_lo, exec_lo, s20
	s_cbranch_vccz .LBB82_4
; %bb.44:                               ;   in Loop: Header=BB82_5 Depth=1
	s_load_b32 s20, s[22:23], 0x0
	v_dual_mov_b32 v110, 0 :: v_dual_mov_b32 v111, 0
	s_wait_kmcnt 0x0
	s_cmp_lt_u32 s16, s20
	s_cselect_b32 s20, 12, 18
	s_delay_alu instid0(SALU_CYCLE_1)
	s_add_nc_u64 s[66:67], s[22:23], s[20:21]
	s_load_u16 s20, s[66:67], 0x0
	s_wait_dscnt 0x1
	s_wait_kmcnt 0x0
	v_mad_u32_u24 v3, v108, s20, v109
	s_mov_b32 s20, exec_lo
	s_wait_dscnt 0x0
	s_delay_alu instid0(VALU_DEP_1) | instskip(NEXT) | instid1(VALU_DEP_1)
	v_and_b32_e32 v4, 31, v3
	v_cmpx_gt_u32_e32 16, v4
	s_cbranch_execz .LBB82_48
; %bb.45:                               ;   in Loop: Header=BB82_5 Depth=1
	v_dual_mov_b32 v5, v2 :: v_dual_mov_b32 v110, 0
	v_mov_b32_e32 v111, 0
	s_mov_b32 s33, exec_lo
	s_delay_alu instid0(VALU_DEP_2) | instskip(NEXT) | instid1(VALU_DEP_1)
	v_add_nc_u64_e32 v[4:5], v[102:103], v[4:5]
	v_add_nc_u64_e32 v[4:5], s[26:27], v[4:5]
	s_delay_alu instid0(VALU_DEP_1)
	v_cmpx_gt_i64_e64 s[4:5], v[4:5]
	s_cbranch_execz .LBB82_47
; %bb.46:                               ;   in Loop: Header=BB82_5 Depth=1
	v_lshlrev_b64_e32 v[4:5], 2, v[4:5]
	s_delay_alu instid0(VALU_DEP_1)
	v_add_nc_u64_e32 v[6:7], s[12:13], v[4:5]
	v_add_nc_u64_e32 v[4:5], s[14:15], v[4:5]
	global_load_b32 v110, v[6:7], off
	global_load_b32 v111, v[4:5], off
.LBB82_47:                              ;   in Loop: Header=BB82_5 Depth=1
	s_wait_xcnt 0x0
	s_or_b32 exec_lo, exec_lo, s33
.LBB82_48:                              ;   in Loop: Header=BB82_5 Depth=1
	s_delay_alu instid0(SALU_CYCLE_1)
	s_or_b32 exec_lo, exec_lo, s20
	v_dual_mov_b32 v15, v2 :: v_dual_mov_b32 v16, v2
	v_dual_mov_b32 v17, v2 :: v_dual_mov_b32 v3, v2
	;; [unrolled: 1-line block ×7, first 2 shown]
	v_mov_b32_e32 v14, v2
	v_mov_b64_e32 v[34:35], v[16:17]
	s_delay_alu instid0(VALU_DEP_4)
	v_mov_b64_e32 v[28:29], v[10:11]
	v_mov_b64_e32 v[26:27], v[8:9]
	;; [unrolled: 1-line block ×15, first 2 shown]
	s_and_saveexec_b32 s20, s2
	s_cbranch_execnz .LBB82_64
; %bb.49:                               ;   in Loop: Header=BB82_5 Depth=1
	s_or_b32 exec_lo, exec_lo, s20
	s_and_saveexec_b32 s20, s2
	s_cbranch_execnz .LBB82_65
.LBB82_50:                              ;   in Loop: Header=BB82_5 Depth=1
	s_or_b32 exec_lo, exec_lo, s20
	s_and_saveexec_b32 s20, s2
	s_cbranch_execnz .LBB82_66
.LBB82_51:                              ;   in Loop: Header=BB82_5 Depth=1
	s_or_b32 exec_lo, exec_lo, s20
	s_and_saveexec_b32 s20, s2
	s_cbranch_execnz .LBB82_67
.LBB82_52:                              ;   in Loop: Header=BB82_5 Depth=1
	s_or_b32 exec_lo, exec_lo, s20
	s_and_saveexec_b32 s20, s2
	s_cbranch_execnz .LBB82_68
.LBB82_53:                              ;   in Loop: Header=BB82_5 Depth=1
	s_or_b32 exec_lo, exec_lo, s20
	s_and_saveexec_b32 s20, s2
	s_cbranch_execnz .LBB82_69
.LBB82_54:                              ;   in Loop: Header=BB82_5 Depth=1
	s_or_b32 exec_lo, exec_lo, s20
	s_and_saveexec_b32 s20, s2
	s_cbranch_execnz .LBB82_70
.LBB82_55:                              ;   in Loop: Header=BB82_5 Depth=1
	s_or_b32 exec_lo, exec_lo, s20
	s_and_saveexec_b32 s20, s2
	s_cbranch_execnz .LBB82_71
.LBB82_56:                              ;   in Loop: Header=BB82_5 Depth=1
	s_or_b32 exec_lo, exec_lo, s20
	s_and_saveexec_b32 s20, s2
	s_cbranch_execnz .LBB82_72
.LBB82_57:                              ;   in Loop: Header=BB82_5 Depth=1
	s_or_b32 exec_lo, exec_lo, s20
	s_and_saveexec_b32 s20, s2
	s_cbranch_execnz .LBB82_73
.LBB82_58:                              ;   in Loop: Header=BB82_5 Depth=1
	s_or_b32 exec_lo, exec_lo, s20
	s_and_saveexec_b32 s20, s2
	s_cbranch_execnz .LBB82_74
.LBB82_59:                              ;   in Loop: Header=BB82_5 Depth=1
	s_or_b32 exec_lo, exec_lo, s20
	s_and_saveexec_b32 s20, s2
	s_cbranch_execnz .LBB82_75
.LBB82_60:                              ;   in Loop: Header=BB82_5 Depth=1
	s_or_b32 exec_lo, exec_lo, s20
	s_and_saveexec_b32 s20, s2
	s_cbranch_execnz .LBB82_76
.LBB82_61:                              ;   in Loop: Header=BB82_5 Depth=1
	s_or_b32 exec_lo, exec_lo, s20
	s_and_saveexec_b32 s20, s2
	s_cbranch_execnz .LBB82_77
.LBB82_62:                              ;   in Loop: Header=BB82_5 Depth=1
	s_or_b32 exec_lo, exec_lo, s20
	s_and_saveexec_b32 s20, s2
	s_cbranch_execnz .LBB82_78
.LBB82_63:                              ;   in Loop: Header=BB82_5 Depth=1
	s_or_b32 exec_lo, exec_lo, s20
	s_and_saveexec_b32 s20, s2
	s_cbranch_execz .LBB82_3
	s_branch .LBB82_79
.LBB82_64:                              ;   in Loop: Header=BB82_5 Depth=1
	v_add_nc_u64_e32 v[4:5], v[38:39], v[116:117]
	v_add_nc_u64_e32 v[6:7], v[40:41], v[116:117]
	v_dual_mov_b32 v9, v2 :: v_dual_mov_b32 v10, v2
	v_dual_mov_b32 v11, v2 :: v_dual_mov_b32 v12, v2
	;; [unrolled: 1-line block ×3, first 2 shown]
	global_load_u16 v3, v[4:5], off
	global_load_u16 v20, v[6:7], off
	s_wait_xcnt 0x0
	v_dual_mov_b32 v5, v2 :: v_dual_mov_b32 v6, v2
	v_dual_mov_b32 v7, v2 :: v_dual_mov_b32 v8, v2
	;; [unrolled: 1-line block ×12, first 2 shown]
	s_wait_loadcnt 0x1
	v_cvt_f32_f16_e32 v4, v3
	s_wait_loadcnt 0x0
	v_cvt_f32_f16_e32 v20, v20
	s_or_b32 exec_lo, exec_lo, s20
	s_and_saveexec_b32 s20, s2
	s_cbranch_execz .LBB82_50
.LBB82_65:                              ;   in Loop: Header=BB82_5 Depth=1
	v_add_nc_u64_e32 v[102:103], v[98:99], v[116:117]
	v_add_nc_u64_e32 v[106:107], v[100:101], v[116:117]
	global_load_u16 v3, v[102:103], off
	global_load_u16 v21, v[106:107], off
	s_wait_loadcnt 0x1
	v_cvt_f32_f16_e32 v5, v3
	s_wait_loadcnt 0x0
	v_cvt_f32_f16_e32 v21, v21
	s_or_b32 exec_lo, exec_lo, s20
	s_and_saveexec_b32 s20, s2
	s_cbranch_execz .LBB82_51
.LBB82_66:                              ;   in Loop: Header=BB82_5 Depth=1
	v_add_nc_u64_e32 v[102:103], v[94:95], v[116:117]
	v_add_nc_u64_e32 v[106:107], v[96:97], v[116:117]
	global_load_u16 v3, v[102:103], off
	global_load_u16 v22, v[106:107], off
	s_wait_loadcnt 0x1
	v_cvt_f32_f16_e32 v6, v3
	s_wait_loadcnt 0x0
	v_cvt_f32_f16_e32 v22, v22
	s_or_b32 exec_lo, exec_lo, s20
	s_and_saveexec_b32 s20, s2
	s_cbranch_execz .LBB82_52
.LBB82_67:                              ;   in Loop: Header=BB82_5 Depth=1
	v_add_nc_u64_e32 v[102:103], v[90:91], v[116:117]
	v_add_nc_u64_e32 v[106:107], v[92:93], v[116:117]
	global_load_u16 v3, v[102:103], off
	global_load_u16 v23, v[106:107], off
	s_wait_loadcnt 0x1
	v_cvt_f32_f16_e32 v7, v3
	s_wait_loadcnt 0x0
	v_cvt_f32_f16_e32 v23, v23
	s_or_b32 exec_lo, exec_lo, s20
	s_and_saveexec_b32 s20, s2
	s_cbranch_execz .LBB82_53
.LBB82_68:                              ;   in Loop: Header=BB82_5 Depth=1
	v_add_nc_u64_e32 v[102:103], v[86:87], v[116:117]
	v_add_nc_u64_e32 v[106:107], v[88:89], v[116:117]
	global_load_u16 v3, v[102:103], off
	global_load_u16 v24, v[106:107], off
	s_wait_loadcnt 0x1
	v_cvt_f32_f16_e32 v8, v3
	s_wait_loadcnt 0x0
	v_cvt_f32_f16_e32 v24, v24
	s_or_b32 exec_lo, exec_lo, s20
	s_and_saveexec_b32 s20, s2
	s_cbranch_execz .LBB82_54
.LBB82_69:                              ;   in Loop: Header=BB82_5 Depth=1
	v_add_nc_u64_e32 v[102:103], v[82:83], v[116:117]
	v_add_nc_u64_e32 v[106:107], v[84:85], v[116:117]
	global_load_u16 v3, v[102:103], off
	global_load_u16 v25, v[106:107], off
	s_wait_loadcnt 0x1
	v_cvt_f32_f16_e32 v9, v3
	s_wait_loadcnt 0x0
	v_cvt_f32_f16_e32 v25, v25
	s_or_b32 exec_lo, exec_lo, s20
	s_and_saveexec_b32 s20, s2
	s_cbranch_execz .LBB82_55
.LBB82_70:                              ;   in Loop: Header=BB82_5 Depth=1
	v_add_nc_u64_e32 v[102:103], v[78:79], v[116:117]
	v_add_nc_u64_e32 v[106:107], v[80:81], v[116:117]
	global_load_u16 v3, v[102:103], off
	global_load_u16 v26, v[106:107], off
	s_wait_loadcnt 0x1
	v_cvt_f32_f16_e32 v10, v3
	s_wait_loadcnt 0x0
	v_cvt_f32_f16_e32 v26, v26
	s_or_b32 exec_lo, exec_lo, s20
	s_and_saveexec_b32 s20, s2
	s_cbranch_execz .LBB82_56
.LBB82_71:                              ;   in Loop: Header=BB82_5 Depth=1
	v_add_nc_u64_e32 v[102:103], v[74:75], v[116:117]
	v_add_nc_u64_e32 v[106:107], v[76:77], v[116:117]
	global_load_u16 v3, v[102:103], off
	global_load_u16 v27, v[106:107], off
	s_wait_loadcnt 0x1
	v_cvt_f32_f16_e32 v11, v3
	s_wait_loadcnt 0x0
	v_cvt_f32_f16_e32 v27, v27
	s_or_b32 exec_lo, exec_lo, s20
	s_and_saveexec_b32 s20, s2
	s_cbranch_execz .LBB82_57
.LBB82_72:                              ;   in Loop: Header=BB82_5 Depth=1
	v_add_nc_u64_e32 v[102:103], v[70:71], v[116:117]
	v_add_nc_u64_e32 v[106:107], v[72:73], v[116:117]
	global_load_u16 v3, v[102:103], off
	global_load_u16 v28, v[106:107], off
	s_wait_loadcnt 0x1
	v_cvt_f32_f16_e32 v12, v3
	s_wait_loadcnt 0x0
	v_cvt_f32_f16_e32 v28, v28
	s_or_b32 exec_lo, exec_lo, s20
	s_and_saveexec_b32 s20, s2
	s_cbranch_execz .LBB82_58
.LBB82_73:                              ;   in Loop: Header=BB82_5 Depth=1
	v_add_nc_u64_e32 v[102:103], v[66:67], v[116:117]
	v_add_nc_u64_e32 v[106:107], v[68:69], v[116:117]
	global_load_u16 v3, v[102:103], off
	global_load_u16 v29, v[106:107], off
	s_wait_loadcnt 0x1
	v_cvt_f32_f16_e32 v13, v3
	s_wait_loadcnt 0x0
	v_cvt_f32_f16_e32 v29, v29
	s_or_b32 exec_lo, exec_lo, s20
	s_and_saveexec_b32 s20, s2
	s_cbranch_execz .LBB82_59
.LBB82_74:                              ;   in Loop: Header=BB82_5 Depth=1
	v_add_nc_u64_e32 v[102:103], v[62:63], v[116:117]
	v_add_nc_u64_e32 v[106:107], v[64:65], v[116:117]
	global_load_u16 v3, v[102:103], off
	global_load_u16 v30, v[106:107], off
	s_wait_loadcnt 0x1
	v_cvt_f32_f16_e32 v14, v3
	s_wait_loadcnt 0x0
	v_cvt_f32_f16_e32 v30, v30
	s_or_b32 exec_lo, exec_lo, s20
	s_and_saveexec_b32 s20, s2
	s_cbranch_execz .LBB82_60
.LBB82_75:                              ;   in Loop: Header=BB82_5 Depth=1
	v_add_nc_u64_e32 v[102:103], v[58:59], v[116:117]
	v_add_nc_u64_e32 v[106:107], v[60:61], v[116:117]
	global_load_u16 v3, v[102:103], off
	global_load_u16 v31, v[106:107], off
	s_wait_loadcnt 0x1
	v_cvt_f32_f16_e32 v15, v3
	s_wait_loadcnt 0x0
	v_cvt_f32_f16_e32 v31, v31
	s_or_b32 exec_lo, exec_lo, s20
	s_and_saveexec_b32 s20, s2
	s_cbranch_execz .LBB82_61
.LBB82_76:                              ;   in Loop: Header=BB82_5 Depth=1
	v_add_nc_u64_e32 v[102:103], v[54:55], v[116:117]
	v_add_nc_u64_e32 v[106:107], v[56:57], v[116:117]
	global_load_u16 v3, v[102:103], off
	global_load_u16 v32, v[106:107], off
	s_wait_loadcnt 0x1
	v_cvt_f32_f16_e32 v16, v3
	s_wait_loadcnt 0x0
	v_cvt_f32_f16_e32 v32, v32
	s_or_b32 exec_lo, exec_lo, s20
	s_and_saveexec_b32 s20, s2
	s_cbranch_execz .LBB82_62
.LBB82_77:                              ;   in Loop: Header=BB82_5 Depth=1
	v_add_nc_u64_e32 v[102:103], v[50:51], v[116:117]
	v_add_nc_u64_e32 v[106:107], v[52:53], v[116:117]
	global_load_u16 v3, v[102:103], off
	global_load_u16 v33, v[106:107], off
	s_wait_loadcnt 0x1
	v_cvt_f32_f16_e32 v17, v3
	s_wait_loadcnt 0x0
	v_cvt_f32_f16_e32 v33, v33
	s_or_b32 exec_lo, exec_lo, s20
	s_and_saveexec_b32 s20, s2
	s_cbranch_execz .LBB82_63
.LBB82_78:                              ;   in Loop: Header=BB82_5 Depth=1
	v_add_nc_u64_e32 v[102:103], v[46:47], v[116:117]
	v_add_nc_u64_e32 v[106:107], v[48:49], v[116:117]
	global_load_u16 v3, v[102:103], off
	global_load_u16 v34, v[106:107], off
	s_wait_loadcnt 0x1
	v_cvt_f32_f16_e32 v18, v3
	s_wait_loadcnt 0x0
	v_cvt_f32_f16_e32 v34, v34
	s_or_b32 exec_lo, exec_lo, s20
	s_and_saveexec_b32 s20, s2
	s_cbranch_execz .LBB82_3
.LBB82_79:                              ;   in Loop: Header=BB82_5 Depth=1
	v_add_nc_u64_e32 v[102:103], v[42:43], v[116:117]
	v_add_nc_u64_e32 v[106:107], v[44:45], v[116:117]
	global_load_u16 v3, v[102:103], off
	global_load_u16 v35, v[106:107], off
	s_wait_loadcnt 0x1
	v_cvt_f32_f16_e32 v19, v3
	s_wait_loadcnt 0x0
	v_cvt_f32_f16_e32 v35, v35
	s_branch .LBB82_3
.LBB82_80:
                                        ; implicit-def: $vgpr105
	s_branch .LBB82_82
.LBB82_81:
	s_cbranch_execnz .LBB82_130
.LBB82_82:
	v_mov_b32_e32 v105, 0
	s_and_not1_b32 vcc_lo, exec_lo, s17
	s_delay_alu instid0(VALU_DEP_1)
	v_mov_b32_e32 v104, v105
	s_cbranch_vccnz .LBB82_130
; %bb.83:
	v_bfe_u32 v1, v0, 10, 10
	v_mov_b32_e32 v2, 0
	scratch_store_b32 off, v0, off offset:192 ; 4-byte Folded Spill
	s_wait_xcnt 0x0
	v_and_b32_e32 v0, 0x3ff, v0
	s_load_b32 s2, s[0:1], 0x44
	v_dual_mov_b32 v5, v2 :: v_dual_lshlrev_b32 v4, 5, v1
	v_mov_b32_e32 v105, v2
	scratch_store_b32 off, v0, off offset:188 ; 4-byte Folded Spill
	s_mov_b64 s[22:23], 0xffffffffffffff03
	s_mov_b64 s[24:25], 0xffffffffffffff04
	v_lshl_add_u64 v[24:25], s[18:19], 1, v[4:5]
	s_mov_b64 s[26:27], 0xffffffffffffff05
	s_mov_b64 s[28:29], 0xffffffffffffff06
	;; [unrolled: 1-line block ×4, first 2 shown]
	v_add_nc_u64_e32 v[4:5], 2, v[24:25]
	v_add_nc_u64_e32 v[10:11], 4, v[24:25]
	;; [unrolled: 1-line block ×7, first 2 shown]
	v_mad_nc_u64_u32 v[26:27], s6, v4, s[8:9]
	v_mul_lo_u32 v3, s6, v5
	v_mul_lo_u32 v5, s7, v4
	v_mad_nc_u64_u32 v[28:29], s6, v10, s[8:9]
	v_mul_lo_u32 v11, s6, v11
	v_mul_lo_u32 v18, s7, v10
	;; [unrolled: 3-line block ×4, first 2 shown]
	v_mad_nc_u64_u32 v[38:39], s6, v4, s[10:11]
	v_add3_u32 v27, v5, v27, v3
	v_mad_nc_u64_u32 v[34:35], s6, v14, s[8:9]
	v_mul_lo_u32 v15, s6, v15
	v_mul_lo_u32 v21, s7, v14
	v_add3_u32 v29, v18, v29, v11
	scratch_store_b64 off, v[26:27], off    ; 8-byte Folded Spill
	v_add3_u32 v31, v19, v31, v7
	s_wait_xcnt 0x0
	v_mad_nc_u64_u32 v[26:27], s6, v6, s[10:11]
	v_mad_nc_u64_u32 v[36:37], s6, v12, s[8:9]
	v_add3_u32 v33, v20, v33, v9
	v_mul_lo_u32 v13, s6, v13
	v_mul_lo_u32 v22, s7, v12
	v_mad_nc_u64_u32 v[40:41], s6, v10, s[10:11]
	s_clause 0x2
	scratch_store_b64 off, v[28:29], off offset:8
	scratch_store_b64 off, v[30:31], off offset:16
	;; [unrolled: 1-line block ×3, first 2 shown]
	s_wait_xcnt 0x2
	v_mad_nc_u64_u32 v[28:29], s6, v16, s[8:9]
	s_wait_xcnt 0x1
	v_mad_nc_u64_u32 v[30:31], s6, v8, s[10:11]
	v_add3_u32 v39, v5, v39, v3
	s_wait_xcnt 0x0
	v_mad_nc_u64_u32 v[32:33], s6, v14, s[10:11]
	v_mul_lo_u32 v3, s6, v17
	v_mul_lo_u32 v10, s7, v16
	v_add_nc_u64_e32 v[4:5], 16, v[24:25]
	v_add3_u32 v35, v21, v35, v15
	v_add3_u32 v27, v19, v27, v7
	;; [unrolled: 1-line block ×4, first 2 shown]
	v_add_nc_u64_e32 v[6:7], 18, v[24:25]
	s_clause 0x3
	scratch_store_b64 off, v[34:35], off offset:32
	scratch_store_b64 off, v[38:39], off offset:48
	scratch_store_b64 off, v[36:37], off offset:40
	scratch_store_b64 off, v[40:41], off offset:56
	s_wait_xcnt 0x3
	v_mad_nc_u64_u32 v[34:35], s6, v12, s[10:11]
	v_add3_u32 v31, v20, v31, v9
	v_add3_u32 v33, v21, v33, v15
	v_mul_lo_u32 v11, s6, v5
	v_mul_lo_u32 v12, s7, v4
	v_mad_nc_u64_u32 v[20:21], s6, v4, s[10:11]
	v_add3_u32 v29, v10, v29, v3
	s_clause 0x2
	scratch_store_b64 off, v[26:27], off offset:64
	scratch_store_b64 off, v[30:31], off offset:80
	;; [unrolled: 1-line block ×3, first 2 shown]
	s_wait_xcnt 0x2
	v_mad_nc_u64_u32 v[26:27], s6, v4, s[8:9]
	v_add_nc_u64_e32 v[4:5], 20, v[24:25]
	scratch_store_b64 off, v[28:29], off offset:72 ; 8-byte Folded Spill
	s_wait_xcnt 0x0
	v_mad_nc_u64_u32 v[28:29], s6, v6, s[8:9]
	v_mul_lo_u32 v7, s6, v7
	v_add_nc_u64_e32 v[8:9], 22, v[24:25]
	v_mul_lo_u32 v14, s7, v6
	v_mad_nc_u64_u32 v[30:31], s6, v6, s[10:11]
	v_mul_lo_u32 v6, s6, v5
	v_mul_lo_u32 v15, s7, v4
	v_mad_nc_u64_u32 v[32:33], s6, v4, s[8:9]
	v_mad_nc_u64_u32 v[36:37], s6, v4, s[10:11]
	;; [unrolled: 1-line block ×3, first 2 shown]
	v_mul_lo_u32 v9, s6, v9
	v_mul_lo_u32 v16, s7, v8
	v_mad_nc_u64_u32 v[38:39], s6, v8, s[8:9]
	v_add3_u32 v35, v22, v35, v13
	v_mad_nc_u64_u32 v[22:23], s6, v8, s[10:11]
	v_add_nc_u64_e32 v[4:5], 24, v[24:25]
	v_add3_u32 v29, v14, v29, v7
	v_add3_u32 v31, v14, v31, v7
	;; [unrolled: 1-line block ×4, first 2 shown]
	v_add_nc_u64_e32 v[6:7], 26, v[24:25]
	v_add3_u32 v19, v10, v19, v3
	v_mul_lo_u32 v3, s6, v5
	v_mul_lo_u32 v8, s7, v4
	v_mad_nc_u64_u32 v[78:79], s6, v4, s[8:9]
	v_mad_nc_u64_u32 v[82:83], s6, v4, s[10:11]
	v_add3_u32 v39, v16, v39, v9
	v_add3_u32 v23, v16, v23, v9
	v_mul_lo_u32 v9, s6, v7
	v_mul_lo_u32 v10, s7, v6
	v_mad_nc_u64_u32 v[84:85], s6, v6, s[8:9]
	v_mad_nc_u64_u32 v[86:87], s6, v6, s[10:11]
	v_add_nc_u64_e32 v[6:7], 30, v[24:25]
	v_dual_mov_b32 v15, v2 :: v_dual_lshlrev_b32 v14, 4, v1
	v_add3_u32 v79, v8, v79, v3
	v_add3_u32 v83, v8, v83, v3
	scratch_store_b64 off, v[34:35], off offset:96 ; 8-byte Folded Spill
	v_add_nc_u64_e32 v[4:5], 28, v[24:25]
	v_mul_lo_u32 v3, s6, v7
	v_mul_lo_u32 v16, s7, v6
	v_mad_nc_u64_u32 v[94:95], s6, v6, s[8:9]
	v_mad_nc_u64_u32 v[96:97], s6, v6, s[10:11]
	v_add3_u32 v85, v10, v85, v9
	v_add3_u32 v87, v10, v87, v9
	;; [unrolled: 1-line block ×4, first 2 shown]
	v_mul_lo_u32 v12, s6, v5
	v_mul_lo_u32 v13, s7, v4
	v_mad_nc_u64_u32 v[90:91], s6, v4, s[8:9]
	v_mad_nc_u64_u32 v[92:93], s6, v4, s[10:11]
	s_clause 0x1
	scratch_store_b64 off, v[38:39], off offset:160
	scratch_store_b64 off, v[22:23], off offset:168
	v_add3_u32 v95, v16, v95, v3
	v_add3_u32 v97, v16, v97, v3
	v_add_nc_u32_e32 v16, s3, v0
	s_wait_xcnt 0x2
	v_add_nc_u64_e32 v[34:35], s[18:19], v[14:15]
	s_clause 0x8
	scratch_store_b32 off, v1, off offset:176
	scratch_store_b64 off, v[14:15], off offset:180
	scratch_store_b64 off, v[18:19], off offset:104
	;; [unrolled: 1-line block ×8, first 2 shown]
	v_mul_u64_e32 v[8:9], s[6:7], v[34:35]
	v_add_nc_u64_e32 v[4:5], 15, v[34:35]
	v_add_nc_u64_e32 v[6:7], 14, v[34:35]
	s_wait_xcnt 0x7
	v_add_nc_u64_e32 v[14:15], 11, v[34:35]
	v_add_nc_u64_e32 v[10:11], 13, v[34:35]
	s_wait_xcnt 0x6
	v_add_nc_u64_e32 v[18:19], 10, v[34:35]
	v_add_nc_u64_e32 v[22:23], 8, v[34:35]
	v_add3_u32 v91, v13, v91, v12
	v_mul_u64_e32 v[4:5], s[6:7], v[4:5]
	v_mul_u64_e32 v[6:7], s[6:7], v[6:7]
	;; [unrolled: 1-line block ×3, first 2 shown]
	v_add3_u32 v93, v13, v93, v12
	v_add_nc_u64_e32 v[12:13], 12, v[34:35]
	v_mul_u64_e32 v[10:11], s[6:7], v[10:11]
	v_add_nc_u64_e32 v[24:25], 7, v[34:35]
	v_mul_u64_e32 v[18:19], s[6:7], v[18:19]
	v_mul_u64_e32 v[22:23], s[6:7], v[22:23]
	s_wait_xcnt 0x5
	v_add_nc_u64_e32 v[26:27], 6, v[34:35]
	s_wait_xcnt 0x3
	v_add_nc_u64_e32 v[28:29], 5, v[34:35]
	v_dual_mov_b32 v17, v2 :: v_dual_mov_b32 v104, 0
	v_mul_u64_e32 v[12:13], s[6:7], v[12:13]
	v_add_nc_u64_e32 v[20:21], 9, v[34:35]
	v_mul_u64_e32 v[24:25], s[6:7], v[24:25]
	s_delay_alu instid0(VALU_DEP_4)
	v_lshlrev_b64_e32 v[98:99], 1, v[16:17]
	v_add_nc_u64_e32 v[16:17], 4, v[34:35]
	v_mul_u64_e32 v[26:27], s[6:7], v[26:27]
	v_mul_u64_e32 v[28:29], s[6:7], v[28:29]
	s_wait_xcnt 0x1
	v_add_nc_u64_e32 v[32:33], 3, v[34:35]
	v_add_nc_u64_e32 v[0:1], 2, v[34:35]
	v_mul_u64_e32 v[20:21], s[6:7], v[20:21]
	s_mov_b32 s3, 0
	v_lshlrev_b64_e32 v[30:31], 1, v[8:9]
	v_mul_u64_e32 v[16:17], s[6:7], v[16:17]
	v_add_nc_u64_e32 v[8:9], s[6:7], v[8:9]
	s_wait_kmcnt 0x0
	s_lshl_b32 s20, s2, 8
	s_mov_b32 s21, s3
	s_mov_b64 s[36:37], 0xffffffffffffff09
	s_mul_u64 s[54:55], s[6:7], s[20:21]
	v_add_nc_u64_e32 v[100:101], s[8:9], v[30:31]
	v_add_nc_u64_e32 v[102:103], s[10:11], v[30:31]
	v_mul_u64_e32 v[30:31], s[6:7], v[32:33]
	v_mul_u64_e32 v[32:33], s[6:7], v[0:1]
	v_lshlrev_b64_e32 v[4:5], 1, v[4:5]
	v_lshlrev_b64_e32 v[6:7], 1, v[6:7]
	v_lshlrev_b64_e32 v[10:11], 1, v[10:11]
	s_mov_b64 s[38:39], 0xffffffffffffff0a
	s_mov_b64 s[40:41], 0xffffffffffffff0b
	s_mov_b64 s[42:43], 0xffffffffffffff0c
	s_mov_b64 s[44:45], 0xffffffffffffff0d
	v_add_nc_u64_e32 v[68:69], s[8:9], v[4:5]
	v_add_nc_u64_e32 v[106:107], s[10:11], v[4:5]
	v_lshlrev_b64_e32 v[4:5], 1, v[14:15]
	v_add_nc_u64_e32 v[108:109], s[8:9], v[6:7]
	v_add_nc_u64_e32 v[110:111], s[10:11], v[6:7]
	v_lshlrev_b64_e32 v[6:7], 1, v[18:19]
	v_lshlrev_b64_e32 v[0:1], 1, v[12:13]
	v_add_nc_u64_e32 v[112:113], s[8:9], v[10:11]
	v_add_nc_u64_e32 v[114:115], s[10:11], v[10:11]
	v_add_nc_u64_e32 v[120:121], s[8:9], v[4:5]
	v_add_nc_u64_e32 v[122:123], s[10:11], v[4:5]
	v_lshlrev_b64_e32 v[4:5], 1, v[22:23]
	v_lshlrev_b64_e32 v[10:11], 1, v[24:25]
	v_add_nc_u64_e32 v[124:125], s[8:9], v[6:7]
	v_add_nc_u64_e32 v[126:127], s[10:11], v[6:7]
	v_lshlrev_b64_e32 v[6:7], 1, v[26:27]
	v_add_nc_u64_e32 v[116:117], s[8:9], v[0:1]
	v_add_nc_u64_e32 v[118:119], s[10:11], v[0:1]
	s_wait_xcnt 0x0
	v_add_nc_u64_e32 v[36:37], s[8:9], v[4:5]
	v_add_nc_u64_e32 v[38:39], s[10:11], v[4:5]
	v_lshlrev_b64_e32 v[4:5], 1, v[28:29]
	v_lshlrev_b64_e32 v[0:1], 1, v[20:21]
	v_add_nc_u64_e32 v[40:41], s[8:9], v[10:11]
	v_add_nc_u64_e32 v[42:43], s[10:11], v[10:11]
	v_lshlrev_b64_e32 v[10:11], 1, v[16:17]
	v_add_nc_u64_e32 v[44:45], s[8:9], v[6:7]
	v_add_nc_u64_e32 v[46:47], s[10:11], v[6:7]
	v_lshlrev_b64_e32 v[6:7], 1, v[30:31]
	v_lshlrev_b64_e32 v[12:13], 1, v[32:33]
	v_add_nc_u64_e32 v[48:49], s[8:9], v[4:5]
	v_add_nc_u64_e32 v[50:51], s[10:11], v[4:5]
	v_lshlrev_b64_e32 v[4:5], 1, v[8:9]
	v_add_nc_u64_e32 v[88:89], s[8:9], v[0:1]
	v_add_nc_u64_e32 v[0:1], s[10:11], v[0:1]
	;; [unrolled: 1-line block ×10, first 2 shown]
	s_mov_b64 s[8:9], 0xffffffffffffff01
	s_mov_b64 s[10:11], 0xffffffffffffff02
	;; [unrolled: 1-line block ×5, first 2 shown]
	s_add_nc_u64 s[52:53], s[0:1], 64
	s_lshl_b64 s[54:55], s[54:55], 1
	s_add_nc_u64 s[56:57], s[18:19], 0xff
	s_branch .LBB82_87
.LBB82_84:                              ;   in Loop: Header=BB82_87 Depth=1
	s_wait_xcnt 0x0
	s_or_b32 exec_lo, exec_lo, s17
.LBB82_85:                              ;   in Loop: Header=BB82_87 Depth=1
	s_delay_alu instid0(SALU_CYCLE_1)
	s_or_b32 exec_lo, exec_lo, s2
	v_add_nc_u64_e32 v[4:5], v[102:103], v[98:99]
	v_add_nc_u64_e32 v[6:7], v[100:101], v[98:99]
	s_wait_loadcnt 0x1
	ds_bpermute_b32 v27, v2, v3
	ds_bpermute_b32 v32, v2, v3 offset:12
	global_load_u16 v8, v[4:5], off
	global_load_u16 v17, v[6:7], off
	s_clause 0x2
	scratch_load_b64 v[4:5], off, off offset:48
	scratch_load_b64 v[6:7], off, off offset:56
	scratch_load_b64 v[10:11], off, off
	s_wait_loadcnt 0x2
	v_add_nc_u64_e32 v[4:5], v[4:5], v[98:99]
	s_wait_loadcnt 0x1
	v_add_nc_u64_e32 v[6:7], v[6:7], v[98:99]
	;; [unrolled: 2-line block ×3, first 2 shown]
	global_load_u16 v24, v[4:5], off
	scratch_load_b64 v[4:5], off, off offset:8 ; 8-byte Folded Reload
	global_load_u16 v9, v[6:7], off
	global_load_u16 v12, v[10:11], off
	scratch_load_b64 v[6:7], off, off offset:64 ; 8-byte Folded Reload
	s_wait_loadcnt 0x2
	v_cvt_f32_f16_e32 v35, v9
	v_add_nc_u64_e32 v[4:5], v[4:5], v[98:99]
	s_wait_loadcnt 0x0
	v_add_nc_u64_e32 v[6:7], v[6:7], v[98:99]
	v_cvt_f32_f16_e32 v24, v24
	v_cvt_f32_f16_e32 v12, v12
	global_load_u16 v16, v[4:5], off
	scratch_load_b64 v[4:5], off, off offset:16 ; 8-byte Folded Reload
	s_wait_loadcnt 0x0
	v_add_nc_u64_e32 v[4:5], v[4:5], v[98:99]
	global_load_u16 v13, v[6:7], off
	global_load_u16 v14, v[4:5], off
	s_clause 0x1
	scratch_load_b64 v[4:5], off, off offset:80
	scratch_load_b64 v[6:7], off, off offset:24
	s_wait_loadcnt 0x2
	v_cvt_f32_f16_e32 v14, v14
	s_wait_loadcnt 0x1
	v_add_nc_u64_e32 v[4:5], v[4:5], v[98:99]
	s_wait_loadcnt 0x0
	v_add_nc_u64_e32 v[6:7], v[6:7], v[98:99]
	global_load_u16 v15, v[4:5], off
	scratch_load_b64 v[4:5], off, off offset:88 ; 8-byte Folded Reload
	global_load_u16 v10, v[6:7], off
	scratch_load_b64 v[6:7], off, off offset:32 ; 8-byte Folded Reload
	s_wait_loadcnt 0x2
	v_add_nc_u64_e32 v[4:5], v[4:5], v[98:99]
	s_wait_loadcnt 0x0
	v_add_nc_u64_e32 v[6:7], v[6:7], v[98:99]
	global_load_u16 v11, v[4:5], off
	global_load_u16 v6, v[6:7], off
	s_clause 0x1
	scratch_load_b64 v[4:5], off, off offset:96
	scratch_load_b64 v[20:21], off, off offset:40
	s_wait_loadcnt 0x3
	v_cvt_f32_f16_e32 v11, v11
	s_wait_loadcnt 0x1
	v_add_nc_u64_e32 v[4:5], v[4:5], v[98:99]
	s_wait_loadcnt 0x0
	v_add_nc_u64_e32 v[20:21], v[20:21], v[98:99]
	global_load_u16 v34, v[4:5], off
	global_load_u16 v7, v[20:21], off
	s_clause 0x4
	scratch_load_b64 v[30:31], off, off offset:128
	scratch_load_b64 v[4:5], off, off offset:72
	;; [unrolled: 1-line block ×5, first 2 shown]
	s_wait_loadcnt 0x4
	v_add_nc_u64_e32 v[70:71], v[30:31], v[98:99]
	scratch_load_b64 v[30:31], off, off offset:136 ; 8-byte Folded Reload
	s_wait_loadcnt 0x3
	v_add_nc_u64_e32 v[20:21], v[20:21], v[98:99]
	v_add_nc_u64_e32 v[4:5], v[4:5], v[98:99]
	s_wait_loadcnt 0x1
	v_add_nc_u64_e32 v[28:29], v[28:29], v[98:99]
	v_add_nc_u64_e32 v[22:23], v[22:23], v[98:99]
	global_load_u16 v19, v[70:71], off
	scratch_load_b64 v[70:71], off, off offset:168 ; 8-byte Folded Reload
	global_load_u16 v33, v[20:21], off
	global_load_u16 v26, v[4:5], off
	s_wait_xcnt 0x0
	ds_bpermute_b32 v5, v2, v3 offset:4
	ds_bpermute_b32 v4, v2, v18
	global_load_u16 v25, v[22:23], off
	s_wait_xcnt 0x0
	ds_bpermute_b32 v23, v2, v3 offset:8
	v_cvt_f32_f16_e32 v20, v8
	v_cvt_f32_f16_e32 v8, v17
	s_wait_dscnt 0x2
	v_sub_f32_e32 v5, v24, v5
	s_delay_alu instid0(VALU_DEP_3) | instskip(SKIP_4) | instid1(VALU_DEP_1)
	v_sub_f32_e32 v17, v20, v27
	ds_bpermute_b32 v27, v2, v18 offset:8
	v_mul_f32_e32 v5, v5, v12
	v_mul_f32_e32 v17, v17, v8
	s_wait_dscnt 0x1
	v_dual_mul_f32 v9, v17, v4 :: v_dual_sub_f32 v17, v35, v23
	v_cvt_f32_f16_e32 v4, v16
	ds_bpermute_b32 v35, v2, v3 offset:16
	v_pk_add_f32 v[8:9], v[80:81], v[8:9]
	s_wait_loadcnt 0x5
	v_add_nc_u64_e32 v[104:105], v[30:31], v[98:99]
	scratch_load_b64 v[30:31], off, off offset:144 ; 8-byte Folded Reload
	s_wait_loadcnt 0x4
	v_add_nc_u64_e32 v[70:71], v[70:71], v[98:99]
	global_load_u16 v22, v[104:105], off
	global_load_u16 v24, v[70:71], off
	s_wait_xcnt 0x0
	v_add_nc_u64_e32 v[70:71], v[82:83], v[98:99]
	s_wait_loadcnt 0x2
	v_add_nc_u64_e32 v[72:73], v[30:31], v[98:99]
	scratch_load_b64 v[30:31], off, off offset:152 ; 8-byte Folded Reload
	global_load_u16 v20, v[72:73], off
	s_wait_xcnt 0x0
	v_cvt_f32_f16_e32 v72, v13
	s_wait_loadcnt 0x1
	v_add_nc_u64_e32 v[74:75], v[30:31], v[98:99]
	global_load_u16 v30, v[28:29], off
	scratch_load_b64 v[28:29], off, off offset:160 ; 8-byte Folded Reload
	ds_bpermute_b32 v31, v2, v18 offset:4
	global_load_u16 v21, v[74:75], off
	s_wait_xcnt 0x0
	ds_bpermute_b32 v74, v2, v18 offset:36
	s_wait_dscnt 0x1
	v_mul_f32_e32 v13, v5, v31
	ds_bpermute_b32 v31, v2, v3 offset:20
	s_wait_dscnt 0x0
	v_sub_f32_e32 v11, v11, v31
	s_wait_loadcnt 0x1
	v_add_nc_u64_e32 v[28:29], v[28:29], v[98:99]
	global_load_u16 v23, v[28:29], off
	s_wait_xcnt 0x0
	ds_bpermute_b32 v29, v2, v18 offset:12
	v_mul_f32_e32 v28, v17, v4
	v_add_nc_u64_e32 v[16:17], v[78:79], v[98:99]
	s_delay_alu instid0(VALU_DEP_2)
	v_mul_f32_e32 v5, v28, v27
	v_sub_f32_e32 v27, v72, v32
	v_cvt_f32_f16_e32 v32, v15
	global_load_u16 v28, v[16:17], off
	s_wait_xcnt 0x0
	ds_bpermute_b32 v17, v2, v18 offset:16
	ds_bpermute_b32 v72, v2, v3 offset:24
	v_dual_mul_f32 v16, v27, v14 :: v_dual_sub_f32 v32, v32, v35
	global_load_u16 v27, v[70:71], off
	s_wait_xcnt 0x0
	v_add_nc_u64_e32 v[70:71], v[84:85], v[98:99]
	ds_bpermute_b32 v35, v2, v18 offset:20
	v_pk_add_f32 v[8:9], v[8:9], v[12:13]
	v_cvt_f32_f16_e32 v12, v33
	ds_bpermute_b32 v33, v2, v18 offset:32
	s_wait_dscnt 0x4
	v_mul_f32_e32 v15, v16, v29
	v_cvt_f32_f16_e32 v16, v10
	global_load_u16 v29, v[70:71], off
	s_wait_xcnt 0x0
	v_add_nc_u64_e32 v[70:71], v[86:87], v[98:99]
	v_pk_add_f32 v[8:9], v[8:9], v[4:5]
	v_cvt_f32_f16_e32 v5, v30
	v_mul_f32_e32 v10, v32, v16
	v_cvt_f32_f16_e32 v4, v26
	ds_bpermute_b32 v26, v2, v18 offset:48
	global_load_u16 v32, v[70:71], off
	s_wait_dscnt 0x4
	v_mul_f32_e32 v17, v10, v17
	v_cvt_f32_f16_e32 v10, v6
	s_wait_xcnt 0x0
	v_add_nc_u64_e32 v[70:71], v[90:91], v[98:99]
	s_delay_alu instid0(VALU_DEP_2)
	v_mul_f32_e32 v6, v11, v10
	global_load_u16 v31, v[70:71], off
	s_wait_xcnt 0x0
	ds_bpermute_b32 v71, v2, v3 offset:28
	s_wait_dscnt 0x3
	v_mul_f32_e32 v11, v6, v35
	ds_bpermute_b32 v35, v2, v18 offset:24
	v_cvt_f32_f16_e32 v6, v34
	s_delay_alu instid0(VALU_DEP_1) | instskip(SKIP_3) | instid1(VALU_DEP_2)
	v_sub_f32_e32 v34, v6, v72
	v_cvt_f32_f16_e32 v6, v7
	v_add_nc_u64_e32 v[72:73], v[94:95], v[98:99]
	s_wait_dscnt 0x1
	v_dual_mul_f32 v7, v34, v6 :: v_dual_sub_f32 v30, v12, v71
	v_pk_add_f32 v[12:13], v[8:9], v[14:15]
	s_wait_dscnt 0x0
	s_delay_alu instid0(VALU_DEP_2)
	v_mul_f32_e32 v7, v7, v35
	v_add_nc_u64_e32 v[34:35], v[92:93], v[98:99]
	ds_bpermute_b32 v14, v2, v3 offset:36
	v_cvt_f32_f16_e32 v8, v25
	v_pk_add_f32 v[12:13], v[12:13], v[16:17]
	ds_bpermute_b32 v16, v2, v3 offset:40
	ds_bpermute_b32 v25, v2, v3 offset:44
	;; [unrolled: 1-line block ×3, first 2 shown]
	global_load_u16 v70, v[34:35], off
	s_wait_xcnt 0x0
	v_add_nc_u64_e32 v[34:35], v[96:97], v[98:99]
	v_pk_add_f32 v[10:11], v[12:13], v[10:11]
	ds_bpermute_b32 v13, v2, v3 offset:48
	v_cvt_f32_f16_e32 v12, v22
	ds_bpermute_b32 v17, v2, v18 offset:44
	ds_bpermute_b32 v22, v2, v3 offset:56
	v_pk_add_f32 v[6:7], v[10:11], v[6:7]
	global_load_u16 v34, v[34:35], off
	global_load_u16 v35, v[72:73], off
	s_wait_xcnt 0x0
	ds_bpermute_b32 v72, v2, v3 offset:32
	ds_bpermute_b32 v73, v2, v18 offset:28
	v_cvt_f32_f16_e32 v10, v19
	s_wait_loadcnt 0x9
	v_cvt_f32_f16_e32 v19, v21
	ds_bpermute_b32 v71, v2, v18 offset:56
	s_wait_dscnt 0x9
	v_sub_f32_e32 v11, v12, v14
	v_cvt_f32_f16_e32 v12, v20
	s_delay_alu instid0(VALU_DEP_2) | instskip(SKIP_1) | instid1(VALU_DEP_1)
	v_mul_f32_e32 v11, v11, v10
	s_wait_dscnt 0x2
	v_dual_mul_f32 v11, v11, v74 :: v_dual_sub_f32 v9, v5, v72
	v_mul_f32_e32 v5, v30, v4
	ds_bpermute_b32 v30, v2, v18 offset:52
	ds_bpermute_b32 v18, v2, v18 offset:60
	s_wait_dscnt 0x3
	v_mul_f32_e32 v5, v5, v73
	v_mul_f32_e32 v9, v9, v8
	s_delay_alu instid0(VALU_DEP_2) | instskip(NEXT) | instid1(VALU_DEP_2)
	v_pk_add_f32 v[4:5], v[6:7], v[4:5]
	v_mul_f32_e32 v9, v9, v33
	ds_bpermute_b32 v33, v2, v3 offset:52
	v_cvt_f32_f16_e32 v7, v24
	ds_bpermute_b32 v3, v2, v3 offset:60
	v_pk_add_f32 v[4:5], v[4:5], v[8:9]
	s_delay_alu instid0(VALU_DEP_1)
	v_pk_add_f32 v[4:5], v[4:5], v[10:11]
	s_wait_loadcnt 0x8
	v_cvt_f32_f16_e32 v6, v23
	s_wait_loadcnt 0x7
	v_cvt_f32_f16_e32 v14, v28
	;; [unrolled: 2-line block ×3, first 2 shown]
	s_delay_alu instid0(VALU_DEP_1) | instskip(SKIP_3) | instid1(VALU_DEP_3)
	v_dual_sub_f32 v19, v19, v16 :: v_dual_sub_f32 v9, v20, v13
	v_sub_f32_e32 v7, v7, v25
	s_wait_loadcnt 0x5
	v_cvt_f32_f16_e32 v16, v29
	v_mul_f32_e32 v9, v9, v14
	s_delay_alu instid0(VALU_DEP_3) | instskip(SKIP_3) | instid1(VALU_DEP_3)
	v_mul_f32_e32 v7, v7, v6
	s_wait_loadcnt 0x4
	v_cvt_f32_f16_e32 v8, v32
	v_mul_f32_e32 v19, v19, v12
	v_mul_f32_e32 v7, v7, v17
	s_wait_dscnt 0x1
	s_delay_alu instid0(VALU_DEP_3) | instskip(SKIP_2) | instid1(VALU_DEP_2)
	v_sub_f32_e32 v11, v8, v33
	s_wait_loadcnt 0x3
	v_cvt_f32_f16_e32 v8, v31
	v_mul_f32_e32 v11, v11, v16
	s_delay_alu instid0(VALU_DEP_1) | instskip(SKIP_3) | instid1(VALU_DEP_2)
	v_mul_f32_e32 v17, v11, v30
	s_wait_loadcnt 0x2
	v_cvt_f32_f16_e32 v10, v70
	v_dual_mul_f32 v13, v19, v15 :: v_dual_mul_f32 v15, v9, v26
	v_sub_f32_e32 v10, v10, v22
	s_delay_alu instid0(VALU_DEP_2) | instskip(NEXT) | instid1(VALU_DEP_2)
	v_pk_add_f32 v[4:5], v[4:5], v[12:13]
	v_mul_f32_e32 v9, v10, v8
	s_delay_alu instid0(VALU_DEP_2)
	v_pk_add_f32 v[4:5], v[4:5], v[6:7]
	s_wait_loadcnt 0x1
	v_cvt_f32_f16_e32 v7, v34
	s_wait_loadcnt 0x0
	v_cvt_f32_f16_e32 v6, v35
	v_mul_f32_e32 v9, v9, v71
	v_pk_add_f32 v[4:5], v[4:5], v[14:15]
	s_wait_dscnt 0x0
	v_sub_f32_e32 v3, v7, v3
	s_delay_alu instid0(VALU_DEP_2) | instskip(NEXT) | instid1(VALU_DEP_2)
	v_pk_add_f32 v[4:5], v[4:5], v[16:17]
	v_mul_f32_e32 v3, v3, v6
	s_delay_alu instid0(VALU_DEP_2) | instskip(NEXT) | instid1(VALU_DEP_2)
	v_pk_add_f32 v[4:5], v[4:5], v[8:9]
	v_mul_f32_e32 v7, v3, v18
	s_delay_alu instid0(VALU_DEP_1)
	v_pk_add_f32 v[104:105], v[4:5], v[6:7]
.LBB82_86:                              ;   in Loop: Header=BB82_87 Depth=1
	scratch_load_b64 v[4:5], off, off       ; 8-byte Folded Reload
	s_add_nc_u64 s[18:19], s[18:19], s[20:21]
	v_add_nc_u64_e32 v[100:101], s[54:55], v[100:101]
	v_cmp_ge_i64_e64 s2, s[18:19], s[4:5]
	v_add_nc_u64_e32 v[102:103], s[54:55], v[102:103]
	v_add_nc_u64_e32 v[78:79], s[54:55], v[78:79]
	;; [unrolled: 1-line block ×39, first 2 shown]
	s_and_b32 vcc_lo, exec_lo, s2
	s_add_nc_u64 s[56:57], s[56:57], s[20:21]
	s_wait_loadcnt 0x0
	v_add_nc_u64_e32 v[4:5], s[54:55], v[4:5]
	s_clause 0x1
	scratch_store_b64 off, v[4:5], off
	scratch_load_b64 v[4:5], off, off offset:8
	s_wait_loadcnt 0x0
	v_add_nc_u64_e32 v[4:5], s[54:55], v[4:5]
	s_clause 0x1
	scratch_store_b64 off, v[4:5], off offset:8
	scratch_load_b64 v[4:5], off, off offset:16
	s_wait_loadcnt 0x0
	v_add_nc_u64_e32 v[4:5], s[54:55], v[4:5]
	s_clause 0x1
	scratch_store_b64 off, v[4:5], off offset:16
	;; [unrolled: 5-line block ×20, first 2 shown]
	scratch_load_b64 v[4:5], off, off offset:168
	s_wait_loadcnt 0x0
	v_add_nc_u64_e32 v[4:5], s[54:55], v[4:5]
	scratch_store_b64 off, v[4:5], off offset:168 ; 8-byte Folded Spill
	s_cbranch_vccnz .LBB82_129
.LBB82_87:                              ; =>This Inner Loop Header: Depth=1
	scratch_load_b64 v[4:5], off, off offset:180 ; 8-byte Folded Reload
	v_cmp_ge_i64_e64 s17, s[56:57], s[4:5]
	v_dual_mov_b32 v80, v104 :: v_dual_mov_b32 v81, v105
	s_mov_b32 s2, -1
                                        ; implicit-def: $vgpr105
	s_and_b32 vcc_lo, exec_lo, s17
	s_wait_loadcnt 0x0
	v_add_nc_u64_e32 v[70:71], s[56:57], v[4:5]
	s_cbranch_vccz .LBB82_125
; %bb.88:                               ;   in Loop: Header=BB82_87 Depth=1
	s_load_b32 s2, s[52:53], 0xc
	s_clause 0x1
	scratch_load_b32 v3, off, off offset:176
	scratch_load_b32 v4, off, off offset:188
	v_dual_mov_b32 v104, 0 :: v_dual_mov_b32 v105, 0
	s_wait_kmcnt 0x0
	s_and_b32 s2, s2, 0xffff
	s_wait_loadcnt 0x0
	v_mad_u32_u24 v3, v3, s2, v4
	s_mov_b32 s2, exec_lo
	s_delay_alu instid0(VALU_DEP_1) | instskip(SKIP_1) | instid1(VALU_DEP_1)
	v_and_b32_e32 v4, 31, v3
	s_wait_xcnt 0x0
	v_cmpx_gt_u32_e32 16, v4
	s_cbranch_execz .LBB82_92
; %bb.89:                               ;   in Loop: Header=BB82_87 Depth=1
	v_dual_mov_b32 v5, v2 :: v_dual_mov_b32 v104, 0
	v_mov_b32_e32 v105, 0
	s_mov_b32 s17, exec_lo
	s_delay_alu instid0(VALU_DEP_2) | instskip(NEXT) | instid1(VALU_DEP_1)
	v_add_nc_u64_e32 v[4:5], v[70:71], v[4:5]
	v_add_nc_u64_e32 v[4:5], s[8:9], v[4:5]
	s_delay_alu instid0(VALU_DEP_1)
	v_cmpx_gt_i64_e64 s[4:5], v[4:5]
	s_cbranch_execz .LBB82_91
; %bb.90:                               ;   in Loop: Header=BB82_87 Depth=1
	v_lshlrev_b64_e32 v[4:5], 2, v[4:5]
	s_delay_alu instid0(VALU_DEP_1)
	v_add_nc_u64_e32 v[6:7], s[12:13], v[4:5]
	v_add_nc_u64_e32 v[4:5], s[14:15], v[4:5]
	global_load_b32 v104, v[6:7], off
	global_load_b32 v105, v[4:5], off
.LBB82_91:                              ;   in Loop: Header=BB82_87 Depth=1
	s_wait_xcnt 0x0
	s_or_b32 exec_lo, exec_lo, s17
.LBB82_92:                              ;   in Loop: Header=BB82_87 Depth=1
	s_delay_alu instid0(SALU_CYCLE_1)
	s_or_b32 exec_lo, exec_lo, s2
	v_add_nc_u64_e32 v[18:19], s[8:9], v[70:71]
	v_dual_mov_b32 v15, v2 :: v_dual_mov_b32 v16, v2
	v_dual_mov_b32 v17, v2 :: v_dual_mov_b32 v3, v2
	;; [unrolled: 1-line block ×7, first 2 shown]
	v_mov_b32_e32 v14, v2
	v_mov_b64_e32 v[34:35], v[16:17]
	v_cmp_gt_i64_e32 vcc_lo, s[4:5], v[18:19]
	v_mov_b64_e32 v[28:29], v[10:11]
	v_mov_b64_e32 v[30:31], v[12:13]
	;; [unrolled: 1-line block ×15, first 2 shown]
	s_and_saveexec_b32 s2, vcc_lo
	s_cbranch_execz .LBB82_94
; %bb.93:                               ;   in Loop: Header=BB82_87 Depth=1
	v_add_nc_u64_e32 v[4:5], v[100:101], v[98:99]
	v_add_nc_u64_e32 v[6:7], v[102:103], v[98:99]
	v_dual_mov_b32 v9, v2 :: v_dual_mov_b32 v10, v2
	v_dual_mov_b32 v11, v2 :: v_dual_mov_b32 v12, v2
	v_dual_mov_b32 v13, v2 :: v_dual_mov_b32 v14, v2
	global_load_u16 v3, v[4:5], off
	global_load_u16 v20, v[6:7], off
	s_wait_xcnt 0x0
	v_dual_mov_b32 v5, v2 :: v_dual_mov_b32 v6, v2
	v_dual_mov_b32 v7, v2 :: v_dual_mov_b32 v8, v2
	;; [unrolled: 1-line block ×12, first 2 shown]
	s_wait_loadcnt 0x1
	v_cvt_f32_f16_e32 v4, v3
	s_wait_loadcnt 0x0
	v_cvt_f32_f16_e32 v20, v20
.LBB82_94:                              ;   in Loop: Header=BB82_87 Depth=1
	s_or_b32 exec_lo, exec_lo, s2
	v_add_nc_u64_e32 v[72:73], s[10:11], v[70:71]
	s_mov_b32 s2, exec_lo
	s_delay_alu instid0(VALU_DEP_1)
	v_cmpx_gt_i64_e64 s[4:5], v[72:73]
	s_cbranch_execz .LBB82_96
; %bb.95:                               ;   in Loop: Header=BB82_87 Depth=1
	v_add_nc_u64_e32 v[72:73], v[64:65], v[98:99]
	global_load_u16 v3, v[72:73], off
	s_wait_xcnt 0x0
	v_add_nc_u64_e32 v[72:73], v[66:67], v[98:99]
	s_wait_loadcnt 0x0
	v_cvt_f32_f16_e32 v5, v3
	global_load_u16 v3, v[72:73], off
	s_wait_loadcnt 0x0
	v_cvt_f32_f16_e32 v21, v3
.LBB82_96:                              ;   in Loop: Header=BB82_87 Depth=1
	s_wait_xcnt 0x0
	s_or_b32 exec_lo, exec_lo, s2
	v_add_nc_u64_e32 v[72:73], s[22:23], v[70:71]
	s_mov_b32 s2, exec_lo
	s_delay_alu instid0(VALU_DEP_1)
	v_cmpx_gt_i64_e64 s[4:5], v[72:73]
	s_cbranch_execz .LBB82_98
; %bb.97:                               ;   in Loop: Header=BB82_87 Depth=1
	v_add_nc_u64_e32 v[72:73], v[60:61], v[98:99]
	global_load_u16 v3, v[72:73], off
	s_wait_xcnt 0x0
	v_add_nc_u64_e32 v[72:73], v[62:63], v[98:99]
	s_wait_loadcnt 0x0
	v_cvt_f32_f16_e32 v6, v3
	global_load_u16 v3, v[72:73], off
	s_wait_loadcnt 0x0
	v_cvt_f32_f16_e32 v22, v3
.LBB82_98:                              ;   in Loop: Header=BB82_87 Depth=1
	s_wait_xcnt 0x0
	s_or_b32 exec_lo, exec_lo, s2
	v_add_nc_u64_e32 v[72:73], s[24:25], v[70:71]
	s_mov_b32 s2, exec_lo
	s_delay_alu instid0(VALU_DEP_1)
	v_cmpx_gt_i64_e64 s[4:5], v[72:73]
	s_cbranch_execz .LBB82_100
; %bb.99:                               ;   in Loop: Header=BB82_87 Depth=1
	v_add_nc_u64_e32 v[72:73], v[56:57], v[98:99]
	global_load_u16 v3, v[72:73], off
	s_wait_xcnt 0x0
	v_add_nc_u64_e32 v[72:73], v[58:59], v[98:99]
	s_wait_loadcnt 0x0
	v_cvt_f32_f16_e32 v7, v3
	global_load_u16 v3, v[72:73], off
	s_wait_loadcnt 0x0
	v_cvt_f32_f16_e32 v23, v3
.LBB82_100:                             ;   in Loop: Header=BB82_87 Depth=1
	s_wait_xcnt 0x0
	s_or_b32 exec_lo, exec_lo, s2
	v_add_nc_u64_e32 v[72:73], s[26:27], v[70:71]
	s_mov_b32 s2, exec_lo
	s_delay_alu instid0(VALU_DEP_1)
	v_cmpx_gt_i64_e64 s[4:5], v[72:73]
	s_cbranch_execz .LBB82_102
; %bb.101:                              ;   in Loop: Header=BB82_87 Depth=1
	v_add_nc_u64_e32 v[72:73], v[52:53], v[98:99]
	global_load_u16 v3, v[72:73], off
	s_wait_xcnt 0x0
	v_add_nc_u64_e32 v[72:73], v[54:55], v[98:99]
	s_wait_loadcnt 0x0
	v_cvt_f32_f16_e32 v8, v3
	global_load_u16 v3, v[72:73], off
	s_wait_loadcnt 0x0
	v_cvt_f32_f16_e32 v24, v3
.LBB82_102:                             ;   in Loop: Header=BB82_87 Depth=1
	s_wait_xcnt 0x0
	s_or_b32 exec_lo, exec_lo, s2
	v_add_nc_u64_e32 v[72:73], s[28:29], v[70:71]
	s_mov_b32 s2, exec_lo
	s_delay_alu instid0(VALU_DEP_1)
	v_cmpx_gt_i64_e64 s[4:5], v[72:73]
	s_cbranch_execz .LBB82_104
; %bb.103:                              ;   in Loop: Header=BB82_87 Depth=1
	v_add_nc_u64_e32 v[72:73], v[48:49], v[98:99]
	global_load_u16 v3, v[72:73], off
	s_wait_xcnt 0x0
	v_add_nc_u64_e32 v[72:73], v[50:51], v[98:99]
	s_wait_loadcnt 0x0
	v_cvt_f32_f16_e32 v9, v3
	global_load_u16 v3, v[72:73], off
	s_wait_loadcnt 0x0
	v_cvt_f32_f16_e32 v25, v3
.LBB82_104:                             ;   in Loop: Header=BB82_87 Depth=1
	;; [unrolled: 18-line block ×12, first 2 shown]
	s_wait_xcnt 0x0
	s_or_b32 exec_lo, exec_lo, s2
	s_wait_loadcnt 0x1
	ds_bpermute_b32 v72, v2, v104
	s_wait_loadcnt 0x0
	ds_bpermute_b32 v3, v2, v105
	s_mov_b32 s2, 0
	v_dual_mov_b32 v74, v6 :: v_dual_mov_b32 v76, v8
	s_wait_dscnt 0x1
	v_sub_f32_e32 v20, v20, v72
	s_delay_alu instid0(VALU_DEP_1) | instskip(SKIP_1) | instid1(VALU_DEP_1)
	v_dual_mov_b32 v72, v4 :: v_dual_mul_f32 v20, v4, v20
	s_wait_dscnt 0x0
	v_mul_f32_e32 v73, v20, v3
	ds_bpermute_b32 v20, v2, v104 offset:4
	ds_bpermute_b32 v3, v2, v105 offset:4
	s_wait_dscnt 0x1
	v_sub_f32_e32 v20, v21, v20
	v_pk_add_f32 v[72:73], v[80:81], v[72:73]
	s_delay_alu instid0(VALU_DEP_2) | instskip(SKIP_1) | instid1(VALU_DEP_1)
	v_mul_f32_e32 v20, v5, v20
	s_wait_dscnt 0x0
	v_mul_f32_e32 v21, v20, v3
	ds_bpermute_b32 v20, v2, v104 offset:8
	ds_bpermute_b32 v3, v2, v105 offset:8
	s_wait_dscnt 0x1
	v_dual_sub_f32 v20, v22, v20 :: v_dual_mov_b32 v22, v7
	s_delay_alu instid0(VALU_DEP_1)
	v_mul_f32_e32 v20, v6, v20
	ds_bpermute_b32 v6, v2, v104 offset:24
	s_wait_dscnt 0x1
	v_mul_f32_e32 v75, v20, v3
	ds_bpermute_b32 v20, v2, v104 offset:12
	ds_bpermute_b32 v3, v2, v105 offset:12
	s_wait_dscnt 0x2
	v_dual_sub_f32 v6, v26, v6 :: v_dual_mov_b32 v26, v15
	s_wait_dscnt 0x1
	s_delay_alu instid0(VALU_DEP_1) | instskip(NEXT) | instid1(VALU_DEP_1)
	v_dual_sub_f32 v20, v23, v20 :: v_dual_mul_f32 v6, v10, v6
	v_mul_f32_e32 v20, v7, v20
	s_wait_dscnt 0x0
	s_delay_alu instid0(VALU_DEP_1) | instskip(SKIP_4) | instid1(VALU_DEP_1)
	v_mul_f32_e32 v23, v20, v3
	ds_bpermute_b32 v20, v2, v104 offset:16
	ds_bpermute_b32 v3, v2, v105 offset:16
	s_wait_dscnt 0x1
	v_dual_sub_f32 v20, v24, v20 :: v_dual_mov_b32 v24, v9
	v_dual_mul_f32 v20, v8, v20 :: v_dual_mov_b32 v8, v11
	s_wait_dscnt 0x0
	s_delay_alu instid0(VALU_DEP_1) | instskip(SKIP_4) | instid1(VALU_DEP_1)
	v_mul_f32_e32 v77, v20, v3
	ds_bpermute_b32 v20, v2, v104 offset:20
	ds_bpermute_b32 v3, v2, v105 offset:20
	s_wait_dscnt 0x1
	v_sub_f32_e32 v20, v25, v20
	v_mul_f32_e32 v20, v9, v20
	s_wait_dscnt 0x0
	s_delay_alu instid0(VALU_DEP_1) | instskip(SKIP_3) | instid1(VALU_DEP_2)
	v_dual_mul_f32 v25, v20, v3 :: v_dual_mov_b32 v20, v5
	ds_bpermute_b32 v3, v2, v105 offset:24
	v_pk_add_f32 v[4:5], v[20:21], v[72:73]
	v_mov_b32_e32 v20, v12
	v_pk_add_f32 v[4:5], v[74:75], v[4:5]
	s_delay_alu instid0(VALU_DEP_1) | instskip(SKIP_1) | instid1(VALU_DEP_2)
	v_pk_add_f32 v[4:5], v[22:23], v[4:5]
	v_mov_b32_e32 v22, v13
	v_pk_add_f32 v[4:5], v[76:77], v[4:5]
	s_wait_dscnt 0x0
	v_mul_f32_e32 v7, v6, v3
	ds_bpermute_b32 v6, v2, v104 offset:28
	ds_bpermute_b32 v3, v2, v105 offset:28
	v_pk_add_f32 v[4:5], v[24:25], v[4:5]
	s_wait_dscnt 0x1
	v_dual_mov_b32 v24, v14 :: v_dual_sub_f32 v6, v27, v6
	s_delay_alu instid0(VALU_DEP_1) | instskip(SKIP_1) | instid1(VALU_DEP_1)
	v_mul_f32_e32 v6, v11, v6
	s_wait_dscnt 0x0
	v_mul_f32_e32 v9, v6, v3
	ds_bpermute_b32 v6, v2, v104 offset:32
	ds_bpermute_b32 v3, v2, v105 offset:32
	s_wait_dscnt 0x1
	v_sub_f32_e32 v6, v28, v6
	v_mov_b32_e32 v28, v16
	s_delay_alu instid0(VALU_DEP_2) | instskip(SKIP_1) | instid1(VALU_DEP_1)
	v_mul_f32_e32 v6, v12, v6
	s_wait_dscnt 0x0
	v_mul_f32_e32 v21, v6, v3
	ds_bpermute_b32 v6, v2, v104 offset:36
	ds_bpermute_b32 v3, v2, v105 offset:36
	s_wait_dscnt 0x1
	v_sub_f32_e32 v6, v29, v6
	s_delay_alu instid0(VALU_DEP_1) | instskip(SKIP_1) | instid1(VALU_DEP_1)
	v_mul_f32_e32 v6, v13, v6
	s_wait_dscnt 0x0
	v_mul_f32_e32 v23, v6, v3
	ds_bpermute_b32 v6, v2, v104 offset:40
	ds_bpermute_b32 v3, v2, v105 offset:40
	s_wait_dscnt 0x1
	v_dual_sub_f32 v6, v30, v6 :: v_dual_mov_b32 v30, v17
	s_delay_alu instid0(VALU_DEP_1) | instskip(SKIP_1) | instid1(VALU_DEP_1)
	v_mul_f32_e32 v6, v14, v6
	s_wait_dscnt 0x0
	v_mul_f32_e32 v25, v6, v3
	ds_bpermute_b32 v6, v2, v104 offset:44
	ds_bpermute_b32 v3, v2, v105 offset:44
	s_wait_dscnt 0x1
	v_sub_f32_e32 v6, v31, v6
	s_delay_alu instid0(VALU_DEP_1) | instskip(SKIP_1) | instid1(VALU_DEP_1)
	v_mul_f32_e32 v6, v15, v6
	s_wait_dscnt 0x0
	v_mul_f32_e32 v27, v6, v3
	ds_bpermute_b32 v6, v2, v104 offset:48
	ds_bpermute_b32 v3, v2, v105 offset:48
	s_wait_dscnt 0x1
	v_dual_sub_f32 v6, v32, v6 :: v_dual_mov_b32 v32, v18
	s_delay_alu instid0(VALU_DEP_1) | instskip(SKIP_1) | instid1(VALU_DEP_1)
	v_mul_f32_e32 v6, v16, v6
	s_wait_dscnt 0x0
	v_mul_f32_e32 v29, v6, v3
	ds_bpermute_b32 v6, v2, v104 offset:52
	ds_bpermute_b32 v3, v2, v105 offset:52
	s_wait_dscnt 0x1
	v_sub_f32_e32 v6, v33, v6
	s_delay_alu instid0(VALU_DEP_1) | instskip(SKIP_1) | instid1(VALU_DEP_1)
	v_mul_f32_e32 v6, v17, v6
	s_wait_dscnt 0x0
	v_mul_f32_e32 v31, v6, v3
	ds_bpermute_b32 v6, v2, v104 offset:56
	ds_bpermute_b32 v3, v2, v105 offset:56
	s_wait_dscnt 0x1
	v_sub_f32_e32 v6, v34, v6
	s_delay_alu instid0(VALU_DEP_1) | instskip(SKIP_1) | instid1(VALU_DEP_1)
	v_mul_f32_e32 v6, v18, v6
	s_wait_dscnt 0x0
	v_mul_f32_e32 v33, v6, v3
	v_mov_b32_e32 v6, v10
	ds_bpermute_b32 v3, v2, v105 offset:60
	v_pk_add_f32 v[4:5], v[6:7], v[4:5]
	ds_bpermute_b32 v6, v2, v104 offset:60
	v_pk_add_f32 v[4:5], v[8:9], v[4:5]
	s_delay_alu instid0(VALU_DEP_1) | instskip(NEXT) | instid1(VALU_DEP_1)
	v_pk_add_f32 v[4:5], v[20:21], v[4:5]
	v_pk_add_f32 v[4:5], v[22:23], v[4:5]
	s_delay_alu instid0(VALU_DEP_1) | instskip(SKIP_2) | instid1(VALU_DEP_2)
	v_pk_add_f32 v[4:5], v[24:25], v[4:5]
	s_wait_dscnt 0x0
	v_sub_f32_e32 v6, v35, v6
	v_pk_add_f32 v[4:5], v[26:27], v[4:5]
	s_delay_alu instid0(VALU_DEP_2) | instskip(NEXT) | instid1(VALU_DEP_2)
	v_mul_f32_e32 v6, v19, v6
	v_pk_add_f32 v[4:5], v[28:29], v[4:5]
	s_delay_alu instid0(VALU_DEP_2) | instskip(NEXT) | instid1(VALU_DEP_2)
	v_dual_mul_f32 v7, v6, v3 :: v_dual_mov_b32 v6, v19
	v_pk_add_f32 v[4:5], v[30:31], v[4:5]
	s_delay_alu instid0(VALU_DEP_1) | instskip(NEXT) | instid1(VALU_DEP_1)
	v_pk_add_f32 v[4:5], v[32:33], v[4:5]
	v_pk_add_f32 v[104:105], v[6:7], v[4:5]
.LBB82_125:                             ;   in Loop: Header=BB82_87 Depth=1
	s_and_b32 vcc_lo, exec_lo, s2
	s_cbranch_vccz .LBB82_86
; %bb.126:                              ;   in Loop: Header=BB82_87 Depth=1
	s_load_b32 s2, s[52:53], 0x0
	v_mov_b32_e32 v18, 0
	s_wait_kmcnt 0x0
	s_cmp_lt_u32 s16, s2
	s_cselect_b32 s2, 12, 18
	s_delay_alu instid0(SALU_CYCLE_1)
	s_add_nc_u64 s[58:59], s[52:53], s[2:3]
	s_load_u16 s2, s[58:59], 0x0
	s_clause 0x1
	scratch_load_b32 v3, off, off offset:176
	scratch_load_b32 v4, off, off offset:188
	s_wait_loadcnt 0x0
	s_wait_kmcnt 0x0
	v_mad_u32_u24 v3, v3, s2, v4
	s_mov_b32 s2, exec_lo
	s_delay_alu instid0(VALU_DEP_1) | instskip(SKIP_1) | instid1(VALU_DEP_1)
	v_dual_mov_b32 v3, 0 :: v_dual_bitop2_b32 v4, 31, v3 bitop3:0x40
	s_wait_xcnt 0x0
	v_cmpx_gt_u32_e32 16, v4
	s_cbranch_execz .LBB82_85
; %bb.127:                              ;   in Loop: Header=BB82_87 Depth=1
	v_dual_mov_b32 v5, v2 :: v_dual_mov_b32 v3, 0
	v_mov_b32_e32 v18, 0
	s_mov_b32 s17, exec_lo
	s_delay_alu instid0(VALU_DEP_2) | instskip(NEXT) | instid1(VALU_DEP_1)
	v_add_nc_u64_e32 v[4:5], v[70:71], v[4:5]
	v_add_nc_u64_e32 v[4:5], s[8:9], v[4:5]
	s_delay_alu instid0(VALU_DEP_1)
	v_cmpx_gt_i64_e64 s[4:5], v[4:5]
	s_cbranch_execz .LBB82_84
; %bb.128:                              ;   in Loop: Header=BB82_87 Depth=1
	v_lshlrev_b64_e32 v[4:5], 2, v[4:5]
	s_delay_alu instid0(VALU_DEP_1)
	v_add_nc_u64_e32 v[6:7], s[12:13], v[4:5]
	v_add_nc_u64_e32 v[4:5], s[14:15], v[4:5]
	global_load_b32 v3, v[6:7], off
	global_load_b32 v18, v[4:5], off
	s_branch .LBB82_84
.LBB82_129:
	scratch_load_b32 v0, off, off offset:192 ; 4-byte Folded Reload
.LBB82_130:
	s_wait_loadcnt 0x0
	v_and_b32_e32 v1, 0x3ff, v0
	v_bfe_u32 v0, v0, 10, 10
	s_mov_b32 s2, exec_lo
	s_delay_alu instid0(VALU_DEP_1) | instskip(NEXT) | instid1(VALU_DEP_1)
	v_mad_u32_u24 v2, 0x41, v0, v1
	v_lshl_add_u32 v3, v2, 2, 0
	v_sub_nc_u32_e32 v6, v2, v0
	ds_store_b32 v3, v105
	ds_store_b32 v3, v104 offset:4160
	s_wait_storecnt_dscnt 0x0
	s_barrier_signal -1
	s_barrier_wait -1
	s_wait_xcnt 0x0
	v_cmpx_gt_u32_e32 0x800, v6
	s_cbranch_execz .LBB82_146
; %bb.131:
	s_load_b128 s[8:11], s[0:1], 0x30
	v_dual_lshrrev_b32 v0, 5, v6 :: v_dual_bitop2_b32 v2, 31, v1 bitop3:0x40
	s_wait_xcnt 0x0
	s_delay_alu instid0(VALU_DEP_1)
	v_cmp_gt_u32_e64 s0, 16, v2
	v_mul_u32_u24_e32 v7, 0x41, v2
                                        ; implicit-def: $vgpr2
	s_and_saveexec_b32 s1, s0
	s_cbranch_execz .LBB82_133
; %bb.132:
	s_delay_alu instid0(VALU_DEP_1) | instskip(NEXT) | instid1(VALU_DEP_1)
	v_add_nc_u32_e32 v2, v0, v7
	v_lshl_add_u32 v2, v2, 2, 0
	ds_load_b32 v3, v2
	ds_load_b32 v2, v2 offset:4160
.LBB82_133:
	s_or_b32 exec_lo, exec_lo, s1
	v_mbcnt_lo_u32_b32 v11, -1, 0
	s_mov_b32 s17, 0
	v_cmp_eq_u32_e64 s1, 0, v1
	s_lshl_b64 s[2:3], s[16:17], 6
	s_wait_kmcnt 0x0
	s_cmp_lg_u64 s[8:9], 0
	v_xor_b32_e32 v9, 4, v11
	v_dual_mov_b32 v1, 0 :: v_dual_bitop2_b32 v4, 8, v11 bitop3:0x14
	s_cselect_b32 s5, -1, 0
	s_cmp_lg_u64 s[10:11], 0
	v_xor_b32_e32 v10, 2, v11
	s_delay_alu instid0(VALU_DEP_2)
	v_cmp_gt_i32_e32 vcc_lo, 32, v4
	s_cselect_b32 s4, -1, 0
	v_dual_cndmask_b32 v4, v11, v4, vcc_lo :: v_dual_bitop2_b32 v12, 1, v11 bitop3:0x14
	v_cmp_gt_i32_e32 vcc_lo, 32, v9
	v_cndmask_b32_e32 v9, v11, v9, vcc_lo
	v_cmp_gt_i32_e32 vcc_lo, 32, v10
	s_delay_alu instid0(VALU_DEP_2)
	v_dual_lshlrev_b32 v9, 2, v9 :: v_dual_lshlrev_b32 v8, 2, v4
	v_cndmask_b32_e32 v10, v11, v10, vcc_lo
	v_cmp_gt_i32_e32 vcc_lo, 32, v12
	s_wait_dscnt 0x1
	ds_bpermute_b32 v5, v8, v3
	s_wait_dscnt 0x1
	ds_bpermute_b32 v4, v8, v2
	v_dual_cndmask_b32 v11, v11, v12 :: v_dual_lshlrev_b32 v10, 2, v10
	s_wait_dscnt 0x0
	v_pk_add_f32 v[2:3], v[2:3], v[4:5]
	ds_bpermute_b32 v5, v9, v3
	ds_bpermute_b32 v4, v9, v2
	s_wait_dscnt 0x0
	v_pk_add_f32 v[2:3], v[2:3], v[4:5]
	ds_bpermute_b32 v5, v10, v3
	ds_bpermute_b32 v4, v10, v2
	s_wait_dscnt 0x0
	v_pk_add_f32 v[2:3], v[2:3], v[4:5]
	v_dual_mov_b32 v5, s3 :: v_dual_lshlrev_b32 v11, 2, v11
	v_or_b32_e32 v4, s2, v0
	ds_bpermute_b32 v13, v11, v3
	ds_bpermute_b32 v12, v11, v2
	v_cmp_gt_i64_e32 vcc_lo, s[6:7], v[4:5]
	s_and_b32 s13, s1, vcc_lo
	s_wait_dscnt 0x0
	v_pk_add_f32 v[2:3], v[2:3], v[12:13]
	s_and_saveexec_b32 s12, s13
	s_cbranch_execz .LBB82_138
; %bb.134:
	s_and_not1_b32 vcc_lo, exec_lo, s5
	s_cbranch_vccnz .LBB82_136
; %bb.135:
	v_lshl_add_u64 v[12:13], v[4:5], 1, s[8:9]
	v_cvt_f16_f32_e32 v14, v3
	global_store_b16 v[12:13], v14, off
.LBB82_136:
	s_and_not1_b32 vcc_lo, exec_lo, s4
	s_cbranch_vccnz .LBB82_138
; %bb.137:
	v_lshl_add_u64 v[4:5], v[4:5], 1, s[10:11]
	s_wait_xcnt 0x0
	v_cvt_f16_f32_e32 v12, v2
	global_store_b16 v[4:5], v12, off
.LBB82_138:
	s_wait_xcnt 0x0
	s_or_b32 exec_lo, exec_lo, s12
	v_cmp_gt_u32_e32 vcc_lo, 0x400, v6
	s_and_b32 exec_lo, exec_lo, vcc_lo
	s_cbranch_execz .LBB82_146
; %bb.139:
	s_and_saveexec_b32 s12, s0
	s_cbranch_execz .LBB82_141
; %bb.140:
	v_add_nc_u32_e32 v2, v0, v7
	s_delay_alu instid0(VALU_DEP_1)
	v_lshl_add_u32 v2, v2, 2, 0
	ds_load_b32 v3, v2 offset:128
	ds_load_b32 v2, v2 offset:4288
.LBB82_141:
	s_or_b32 exec_lo, exec_lo, s12
	s_wait_dscnt 0x1
	ds_bpermute_b32 v4, v8, v3
	s_wait_dscnt 0x1
	ds_bpermute_b32 v5, v8, v2
	v_dual_mov_b32 v7, s3 :: v_dual_add_nc_u32 v6, 32, v0
	s_delay_alu instid0(VALU_DEP_1) | instskip(NEXT) | instid1(VALU_DEP_1)
	v_or_b32_e32 v6, s2, v6
	v_cmp_gt_i64_e32 vcc_lo, s[6:7], v[6:7]
	s_and_b32 s0, s1, vcc_lo
	s_wait_dscnt 0x0
	v_dual_add_f32 v3, v3, v4 :: v_dual_add_f32 v2, v2, v5
	ds_bpermute_b32 v4, v9, v3
	ds_bpermute_b32 v5, v9, v2
	s_wait_dscnt 0x0
	v_dual_add_f32 v3, v3, v4 :: v_dual_add_f32 v2, v2, v5
	ds_bpermute_b32 v4, v10, v3
	ds_bpermute_b32 v5, v10, v2
	;; [unrolled: 4-line block ×3, first 2 shown]
	s_and_b32 exec_lo, exec_lo, s0
	s_cbranch_execz .LBB82_146
; %bb.142:
	v_add_nc_u64_e32 v[0:1], s[2:3], v[0:1]
	s_and_not1_b32 vcc_lo, exec_lo, s5
	s_cbranch_vccnz .LBB82_144
; %bb.143:
	s_wait_dscnt 0x1
	v_add_f32_e32 v6, v4, v5
	s_delay_alu instid0(VALU_DEP_2) | instskip(NEXT) | instid1(VALU_DEP_2)
	v_lshl_add_u64 v[4:5], v[0:1], 1, s[8:9]
	v_cvt_f16_f32_e32 v6, v6
	global_store_b16 v[4:5], v6, off offset:64
.LBB82_144:
	s_and_not1_b32 vcc_lo, exec_lo, s4
	s_cbranch_vccnz .LBB82_146
; %bb.145:
	s_wait_dscnt 0x0
	v_add_f32_e32 v2, v2, v3
	v_lshl_add_u64 v[0:1], v[0:1], 1, s[10:11]
	s_delay_alu instid0(VALU_DEP_2)
	v_cvt_f16_f32_e32 v2, v2
	global_store_b16 v[0:1], v2, off offset:64
.LBB82_146:
	s_sendmsg sendmsg(MSG_DEALLOC_VGPRS)
	s_endpgm
	.section	.rodata,"a",@progbits
	.p2align	6, 0x0
	.amdhsa_kernel _ZN2at6native12_GLOBAL__N_135GammaBetaBackwardCUDAKernelTemplateIN3c104HalfEfLj64ELj16ELj256ELb0ELb0ELb0EEEvllPKT_S7_PKT0_SA_PS5_SB_
		.amdhsa_group_segment_fixed_size 0
		.amdhsa_private_segment_fixed_size 200
		.amdhsa_kernarg_size 320
		.amdhsa_user_sgpr_count 2
		.amdhsa_user_sgpr_dispatch_ptr 0
		.amdhsa_user_sgpr_queue_ptr 0
		.amdhsa_user_sgpr_kernarg_segment_ptr 1
		.amdhsa_user_sgpr_dispatch_id 0
		.amdhsa_user_sgpr_kernarg_preload_length 0
		.amdhsa_user_sgpr_kernarg_preload_offset 0
		.amdhsa_user_sgpr_private_segment_size 0
		.amdhsa_wavefront_size32 1
		.amdhsa_uses_dynamic_stack 0
		.amdhsa_enable_private_segment 1
		.amdhsa_system_sgpr_workgroup_id_x 1
		.amdhsa_system_sgpr_workgroup_id_y 1
		.amdhsa_system_sgpr_workgroup_id_z 0
		.amdhsa_system_sgpr_workgroup_info 0
		.amdhsa_system_vgpr_workitem_id 1
		.amdhsa_next_free_vgpr 128
		.amdhsa_next_free_sgpr 68
		.amdhsa_named_barrier_count 0
		.amdhsa_reserve_vcc 1
		.amdhsa_float_round_mode_32 0
		.amdhsa_float_round_mode_16_64 0
		.amdhsa_float_denorm_mode_32 3
		.amdhsa_float_denorm_mode_16_64 3
		.amdhsa_fp16_overflow 0
		.amdhsa_memory_ordered 1
		.amdhsa_forward_progress 1
		.amdhsa_inst_pref_size 112
		.amdhsa_round_robin_scheduling 0
		.amdhsa_exception_fp_ieee_invalid_op 0
		.amdhsa_exception_fp_denorm_src 0
		.amdhsa_exception_fp_ieee_div_zero 0
		.amdhsa_exception_fp_ieee_overflow 0
		.amdhsa_exception_fp_ieee_underflow 0
		.amdhsa_exception_fp_ieee_inexact 0
		.amdhsa_exception_int_div_zero 0
	.end_amdhsa_kernel
	.section	.text._ZN2at6native12_GLOBAL__N_135GammaBetaBackwardCUDAKernelTemplateIN3c104HalfEfLj64ELj16ELj256ELb0ELb0ELb0EEEvllPKT_S7_PKT0_SA_PS5_SB_,"axG",@progbits,_ZN2at6native12_GLOBAL__N_135GammaBetaBackwardCUDAKernelTemplateIN3c104HalfEfLj64ELj16ELj256ELb0ELb0ELb0EEEvllPKT_S7_PKT0_SA_PS5_SB_,comdat
.Lfunc_end82:
	.size	_ZN2at6native12_GLOBAL__N_135GammaBetaBackwardCUDAKernelTemplateIN3c104HalfEfLj64ELj16ELj256ELb0ELb0ELb0EEEvllPKT_S7_PKT0_SA_PS5_SB_, .Lfunc_end82-_ZN2at6native12_GLOBAL__N_135GammaBetaBackwardCUDAKernelTemplateIN3c104HalfEfLj64ELj16ELj256ELb0ELb0ELb0EEEvllPKT_S7_PKT0_SA_PS5_SB_
                                        ; -- End function
	.set _ZN2at6native12_GLOBAL__N_135GammaBetaBackwardCUDAKernelTemplateIN3c104HalfEfLj64ELj16ELj256ELb0ELb0ELb0EEEvllPKT_S7_PKT0_SA_PS5_SB_.num_vgpr, 128
	.set _ZN2at6native12_GLOBAL__N_135GammaBetaBackwardCUDAKernelTemplateIN3c104HalfEfLj64ELj16ELj256ELb0ELb0ELb0EEEvllPKT_S7_PKT0_SA_PS5_SB_.num_agpr, 0
	.set _ZN2at6native12_GLOBAL__N_135GammaBetaBackwardCUDAKernelTemplateIN3c104HalfEfLj64ELj16ELj256ELb0ELb0ELb0EEEvllPKT_S7_PKT0_SA_PS5_SB_.numbered_sgpr, 68
	.set _ZN2at6native12_GLOBAL__N_135GammaBetaBackwardCUDAKernelTemplateIN3c104HalfEfLj64ELj16ELj256ELb0ELb0ELb0EEEvllPKT_S7_PKT0_SA_PS5_SB_.num_named_barrier, 0
	.set _ZN2at6native12_GLOBAL__N_135GammaBetaBackwardCUDAKernelTemplateIN3c104HalfEfLj64ELj16ELj256ELb0ELb0ELb0EEEvllPKT_S7_PKT0_SA_PS5_SB_.private_seg_size, 200
	.set _ZN2at6native12_GLOBAL__N_135GammaBetaBackwardCUDAKernelTemplateIN3c104HalfEfLj64ELj16ELj256ELb0ELb0ELb0EEEvllPKT_S7_PKT0_SA_PS5_SB_.uses_vcc, 1
	.set _ZN2at6native12_GLOBAL__N_135GammaBetaBackwardCUDAKernelTemplateIN3c104HalfEfLj64ELj16ELj256ELb0ELb0ELb0EEEvllPKT_S7_PKT0_SA_PS5_SB_.uses_flat_scratch, 1
	.set _ZN2at6native12_GLOBAL__N_135GammaBetaBackwardCUDAKernelTemplateIN3c104HalfEfLj64ELj16ELj256ELb0ELb0ELb0EEEvllPKT_S7_PKT0_SA_PS5_SB_.has_dyn_sized_stack, 0
	.set _ZN2at6native12_GLOBAL__N_135GammaBetaBackwardCUDAKernelTemplateIN3c104HalfEfLj64ELj16ELj256ELb0ELb0ELb0EEEvllPKT_S7_PKT0_SA_PS5_SB_.has_recursion, 0
	.set _ZN2at6native12_GLOBAL__N_135GammaBetaBackwardCUDAKernelTemplateIN3c104HalfEfLj64ELj16ELj256ELb0ELb0ELb0EEEvllPKT_S7_PKT0_SA_PS5_SB_.has_indirect_call, 0
	.section	.AMDGPU.csdata,"",@progbits
; Kernel info:
; codeLenInByte = 14240
; TotalNumSgprs: 70
; NumVgprs: 128
; ScratchSize: 200
; MemoryBound: 0
; FloatMode: 240
; IeeeMode: 1
; LDSByteSize: 0 bytes/workgroup (compile time only)
; SGPRBlocks: 0
; VGPRBlocks: 7
; NumSGPRsForWavesPerEU: 70
; NumVGPRsForWavesPerEU: 128
; NamedBarCnt: 0
; Occupancy: 8
; WaveLimiterHint : 0
; COMPUTE_PGM_RSRC2:SCRATCH_EN: 1
; COMPUTE_PGM_RSRC2:USER_SGPR: 2
; COMPUTE_PGM_RSRC2:TRAP_HANDLER: 0
; COMPUTE_PGM_RSRC2:TGID_X_EN: 1
; COMPUTE_PGM_RSRC2:TGID_Y_EN: 1
; COMPUTE_PGM_RSRC2:TGID_Z_EN: 0
; COMPUTE_PGM_RSRC2:TIDIG_COMP_CNT: 1
	.section	.text._ZN2at6native12_GLOBAL__N_135GammaBetaBackwardCUDAKernelTemplateIN3c104HalfEfLj32ELj1ELj32ELb1ELb1ELb0EEEvllPKT_S7_PKT0_SA_PS5_SB_,"axG",@progbits,_ZN2at6native12_GLOBAL__N_135GammaBetaBackwardCUDAKernelTemplateIN3c104HalfEfLj32ELj1ELj32ELb1ELb1ELb0EEEvllPKT_S7_PKT0_SA_PS5_SB_,comdat
	.globl	_ZN2at6native12_GLOBAL__N_135GammaBetaBackwardCUDAKernelTemplateIN3c104HalfEfLj32ELj1ELj32ELb1ELb1ELb0EEEvllPKT_S7_PKT0_SA_PS5_SB_ ; -- Begin function _ZN2at6native12_GLOBAL__N_135GammaBetaBackwardCUDAKernelTemplateIN3c104HalfEfLj32ELj1ELj32ELb1ELb1ELb0EEEvllPKT_S7_PKT0_SA_PS5_SB_
	.p2align	8
	.type	_ZN2at6native12_GLOBAL__N_135GammaBetaBackwardCUDAKernelTemplateIN3c104HalfEfLj32ELj1ELj32ELb1ELb1ELb0EEEvllPKT_S7_PKT0_SA_PS5_SB_,@function
_ZN2at6native12_GLOBAL__N_135GammaBetaBackwardCUDAKernelTemplateIN3c104HalfEfLj32ELj1ELj32ELb1ELb1ELb0EEEvllPKT_S7_PKT0_SA_PS5_SB_: ; @_ZN2at6native12_GLOBAL__N_135GammaBetaBackwardCUDAKernelTemplateIN3c104HalfEfLj32ELj1ELj32ELb1ELb1ELb0EEEvllPKT_S7_PKT0_SA_PS5_SB_
; %bb.0:
	s_load_b128 s[12:15], s[0:1], 0x0
	s_bfe_u32 s3, ttmp6, 0x4000c
	s_bfe_u32 s4, ttmp6, 0x40010
	s_add_co_i32 s3, s3, 1
	s_add_co_i32 s4, s4, 1
	s_and_b32 s2, ttmp6, 15
	s_bfe_u32 s5, ttmp6, 0x40004
	s_mul_i32 s3, ttmp9, s3
	s_mul_i32 s4, ttmp7, s4
	s_getreg_b32 s6, hwreg(HW_REG_IB_STS2, 6, 4)
	s_add_co_i32 s2, s2, s3
	s_add_co_i32 s5, s5, s4
	s_cmp_eq_u32 s6, 0
	s_mov_b32 s3, 0
	s_cselect_b32 s17, ttmp7, s5
	s_cselect_b32 s16, ttmp9, s2
	s_lshl_b32 s2, s17, 5
	v_bfe_u32 v1, v0, 10, 10
	s_add_nc_u64 s[18:19], s[0:1], 64
	s_wait_kmcnt 0x0
	v_cmp_gt_i64_e64 s4, s[12:13], s[2:3]
	s_and_b32 vcc_lo, exec_lo, s4
	s_cbranch_vccnz .LBB83_2
; %bb.1:
	v_bfe_u32 v2, v0, 10, 10
	s_add_nc_u64 s[4:5], s[0:1], 64
	s_mov_b32 s6, s3
	s_branch .LBB83_3
.LBB83_2:
	s_mov_b32 s6, -1
                                        ; implicit-def: $sgpr4_sgpr5
                                        ; implicit-def: $vgpr2
.LBB83_3:
	v_and_b32_e32 v0, 0x3ff, v0
	v_mov_b32_e32 v4, 0
	s_and_not1_b32 vcc_lo, exec_lo, s6
	s_mov_b32 s21, 0
	s_cbranch_vccnz .LBB83_9
; %bb.4:
	v_dual_mov_b32 v3, 0 :: v_dual_lshlrev_b32 v2, 5, v1
	s_clause 0x2
	s_load_b32 s20, s[0:1], 0x4c
	s_load_b32 s22, s[0:1], 0x44
	s_load_b256 s[4:11], s[0:1], 0x10
	v_lshl_add_u32 v4, s16, 5, v0
	v_dual_mov_b32 v25, 60 :: v_dual_mov_b32 v11, v3
	v_add_nc_u64_e32 v[6:7], s[2:3], v[2:3]
	v_dual_mov_b32 v12, 4 :: v_dual_mov_b32 v13, 8
	v_dual_mov_b32 v2, 12 :: v_dual_mov_b32 v14, 16
	;; [unrolled: 1-line block ×3, first 2 shown]
	s_delay_alu instid0(VALU_DEP_4)
	v_mul_u64_e32 v[8:9], s[14:15], v[6:7]
	v_dual_mov_b32 v17, 28 :: v_dual_mov_b32 v18, 32
	v_dual_mov_b32 v19, 36 :: v_dual_mov_b32 v20, 40
	;; [unrolled: 1-line block ×3, first 2 shown]
	s_wait_kmcnt 0x0
	s_and_b32 s20, s20, 0xffff
	v_dual_mov_b32 v23, 52 :: v_dual_mov_b32 v24, 56
	v_mad_u32_u24 v10, v1, s20, v0
	v_mov_b32_e32 v5, v3
	s_lshl_b32 s20, s22, 5
	v_dual_mov_b32 v26, 64 :: v_dual_mov_b32 v27, 0x44
	s_delay_alu instid0(VALU_DEP_3) | instskip(NEXT) | instid1(VALU_DEP_3)
	v_and_b32_e32 v10, 31, v10
	v_lshlrev_b64_e32 v[42:43], 1, v[4:5]
	v_mov_b32_e32 v28, 0x48
	v_mov_b32_e32 v29, 0x4c
	;; [unrolled: 1-line block ×3, first 2 shown]
	v_add_nc_u64_e32 v[4:5], v[6:7], v[10:11]
	v_mov_b32_e32 v31, 0x54
	v_mov_b32_e32 v32, 0x58
	;; [unrolled: 1-line block ×11, first 2 shown]
	v_lshl_add_u64 v[6:7], v[8:9], 1, v[42:43]
	v_lshlrev_b64_e32 v[8:9], 2, v[4:5]
	v_mov_b32_e32 v10, 0
	s_mul_u64 s[22:23], s[14:15], s[20:21]
	s_lshl_b64 s[24:25], s[20:21], 2
	s_lshl_b64 s[22:23], s[22:23], 1
	;; [unrolled: 1-line block ×3, first 2 shown]
	s_branch .LBB83_6
.LBB83_5:                               ;   in Loop: Header=BB83_6 Depth=1
	s_wait_xcnt 0x0
	s_or_b32 exec_lo, exec_lo, s28
	v_add_nc_u64_e32 v[44:45], s[6:7], v[6:7]
	v_add_nc_u64_e32 v[46:47], s[4:5], v[6:7]
	s_wait_loadcnt 0x1
	ds_bpermute_b32 v58, v3, v43
	s_wait_loadcnt 0x0
	ds_bpermute_b32 v59, v3, v42
	s_add_nc_u64 s[2:3], s[2:3], s[20:21]
	v_add_nc_u64_e32 v[6:7], s[22:23], v[6:7]
	v_cmp_lt_i64_e64 s28, s[2:3], s[12:13]
	global_load_u16 v48, v[44:45], off
	global_load_u16 v49, v[46:47], off
	s_wait_xcnt 0x1
	v_add_nc_u64_e32 v[44:45], s[26:27], v[44:45]
	s_wait_xcnt 0x0
	v_add_nc_u64_e32 v[46:47], s[26:27], v[46:47]
	v_add_nc_u64_e32 v[8:9], s[24:25], v[8:9]
	;; [unrolled: 1-line block ×3, first 2 shown]
	global_load_u16 v50, v[44:45], off
	global_load_u16 v51, v[46:47], off
	s_wait_xcnt 0x1
	v_add_nc_u64_e32 v[44:45], s[26:27], v[44:45]
	s_wait_xcnt 0x0
	v_add_nc_u64_e32 v[46:47], s[26:27], v[46:47]
	s_and_b32 vcc_lo, exec_lo, s28
	global_load_u16 v52, v[44:45], off
	global_load_u16 v53, v[46:47], off
	s_wait_xcnt 0x1
	v_add_nc_u64_e32 v[44:45], s[26:27], v[44:45]
	s_wait_xcnt 0x0
	v_add_nc_u64_e32 v[46:47], s[26:27], v[46:47]
	global_load_u16 v54, v[44:45], off
	global_load_u16 v55, v[46:47], off
	s_wait_xcnt 0x1
	v_add_nc_u64_e32 v[44:45], s[26:27], v[44:45]
	s_wait_xcnt 0x0
	v_add_nc_u64_e32 v[46:47], s[26:27], v[46:47]
	;; [unrolled: 6-line block ×3, first 2 shown]
	global_load_u16 v61, v[46:47], off
	s_wait_xcnt 0x0
	v_add_nc_u64_e32 v[46:47], s[26:27], v[46:47]
	s_wait_loadcnt 0xa
	v_cvt_f32_f16_e32 v60, v48
	s_wait_loadcnt 0x9
	v_cvt_f32_f16_e32 v48, v49
	s_wait_dscnt 0x1
	s_delay_alu instid0(VALU_DEP_2)
	v_sub_f32_e32 v49, v60, v58
	ds_bpermute_b32 v58, v12, v43
	global_load_u16 v60, v[44:45], off
	s_wait_xcnt 0x0
	v_add_nc_u64_e32 v[44:45], s[26:27], v[44:45]
	s_wait_loadcnt 0x5
	v_cvt_f32_f16_e32 v54, v54
	v_mul_f32_e32 v49, v49, v48
	s_wait_loadcnt 0x3
	v_cvt_f32_f16_e32 v56, v56
	s_wait_dscnt 0x1
	s_delay_alu instid0(VALU_DEP_2)
	v_mul_f32_e32 v49, v49, v59
	ds_bpermute_b32 v59, v12, v42
	v_pk_add_f32 v[10:11], v[10:11], v[48:49]
	v_cvt_f32_f16_e32 v49, v50
	v_cvt_f32_f16_e32 v48, v51
	ds_bpermute_b32 v50, v13, v43
	global_load_u16 v51, v[44:45], off
	s_wait_xcnt 0x0
	v_add_nc_u64_e32 v[44:45], s[26:27], v[44:45]
	s_wait_dscnt 0x2
	v_sub_f32_e32 v49, v49, v58
	ds_bpermute_b32 v58, v13, v42
	v_mul_f32_e32 v49, v49, v48
	s_wait_dscnt 0x2
	s_delay_alu instid0(VALU_DEP_1)
	v_mul_f32_e32 v49, v49, v59
	global_load_u16 v59, v[46:47], off
	s_wait_xcnt 0x0
	v_add_nc_u64_e32 v[46:47], s[26:27], v[46:47]
	v_pk_add_f32 v[10:11], v[10:11], v[48:49]
	v_cvt_f32_f16_e32 v49, v52
	v_cvt_f32_f16_e32 v48, v53
	global_load_u16 v52, v[44:45], off
	global_load_u16 v53, v[46:47], off
	s_wait_xcnt 0x1
	v_add_nc_u64_e32 v[44:45], s[26:27], v[44:45]
	s_wait_xcnt 0x0
	v_add_nc_u64_e32 v[46:47], s[26:27], v[46:47]
	s_wait_dscnt 0x1
	v_sub_f32_e32 v49, v49, v50
	ds_bpermute_b32 v50, v2, v43
	v_mul_f32_e32 v49, v49, v48
	s_wait_dscnt 0x1
	s_delay_alu instid0(VALU_DEP_1) | instskip(NEXT) | instid1(VALU_DEP_1)
	v_mul_f32_e32 v49, v49, v58
	v_pk_add_f32 v[10:11], v[10:11], v[48:49]
	ds_bpermute_b32 v49, v2, v42
	v_cvt_f32_f16_e32 v48, v55
	global_load_u16 v55, v[46:47], off
	s_wait_xcnt 0x0
	v_add_nc_u64_e32 v[46:47], s[26:27], v[46:47]
	s_wait_dscnt 0x1
	v_sub_f32_e32 v50, v54, v50
	global_load_u16 v54, v[44:45], off
	s_wait_xcnt 0x0
	v_add_nc_u64_e32 v[44:45], s[26:27], v[44:45]
	v_mul_f32_e32 v50, v50, v48
	s_wait_dscnt 0x0
	s_delay_alu instid0(VALU_DEP_1)
	v_mul_f32_e32 v49, v50, v49
	ds_bpermute_b32 v50, v14, v43
	v_pk_add_f32 v[10:11], v[10:11], v[48:49]
	ds_bpermute_b32 v49, v14, v42
	s_wait_loadcnt 0x8
	v_cvt_f32_f16_e32 v48, v57
	ds_bpermute_b32 v57, v15, v43
	s_wait_dscnt 0x2
	v_sub_f32_e32 v50, v56, v50
	global_load_u16 v56, v[44:45], off
	s_wait_xcnt 0x0
	v_add_nc_u64_e32 v[44:45], s[26:27], v[44:45]
	v_mul_f32_e32 v50, v50, v48
	s_wait_dscnt 0x1
	s_delay_alu instid0(VALU_DEP_1)
	v_mul_f32_e32 v49, v50, v49
	global_load_u16 v50, v[46:47], off
	s_wait_xcnt 0x0
	v_add_nc_u64_e32 v[46:47], s[26:27], v[46:47]
	v_pk_add_f32 v[10:11], v[10:11], v[48:49]
	ds_bpermute_b32 v49, v15, v42
	s_wait_loadcnt 0x9
	v_cvt_f32_f16_e32 v48, v61
	global_load_u16 v61, v[46:47], off
	s_wait_xcnt 0x0
	v_add_nc_u64_e32 v[46:47], s[26:27], v[46:47]
	s_wait_loadcnt 0x9
	v_cvt_f32_f16_e32 v58, v60
	global_load_u16 v60, v[44:45], off
	s_wait_xcnt 0x0
	v_add_nc_u64_e32 v[44:45], s[26:27], v[44:45]
	s_wait_dscnt 0x1
	v_sub_f32_e32 v57, v58, v57
	ds_bpermute_b32 v58, v16, v43
	v_mul_f32_e32 v57, v57, v48
	s_wait_dscnt 0x1
	s_delay_alu instid0(VALU_DEP_1)
	v_mul_f32_e32 v49, v57, v49
	ds_bpermute_b32 v57, v16, v42
	v_pk_add_f32 v[10:11], v[10:11], v[48:49]
	s_wait_loadcnt 0x9
	v_cvt_f32_f16_e32 v49, v51
	ds_bpermute_b32 v51, v17, v43
	s_wait_dscnt 0x2
	v_sub_f32_e32 v49, v49, v58
	ds_bpermute_b32 v58, v17, v42
	s_wait_loadcnt 0x8
	v_cvt_f32_f16_e32 v48, v59
	global_load_u16 v59, v[46:47], off
	s_wait_xcnt 0x0
	v_add_nc_u64_e32 v[46:47], s[26:27], v[46:47]
	v_mul_f32_e32 v49, v49, v48
	s_wait_dscnt 0x2
	s_delay_alu instid0(VALU_DEP_1)
	v_mul_f32_e32 v49, v49, v57
	global_load_u16 v57, v[44:45], off
	s_wait_xcnt 0x0
	v_add_nc_u64_e32 v[44:45], s[26:27], v[44:45]
	v_pk_add_f32 v[10:11], v[10:11], v[48:49]
	s_wait_loadcnt 0x9
	v_cvt_f32_f16_e32 v49, v52
	s_wait_loadcnt 0x8
	v_cvt_f32_f16_e32 v48, v53
	ds_bpermute_b32 v53, v18, v42
	global_load_u16 v52, v[44:45], off
	s_wait_xcnt 0x0
	v_add_nc_u64_e32 v[44:45], s[26:27], v[44:45]
	s_wait_dscnt 0x2
	v_sub_f32_e32 v49, v49, v51
	ds_bpermute_b32 v51, v18, v43
	v_mul_f32_e32 v49, v49, v48
	s_wait_dscnt 0x2
	s_delay_alu instid0(VALU_DEP_1)
	v_mul_f32_e32 v49, v49, v58
	global_load_u16 v58, v[46:47], off
	s_wait_xcnt 0x0
	v_add_nc_u64_e32 v[46:47], s[26:27], v[46:47]
	v_pk_add_f32 v[10:11], v[10:11], v[48:49]
	s_wait_loadcnt 0x8
	v_cvt_f32_f16_e32 v49, v54
	v_cvt_f32_f16_e32 v48, v55
	s_wait_dscnt 0x0
	s_delay_alu instid0(VALU_DEP_2) | instskip(SKIP_2) | instid1(VALU_DEP_1)
	v_sub_f32_e32 v49, v49, v51
	ds_bpermute_b32 v51, v19, v43
	v_mul_f32_e32 v49, v49, v48
	v_mul_f32_e32 v49, v49, v53
	global_load_u16 v53, v[44:45], off
	global_load_u16 v54, v[46:47], off
	s_wait_xcnt 0x1
	v_add_nc_u64_e32 v[44:45], s[26:27], v[44:45]
	s_wait_xcnt 0x0
	v_add_nc_u64_e32 v[46:47], s[26:27], v[46:47]
	v_pk_add_f32 v[10:11], v[10:11], v[48:49]
	ds_bpermute_b32 v49, v19, v42
	s_wait_loadcnt 0x9
	v_cvt_f32_f16_e32 v55, v56
	s_wait_loadcnt 0x8
	v_cvt_f32_f16_e32 v48, v50
	s_wait_dscnt 0x1
	s_delay_alu instid0(VALU_DEP_2)
	v_sub_f32_e32 v50, v55, v51
	global_load_u16 v51, v[44:45], off
	ds_bpermute_b32 v55, v20, v43
	s_wait_xcnt 0x0
	v_add_nc_u64_e32 v[44:45], s[26:27], v[44:45]
	v_mul_f32_e32 v50, v50, v48
	s_wait_dscnt 0x1
	s_delay_alu instid0(VALU_DEP_1)
	v_mul_f32_e32 v49, v50, v49
	global_load_u16 v50, v[46:47], off
	s_wait_xcnt 0x0
	v_add_nc_u64_e32 v[46:47], s[26:27], v[46:47]
	v_pk_add_f32 v[10:11], v[10:11], v[48:49]
	ds_bpermute_b32 v49, v20, v42
	s_wait_loadcnt 0x9
	v_cvt_f32_f16_e32 v48, v61
	global_load_u16 v61, v[46:47], off
	s_wait_xcnt 0x0
	v_add_nc_u64_e32 v[46:47], s[26:27], v[46:47]
	s_wait_loadcnt 0x9
	v_cvt_f32_f16_e32 v56, v60
	global_load_u16 v60, v[44:45], off
	s_wait_xcnt 0x0
	v_add_nc_u64_e32 v[44:45], s[26:27], v[44:45]
	s_wait_dscnt 0x1
	v_sub_f32_e32 v55, v56, v55
	ds_bpermute_b32 v56, v21, v43
	v_mul_f32_e32 v55, v55, v48
	s_wait_dscnt 0x1
	s_delay_alu instid0(VALU_DEP_1)
	v_mul_f32_e32 v49, v55, v49
	ds_bpermute_b32 v55, v21, v42
	v_pk_add_f32 v[10:11], v[10:11], v[48:49]
	s_wait_loadcnt 0x9
	v_cvt_f32_f16_e32 v48, v59
	global_load_u16 v59, v[46:47], off
	s_wait_xcnt 0x0
	v_add_nc_u64_e32 v[46:47], s[26:27], v[46:47]
	s_wait_loadcnt 0x9
	v_cvt_f32_f16_e32 v57, v57
	s_wait_dscnt 0x1
	s_delay_alu instid0(VALU_DEP_1)
	v_sub_f32_e32 v49, v57, v56
	ds_bpermute_b32 v56, v22, v43
	global_load_u16 v57, v[44:45], off
	s_wait_xcnt 0x0
	v_add_nc_u64_e32 v[44:45], s[26:27], v[44:45]
	v_mul_f32_e32 v49, v49, v48
	s_wait_dscnt 0x1
	s_delay_alu instid0(VALU_DEP_1)
	v_mul_f32_e32 v49, v49, v55
	ds_bpermute_b32 v55, v22, v42
	v_pk_add_f32 v[10:11], v[10:11], v[48:49]
	s_wait_loadcnt 0x9
	v_cvt_f32_f16_e32 v49, v52
	s_wait_loadcnt 0x8
	v_cvt_f32_f16_e32 v48, v58
	ds_bpermute_b32 v52, v23, v43
	global_load_u16 v58, v[46:47], off
	s_wait_xcnt 0x0
	v_add_nc_u64_e32 v[46:47], s[26:27], v[46:47]
	s_wait_dscnt 0x2
	v_sub_f32_e32 v49, v49, v56
	global_load_u16 v56, v[44:45], off
	s_wait_xcnt 0x0
	v_add_nc_u64_e32 v[44:45], s[26:27], v[44:45]
	v_mul_f32_e32 v49, v49, v48
	s_wait_dscnt 0x1
	s_delay_alu instid0(VALU_DEP_1)
	v_mul_f32_e32 v49, v49, v55
	ds_bpermute_b32 v55, v23, v42
	v_pk_add_f32 v[10:11], v[10:11], v[48:49]
	s_wait_loadcnt 0x9
	v_cvt_f32_f16_e32 v49, v53
	s_wait_loadcnt 0x8
	v_cvt_f32_f16_e32 v48, v54
	global_load_u16 v53, v[44:45], off
	global_load_u16 v54, v[46:47], off
	s_wait_xcnt 0x1
	v_add_nc_u64_e32 v[44:45], s[26:27], v[44:45]
	s_wait_xcnt 0x0
	v_add_nc_u64_e32 v[46:47], s[26:27], v[46:47]
	s_wait_dscnt 0x1
	v_sub_f32_e32 v49, v49, v52
	ds_bpermute_b32 v52, v24, v43
	v_mul_f32_e32 v49, v49, v48
	s_wait_dscnt 0x1
	s_delay_alu instid0(VALU_DEP_1)
	v_mul_f32_e32 v49, v49, v55
	global_load_u16 v55, v[46:47], off
	s_wait_xcnt 0x0
	v_add_nc_u64_e32 v[46:47], s[26:27], v[46:47]
	v_pk_add_f32 v[10:11], v[10:11], v[48:49]
	ds_bpermute_b32 v49, v24, v42
	s_wait_loadcnt 0xa
	v_cvt_f32_f16_e32 v51, v51
	s_wait_loadcnt 0x9
	v_cvt_f32_f16_e32 v48, v50
	s_wait_dscnt 0x1
	s_delay_alu instid0(VALU_DEP_2)
	v_sub_f32_e32 v50, v51, v52
	global_load_u16 v52, v[44:45], off
	s_wait_xcnt 0x0
	v_add_nc_u64_e32 v[44:45], s[26:27], v[44:45]
	v_mul_f32_e32 v50, v50, v48
	s_wait_dscnt 0x0
	s_delay_alu instid0(VALU_DEP_1)
	v_mul_f32_e32 v49, v50, v49
	ds_bpermute_b32 v50, v25, v43
	v_pk_add_f32 v[10:11], v[10:11], v[48:49]
	ds_bpermute_b32 v49, v25, v42
	s_wait_loadcnt 0x9
	v_cvt_f32_f16_e32 v48, v61
	s_wait_loadcnt 0x8
	v_cvt_f32_f16_e32 v51, v60
	ds_bpermute_b32 v60, v26, v42
	s_wait_dscnt 0x2
	v_sub_f32_e32 v50, v51, v50
	ds_bpermute_b32 v51, v26, v43
	v_mul_f32_e32 v50, v50, v48
	s_wait_dscnt 0x2
	s_delay_alu instid0(VALU_DEP_1) | instskip(NEXT) | instid1(VALU_DEP_1)
	v_mul_f32_e32 v49, v50, v49
	v_pk_add_f32 v[10:11], v[10:11], v[48:49]
	ds_bpermute_b32 v49, v27, v42
	s_wait_loadcnt 0x7
	v_cvt_f32_f16_e32 v50, v59
	global_load_u16 v59, v[44:45], off
	s_wait_xcnt 0x0
	v_add_nc_u64_e32 v[44:45], s[26:27], v[44:45]
	s_wait_loadcnt 0x7
	v_cvt_f32_f16_e32 v57, v57
	s_wait_dscnt 0x1
	s_delay_alu instid0(VALU_DEP_1) | instskip(SKIP_2) | instid1(VALU_DEP_1)
	v_sub_f32_e32 v51, v57, v51
	ds_bpermute_b32 v57, v27, v43
	v_mul_f32_e32 v48, v51, v50
	v_mul_f32_e32 v51, v48, v60
	global_load_u16 v60, v[46:47], off
	s_wait_xcnt 0x0
	v_add_nc_u64_e32 v[46:47], s[26:27], v[46:47]
	s_wait_loadcnt 0x7
	v_cvt_f32_f16_e32 v48, v58
	global_load_u16 v58, v[44:45], off
	s_wait_loadcnt 0x7
	v_cvt_f32_f16_e32 v56, v56
	v_pk_add_f32 v[10:11], v[10:11], v[50:51]
	ds_bpermute_b32 v51, v28, v42
	s_wait_xcnt 0x0
	v_add_nc_u64_e32 v[44:45], s[26:27], v[44:45]
	s_wait_dscnt 0x1
	v_sub_f32_e32 v56, v56, v57
	ds_bpermute_b32 v57, v28, v43
	v_mul_f32_e32 v50, v56, v48
	global_load_u16 v56, v[46:47], off
	s_wait_xcnt 0x0
	v_add_nc_u64_e32 v[46:47], s[26:27], v[46:47]
	s_wait_loadcnt 0x7
	v_cvt_f32_f16_e32 v53, v53
	v_mul_f32_e32 v49, v50, v49
	s_wait_loadcnt 0x6
	v_cvt_f32_f16_e32 v50, v54
	ds_bpermute_b32 v54, v29, v43
	v_pk_add_f32 v[10:11], v[10:11], v[48:49]
	ds_bpermute_b32 v49, v29, v42
	s_wait_dscnt 0x2
	v_sub_f32_e32 v53, v53, v57
	global_load_u16 v57, v[44:45], off
	s_wait_xcnt 0x0
	v_add_nc_u64_e32 v[44:45], s[26:27], v[44:45]
	v_mul_f32_e32 v48, v53, v50
	global_load_u16 v53, v[46:47], off
	s_wait_xcnt 0x0
	v_add_nc_u64_e32 v[46:47], s[26:27], v[46:47]
	global_load_u16 v61, v[44:45], off
	s_wait_xcnt 0x0
	v_add_nc_u64_e32 v[44:45], s[26:27], v[44:45]
	v_mul_f32_e32 v51, v48, v51
	s_wait_loadcnt 0x8
	v_cvt_f32_f16_e32 v48, v55
	ds_bpermute_b32 v55, v31, v42
	global_load_u16 v62, v[46:47], off
	s_wait_xcnt 0x0
	v_add_nc_u64_e32 v[46:47], s[26:27], v[46:47]
	v_pk_add_f32 v[10:11], v[10:11], v[50:51]
	ds_bpermute_b32 v51, v31, v43
	s_wait_loadcnt 0x8
	v_cvt_f32_f16_e32 v50, v52
	global_load_u16 v52, v[44:45], off
	s_wait_xcnt 0x0
	v_add_nc_u64_e32 v[44:45], s[26:27], v[44:45]
	s_wait_dscnt 0x3
	v_sub_f32_e32 v50, v50, v54
	global_load_u16 v54, v[46:47], off
	s_wait_xcnt 0x0
	v_add_nc_u64_e32 v[46:47], s[26:27], v[46:47]
	v_mul_f32_e32 v50, v50, v48
	s_wait_dscnt 0x2
	s_delay_alu instid0(VALU_DEP_1)
	v_mul_f32_e32 v49, v50, v49
	ds_bpermute_b32 v50, v30, v43
	v_pk_add_f32 v[10:11], v[10:11], v[48:49]
	ds_bpermute_b32 v49, v30, v42
	s_wait_loadcnt 0x9
	v_cvt_f32_f16_e32 v48, v59
	ds_bpermute_b32 v59, v33, v42
	s_wait_dscnt 0x2
	v_sub_f32_e32 v50, v48, v50
	s_wait_loadcnt 0x8
	v_cvt_f32_f16_e32 v48, v60
	global_load_u16 v60, v[46:47], off
	s_wait_xcnt 0x0
	v_add_nc_u64_e32 v[46:47], s[26:27], v[46:47]
	v_mul_f32_e32 v50, v50, v48
	s_wait_dscnt 0x1
	s_delay_alu instid0(VALU_DEP_1)
	v_mul_f32_e32 v49, v50, v49
	s_wait_loadcnt 0x8
	v_cvt_f32_f16_e32 v50, v58
	ds_bpermute_b32 v58, v32, v43
	v_pk_add_f32 v[10:11], v[10:11], v[48:49]
	v_sub_f32_e32 v51, v50, v51
	s_wait_loadcnt 0x7
	v_cvt_f32_f16_e32 v50, v56
	ds_bpermute_b32 v49, v33, v43
	ds_bpermute_b32 v56, v32, v42
	v_mul_f32_e32 v51, v51, v50
	s_delay_alu instid0(VALU_DEP_1)
	v_mul_f32_e32 v51, v51, v55
	global_load_u16 v55, v[44:45], off
	s_wait_xcnt 0x0
	v_add_nc_u64_e32 v[44:45], s[26:27], v[44:45]
	s_wait_loadcnt 0x7
	v_cvt_f32_f16_e32 v57, v57
	v_pk_add_f32 v[10:11], v[10:11], v[50:51]
	s_wait_loadcnt 0x6
	v_cvt_f32_f16_e32 v48, v53
	ds_bpermute_b32 v53, v34, v43
	s_wait_dscnt 0x3
	v_sub_f32_e32 v50, v57, v58
	s_wait_loadcnt 0x5
	v_cvt_f32_f16_e32 v51, v61
	global_load_u16 v58, v[46:47], off
	s_wait_dscnt 0x2
	v_dual_mul_f32 v57, v50, v48 :: v_dual_sub_f32 v51, v51, v49
	s_wait_loadcnt 0x5
	v_cvt_f32_f16_e32 v50, v62
	s_wait_dscnt 0x1
	s_delay_alu instid0(VALU_DEP_2)
	v_mul_f32_e32 v49, v57, v56
	global_load_u16 v57, v[44:45], off
	s_wait_xcnt 0x0
	v_add_nc_u64_e32 v[44:45], s[26:27], v[44:45]
	ds_bpermute_b32 v56, v34, v42
	v_mul_f32_e32 v51, v51, v50
	v_pk_add_f32 v[10:11], v[10:11], v[48:49]
	v_add_nc_u64_e32 v[48:49], s[26:27], v[46:47]
	v_add_nc_u64_e32 v[46:47], s[26:27], v[44:45]
	s_wait_loadcnt 0x5
	v_cvt_f32_f16_e32 v52, v52
	v_mul_f32_e32 v51, v51, v59
	global_load_u16 v59, v[48:49], off
	s_wait_dscnt 0x1
	v_sub_f32_e32 v53, v52, v53
	s_wait_loadcnt 0x5
	v_cvt_f32_f16_e32 v52, v54
	global_load_u16 v54, v[44:45], off
	global_load_u16 v61, v[46:47], off
	s_wait_xcnt 0x0
	v_add_nc_u64_e32 v[46:47], s[26:27], v[46:47]
	v_add_nc_u64_e32 v[44:45], s[26:27], v[48:49]
	v_pk_add_f32 v[10:11], v[10:11], v[50:51]
	v_mul_f32_e32 v53, v53, v52
	s_delay_alu instid0(VALU_DEP_4) | instskip(NEXT) | instid1(VALU_DEP_4)
	v_add_nc_u64_e32 v[50:51], s[26:27], v[46:47]
	v_add_nc_u64_e32 v[48:49], s[26:27], v[44:45]
	s_wait_dscnt 0x0
	s_delay_alu instid0(VALU_DEP_3)
	v_mul_f32_e32 v53, v53, v56
	global_load_u16 v56, v[44:45], off
	global_load_u16 v62, v[48:49], off
	;; [unrolled: 1-line block ×3, first 2 shown]
                                        ; kill: killed $vgpr46_vgpr47
                                        ; kill: killed $vgpr44_vgpr45
	global_load_u16 v64, v[50:51], off
	s_wait_xcnt 0x3
	v_add_nc_u64_e32 v[44:45], s[26:27], v[50:51]
	s_wait_xcnt 0x1
	v_add_nc_u64_e32 v[46:47], s[26:27], v[48:49]
	global_load_u16 v48, v[44:45], off
	global_load_u16 v49, v[46:47], off
	s_wait_xcnt 0x1
	v_add_nc_u64_e32 v[44:45], s[26:27], v[46:47]
	v_pk_add_f32 v[10:11], v[10:11], v[52:53]
	ds_bpermute_b32 v52, v37, v43
	s_wait_xcnt 0x0
	ds_bpermute_b32 v47, v36, v43
	ds_bpermute_b32 v51, v36, v42
	;; [unrolled: 1-line block ×3, first 2 shown]
	global_load_u16 v50, v[44:45], off
	s_wait_xcnt 0x0
	ds_bpermute_b32 v44, v35, v43
	ds_bpermute_b32 v45, v35, v42
	s_wait_loadcnt 0xc
	v_cvt_f32_f16_e32 v46, v55
	ds_bpermute_b32 v55, v38, v42
	s_wait_dscnt 0x2
	v_sub_f32_e32 v46, v46, v44
	v_cvt_f32_f16_e32 v44, v60
	s_wait_loadcnt 0x8
	v_cvt_f32_f16_e32 v54, v54
	s_delay_alu instid0(VALU_DEP_1) | instskip(NEXT) | instid1(VALU_DEP_3)
	v_sub_f32_e32 v52, v54, v52
	v_mul_f32_e32 v46, v46, v44
	ds_bpermute_b32 v54, v40, v43
	s_wait_dscnt 0x2
	v_mul_f32_e32 v45, v46, v45
	v_cvt_f32_f16_e32 v46, v57
	ds_bpermute_b32 v57, v39, v42
	v_sub_f32_e32 v47, v46, v47
	v_cvt_f32_f16_e32 v46, v58
	v_pk_add_f32 v[10:11], v[10:11], v[44:45]
	ds_bpermute_b32 v45, v38, v43
	ds_bpermute_b32 v58, v41, v42
	v_mul_f32_e32 v44, v47, v46
	s_wait_loadcnt 0x2
	v_cvt_f32_f16_e32 v48, v48
	s_delay_alu instid0(VALU_DEP_2) | instskip(SKIP_4) | instid1(VALU_DEP_3)
	v_mul_f32_e32 v47, v44, v51
	ds_bpermute_b32 v51, v39, v43
	v_cvt_f32_f16_e32 v44, v59
	v_pk_add_f32 v[10:11], v[10:11], v[46:47]
	v_cvt_f32_f16_e32 v46, v61
	v_mul_f32_e32 v47, v52, v44
	ds_bpermute_b32 v52, v41, v43
	s_wait_dscnt 0x3
	v_sub_f32_e32 v43, v46, v45
	v_cvt_f32_f16_e32 v46, v56
	v_cvt_f32_f16_e32 v56, v63
	v_mul_f32_e32 v45, v47, v53
	ds_bpermute_b32 v53, v40, v42
	v_cvt_f32_f16_e32 v42, v62
	v_pk_add_f32 v[10:11], v[10:11], v[44:45]
	s_wait_dscnt 0x2
	v_sub_f32_e32 v51, v56, v51
	v_cvt_f32_f16_e32 v56, v64
	s_wait_loadcnt 0x1
	v_cvt_f32_f16_e32 v44, v49
	s_delay_alu instid0(VALU_DEP_2) | instskip(NEXT) | instid1(VALU_DEP_1)
	v_sub_f32_e32 v45, v56, v54
	v_dual_mul_f32 v43, v43, v46 :: v_dual_mul_f32 v45, v45, v44
	s_delay_alu instid0(VALU_DEP_1) | instskip(SKIP_1) | instid1(VALU_DEP_1)
	v_mul_f32_e32 v47, v43, v55
	v_mul_f32_e32 v43, v51, v42
	;; [unrolled: 1-line block ×3, first 2 shown]
	s_delay_alu instid0(VALU_DEP_3)
	v_pk_add_f32 v[10:11], v[10:11], v[46:47]
	s_wait_loadcnt 0x0
	v_cvt_f32_f16_e32 v46, v50
	s_wait_dscnt 0x0
	v_dual_sub_f32 v47, v48, v52 :: v_dual_mul_f32 v45, v45, v53
	v_pk_add_f32 v[10:11], v[10:11], v[42:43]
	s_delay_alu instid0(VALU_DEP_2) | instskip(NEXT) | instid1(VALU_DEP_2)
	v_mul_f32_e32 v42, v47, v46
	v_pk_add_f32 v[10:11], v[10:11], v[44:45]
	s_delay_alu instid0(VALU_DEP_2) | instskip(NEXT) | instid1(VALU_DEP_1)
	v_mul_f32_e32 v47, v42, v58
	v_pk_add_f32 v[10:11], v[10:11], v[46:47]
	s_cbranch_vccz .LBB83_8
.LBB83_6:                               ; =>This Inner Loop Header: Depth=1
	v_dual_mov_b32 v42, 0 :: v_dual_mov_b32 v43, 0
	s_mov_b32 s28, exec_lo
	v_cmpx_gt_i64_e64 s[12:13], v[4:5]
	s_cbranch_execz .LBB83_5
; %bb.7:                                ;   in Loop: Header=BB83_6 Depth=1
	v_add_nc_u64_e32 v[44:45], s[8:9], v[8:9]
	v_add_nc_u64_e32 v[46:47], s[10:11], v[8:9]
	global_load_b32 v43, v[44:45], off
	global_load_b32 v42, v[46:47], off
	s_branch .LBB83_5
.LBB83_8:
	s_delay_alu instid0(VALU_DEP_1)
	v_cvt_pk_f16_f32 v4, v10, v11
	v_mov_b32_e32 v2, v1
	s_mov_b64 s[4:5], s[18:19]
.LBB83_9:
	s_load_b128 s[0:3], s[0:1], 0x30
	s_nop 0
	s_load_u16 s4, s[4:5], 0xe
	v_mov_b32_e32 v1, 0
	s_delay_alu instid0(VALU_DEP_1) | instskip(SKIP_1) | instid1(VALU_DEP_1)
	v_mov_b32_e32 v3, v1
	s_wait_kmcnt 0x0
	v_mad_nc_u64_u32 v[2:3], s4, s17, v[2:3]
	s_mov_b32 s17, 0
	s_delay_alu instid0(SALU_CYCLE_1) | instskip(SKIP_2) | instid1(VALU_DEP_2)
	s_lshl_b64 s[4:5], s[16:17], 5
	s_cmp_eq_u64 s[0:1], 0
	v_add_nc_u64_e32 v[0:1], s[4:5], v[0:1]
	v_mul_u64_e32 v[2:3], s[14:15], v[2:3]
	s_cbranch_scc1 .LBB83_11
; %bb.10:
	s_delay_alu instid0(VALU_DEP_1) | instskip(NEXT) | instid1(VALU_DEP_1)
	v_lshl_add_u64 v[6:7], v[2:3], 1, s[0:1]
	v_lshl_add_u64 v[6:7], v[0:1], 1, v[6:7]
	global_store_d16_hi_b16 v[6:7], v4, off
.LBB83_11:
	s_cmp_eq_u64 s[2:3], 0
	s_cbranch_scc1 .LBB83_13
; %bb.12:
	s_delay_alu instid0(VALU_DEP_1) | instskip(NEXT) | instid1(VALU_DEP_1)
	v_lshl_add_u64 v[2:3], v[2:3], 1, s[2:3]
	v_lshl_add_u64 v[0:1], v[0:1], 1, v[2:3]
	global_store_b16 v[0:1], v4, off
.LBB83_13:
	s_sendmsg sendmsg(MSG_DEALLOC_VGPRS)
	s_endpgm
	.section	.rodata,"a",@progbits
	.p2align	6, 0x0
	.amdhsa_kernel _ZN2at6native12_GLOBAL__N_135GammaBetaBackwardCUDAKernelTemplateIN3c104HalfEfLj32ELj1ELj32ELb1ELb1ELb0EEEvllPKT_S7_PKT0_SA_PS5_SB_
		.amdhsa_group_segment_fixed_size 0
		.amdhsa_private_segment_fixed_size 0
		.amdhsa_kernarg_size 320
		.amdhsa_user_sgpr_count 2
		.amdhsa_user_sgpr_dispatch_ptr 0
		.amdhsa_user_sgpr_queue_ptr 0
		.amdhsa_user_sgpr_kernarg_segment_ptr 1
		.amdhsa_user_sgpr_dispatch_id 0
		.amdhsa_user_sgpr_kernarg_preload_length 0
		.amdhsa_user_sgpr_kernarg_preload_offset 0
		.amdhsa_user_sgpr_private_segment_size 0
		.amdhsa_wavefront_size32 1
		.amdhsa_uses_dynamic_stack 0
		.amdhsa_enable_private_segment 0
		.amdhsa_system_sgpr_workgroup_id_x 1
		.amdhsa_system_sgpr_workgroup_id_y 1
		.amdhsa_system_sgpr_workgroup_id_z 0
		.amdhsa_system_sgpr_workgroup_info 0
		.amdhsa_system_vgpr_workitem_id 1
		.amdhsa_next_free_vgpr 65
		.amdhsa_next_free_sgpr 29
		.amdhsa_named_barrier_count 0
		.amdhsa_reserve_vcc 1
		.amdhsa_float_round_mode_32 0
		.amdhsa_float_round_mode_16_64 0
		.amdhsa_float_denorm_mode_32 3
		.amdhsa_float_denorm_mode_16_64 3
		.amdhsa_fp16_overflow 0
		.amdhsa_memory_ordered 1
		.amdhsa_forward_progress 1
		.amdhsa_inst_pref_size 32
		.amdhsa_round_robin_scheduling 0
		.amdhsa_exception_fp_ieee_invalid_op 0
		.amdhsa_exception_fp_denorm_src 0
		.amdhsa_exception_fp_ieee_div_zero 0
		.amdhsa_exception_fp_ieee_overflow 0
		.amdhsa_exception_fp_ieee_underflow 0
		.amdhsa_exception_fp_ieee_inexact 0
		.amdhsa_exception_int_div_zero 0
	.end_amdhsa_kernel
	.section	.text._ZN2at6native12_GLOBAL__N_135GammaBetaBackwardCUDAKernelTemplateIN3c104HalfEfLj32ELj1ELj32ELb1ELb1ELb0EEEvllPKT_S7_PKT0_SA_PS5_SB_,"axG",@progbits,_ZN2at6native12_GLOBAL__N_135GammaBetaBackwardCUDAKernelTemplateIN3c104HalfEfLj32ELj1ELj32ELb1ELb1ELb0EEEvllPKT_S7_PKT0_SA_PS5_SB_,comdat
.Lfunc_end83:
	.size	_ZN2at6native12_GLOBAL__N_135GammaBetaBackwardCUDAKernelTemplateIN3c104HalfEfLj32ELj1ELj32ELb1ELb1ELb0EEEvllPKT_S7_PKT0_SA_PS5_SB_, .Lfunc_end83-_ZN2at6native12_GLOBAL__N_135GammaBetaBackwardCUDAKernelTemplateIN3c104HalfEfLj32ELj1ELj32ELb1ELb1ELb0EEEvllPKT_S7_PKT0_SA_PS5_SB_
                                        ; -- End function
	.set _ZN2at6native12_GLOBAL__N_135GammaBetaBackwardCUDAKernelTemplateIN3c104HalfEfLj32ELj1ELj32ELb1ELb1ELb0EEEvllPKT_S7_PKT0_SA_PS5_SB_.num_vgpr, 65
	.set _ZN2at6native12_GLOBAL__N_135GammaBetaBackwardCUDAKernelTemplateIN3c104HalfEfLj32ELj1ELj32ELb1ELb1ELb0EEEvllPKT_S7_PKT0_SA_PS5_SB_.num_agpr, 0
	.set _ZN2at6native12_GLOBAL__N_135GammaBetaBackwardCUDAKernelTemplateIN3c104HalfEfLj32ELj1ELj32ELb1ELb1ELb0EEEvllPKT_S7_PKT0_SA_PS5_SB_.numbered_sgpr, 29
	.set _ZN2at6native12_GLOBAL__N_135GammaBetaBackwardCUDAKernelTemplateIN3c104HalfEfLj32ELj1ELj32ELb1ELb1ELb0EEEvllPKT_S7_PKT0_SA_PS5_SB_.num_named_barrier, 0
	.set _ZN2at6native12_GLOBAL__N_135GammaBetaBackwardCUDAKernelTemplateIN3c104HalfEfLj32ELj1ELj32ELb1ELb1ELb0EEEvllPKT_S7_PKT0_SA_PS5_SB_.private_seg_size, 0
	.set _ZN2at6native12_GLOBAL__N_135GammaBetaBackwardCUDAKernelTemplateIN3c104HalfEfLj32ELj1ELj32ELb1ELb1ELb0EEEvllPKT_S7_PKT0_SA_PS5_SB_.uses_vcc, 1
	.set _ZN2at6native12_GLOBAL__N_135GammaBetaBackwardCUDAKernelTemplateIN3c104HalfEfLj32ELj1ELj32ELb1ELb1ELb0EEEvllPKT_S7_PKT0_SA_PS5_SB_.uses_flat_scratch, 0
	.set _ZN2at6native12_GLOBAL__N_135GammaBetaBackwardCUDAKernelTemplateIN3c104HalfEfLj32ELj1ELj32ELb1ELb1ELb0EEEvllPKT_S7_PKT0_SA_PS5_SB_.has_dyn_sized_stack, 0
	.set _ZN2at6native12_GLOBAL__N_135GammaBetaBackwardCUDAKernelTemplateIN3c104HalfEfLj32ELj1ELj32ELb1ELb1ELb0EEEvllPKT_S7_PKT0_SA_PS5_SB_.has_recursion, 0
	.set _ZN2at6native12_GLOBAL__N_135GammaBetaBackwardCUDAKernelTemplateIN3c104HalfEfLj32ELj1ELj32ELb1ELb1ELb0EEEvllPKT_S7_PKT0_SA_PS5_SB_.has_indirect_call, 0
	.section	.AMDGPU.csdata,"",@progbits
; Kernel info:
; codeLenInByte = 3980
; TotalNumSgprs: 31
; NumVgprs: 65
; ScratchSize: 0
; MemoryBound: 0
; FloatMode: 240
; IeeeMode: 1
; LDSByteSize: 0 bytes/workgroup (compile time only)
; SGPRBlocks: 0
; VGPRBlocks: 4
; NumSGPRsForWavesPerEU: 31
; NumVGPRsForWavesPerEU: 65
; NamedBarCnt: 0
; Occupancy: 12
; WaveLimiterHint : 0
; COMPUTE_PGM_RSRC2:SCRATCH_EN: 0
; COMPUTE_PGM_RSRC2:USER_SGPR: 2
; COMPUTE_PGM_RSRC2:TRAP_HANDLER: 0
; COMPUTE_PGM_RSRC2:TGID_X_EN: 1
; COMPUTE_PGM_RSRC2:TGID_Y_EN: 1
; COMPUTE_PGM_RSRC2:TGID_Z_EN: 0
; COMPUTE_PGM_RSRC2:TIDIG_COMP_CNT: 1
	.section	.text._ZN2at6native12_GLOBAL__N_135GammaBetaBackwardCUDAKernelTemplateIN3c104HalfEfLj32ELj1ELj32ELb1ELb0ELb0EEEvllPKT_S7_PKT0_SA_PS5_SB_,"axG",@progbits,_ZN2at6native12_GLOBAL__N_135GammaBetaBackwardCUDAKernelTemplateIN3c104HalfEfLj32ELj1ELj32ELb1ELb0ELb0EEEvllPKT_S7_PKT0_SA_PS5_SB_,comdat
	.globl	_ZN2at6native12_GLOBAL__N_135GammaBetaBackwardCUDAKernelTemplateIN3c104HalfEfLj32ELj1ELj32ELb1ELb0ELb0EEEvllPKT_S7_PKT0_SA_PS5_SB_ ; -- Begin function _ZN2at6native12_GLOBAL__N_135GammaBetaBackwardCUDAKernelTemplateIN3c104HalfEfLj32ELj1ELj32ELb1ELb0ELb0EEEvllPKT_S7_PKT0_SA_PS5_SB_
	.p2align	8
	.type	_ZN2at6native12_GLOBAL__N_135GammaBetaBackwardCUDAKernelTemplateIN3c104HalfEfLj32ELj1ELj32ELb1ELb0ELb0EEEvllPKT_S7_PKT0_SA_PS5_SB_,@function
_ZN2at6native12_GLOBAL__N_135GammaBetaBackwardCUDAKernelTemplateIN3c104HalfEfLj32ELj1ELj32ELb1ELb0ELb0EEEvllPKT_S7_PKT0_SA_PS5_SB_: ; @_ZN2at6native12_GLOBAL__N_135GammaBetaBackwardCUDAKernelTemplateIN3c104HalfEfLj32ELj1ELj32ELb1ELb0ELb0EEEvllPKT_S7_PKT0_SA_PS5_SB_
; %bb.0:
	s_load_b256 s[4:11], s[0:1], 0x0
	s_bfe_u32 s3, ttmp6, 0x4000c
	s_bfe_u32 s12, ttmp6, 0x40010
	s_add_co_i32 s3, s3, 1
	s_add_co_i32 s12, s12, 1
	s_and_b32 s2, ttmp6, 15
	s_bfe_u32 s13, ttmp6, 0x40004
	s_mul_i32 s3, ttmp9, s3
	s_mul_i32 s12, ttmp7, s12
	s_getreg_b32 s14, hwreg(HW_REG_IB_STS2, 6, 4)
	s_add_co_i32 s2, s2, s3
	s_add_co_i32 s3, s13, s12
	s_cmp_eq_u32 s14, 0
	s_mov_b32 s19, 0
	s_cselect_b32 s16, ttmp9, s2
	s_cselect_b32 s33, ttmp7, s3
	s_lshl_b32 s3, s16, 5
	s_load_b128 s[12:15], s[0:1], 0x20
	s_or_b32 s18, s3, 31
	s_wait_kmcnt 0x0
	v_cmp_le_i64_e64 s2, s[6:7], s[18:19]
	s_lshl_b32 s18, s33, 5
	s_delay_alu instid0(SALU_CYCLE_1) | instskip(SKIP_2) | instid1(VALU_DEP_1)
	v_cmp_gt_i64_e64 s17, s[4:5], s[18:19]
	s_and_b32 vcc_lo, exec_lo, s2
	v_cndmask_b32_e64 v1, 0, 1, s17
	v_cmp_ne_u32_e64 s2, 1, v1
	s_cbranch_vccz .LBB84_140
; %bb.1:
	s_and_b32 vcc_lo, exec_lo, s2
	s_cbranch_vccnz .LBB84_141
; %bb.2:
	v_bfe_u32 v1, v0, 10, 10
	v_mov_b32_e32 v2, 0
	v_and_b32_e32 v172, 0x3ff, v0
	s_load_b32 s20, s[0:1], 0x44
	s_mov_b32 s21, 0
	s_delay_alu instid0(VALU_DEP_2) | instskip(NEXT) | instid1(VALU_DEP_2)
	v_dual_mov_b32 v37, v2 :: v_dual_lshlrev_b32 v36, 5, v1
	v_dual_mov_b32 v7, v2 :: v_dual_add_nc_u32 v6, s3, v172
	s_mov_b32 s25, s21
	s_set_vgpr_msb 64                       ;  msbs: dst=1 src0=0 src1=0 src2=0
	v_dual_mov_b32 v36 /*v292*/, 0 :: v_dual_mov_b32 v37 /*v293*/, v2
	s_set_vgpr_msb 0                        ;  msbs: dst=0 src0=0 src1=0 src2=0
	v_add_nc_u64_e32 v[4:5], s[18:19], v[36:37]
	v_cmp_gt_i64_e64 s2, s[6:7], v[6:7]
	v_lshlrev_b64_e32 v[38:39], 1, v[6:7]
	s_add_nc_u64 s[22:23], s[0:1], 64
	s_mov_b64 s[28:29], 31
	s_mov_b64 s[30:31], s[18:19]
	v_add_nc_u64_e32 v[10:11], 31, v[4:5]
	v_add_nc_u64_e32 v[12:13], 30, v[4:5]
	v_add_nc_u64_e32 v[14:15], 29, v[4:5]
	v_add_nc_u64_e32 v[16:17], 28, v[4:5]
	v_add_nc_u64_e32 v[24:25], 23, v[4:5]
	v_add_nc_u64_e32 v[26:27], 22, v[4:5]
	v_add_nc_u64_e32 v[6:7], 24, v[4:5]
	v_mul_u64_e32 v[10:11], s[6:7], v[10:11]
	v_mul_u64_e32 v[12:13], s[6:7], v[12:13]
	;; [unrolled: 1-line block ×6, first 2 shown]
	v_add_nc_u64_e32 v[28:29], 21, v[4:5]
	v_mul_u64_e32 v[6:7], s[6:7], v[6:7]
	v_add_nc_u64_e32 v[18:19], 27, v[4:5]
	v_add_nc_u64_e32 v[22:23], 25, v[4:5]
	;; [unrolled: 1-line block ×5, first 2 shown]
	v_mul_u64_e32 v[28:29], s[6:7], v[28:29]
	v_add_nc_u64_e32 v[20:21], 26, v[4:5]
	v_mul_u64_e32 v[18:19], s[6:7], v[18:19]
	v_mul_u64_e32 v[22:23], s[6:7], v[22:23]
	;; [unrolled: 1-line block ×7, first 2 shown]
	s_wait_kmcnt 0x0
	s_lshl_b32 s24, s20, 5
	s_delay_alu instid0(SALU_CYCLE_1) | instskip(NEXT) | instid1(SALU_CYCLE_1)
	s_mul_u64 s[26:27], s[6:7], s[24:25]
	s_lshl_b64 s[26:27], s[26:27], 1
	v_lshlrev_b64_e32 v[10:11], 1, v[10:11]
	v_lshlrev_b64_e32 v[12:13], 1, v[12:13]
	;; [unrolled: 1-line block ×5, first 2 shown]
	v_add_nc_u64_e32 v[44:45], s[8:9], v[10:11]
	v_add_nc_u64_e32 v[46:47], s[10:11], v[10:11]
	;; [unrolled: 1-line block ×9, first 2 shown]
	v_lshlrev_b64_e32 v[12:13], 1, v[24:25]
	v_mul_u64_e32 v[10:11], s[6:7], v[10:11]
	v_add_nc_u64_e32 v[14:15], 16, v[4:5]
	v_lshlrev_b64_e32 v[16:17], 1, v[26:27]
	v_add_nc_u64_e32 v[72:73], s[8:9], v[6:7]
	v_add_nc_u64_e32 v[74:75], s[10:11], v[6:7]
	v_lshlrev_b64_e32 v[6:7], 1, v[28:29]
	v_add_nc_u64_e32 v[76:77], s[8:9], v[12:13]
	v_add_nc_u64_e32 v[78:79], s[10:11], v[12:13]
	v_mul_u64_e32 v[12:13], s[6:7], v[14:15]
	v_add_nc_u64_e32 v[80:81], s[8:9], v[16:17]
	v_add_nc_u64_e32 v[82:83], s[10:11], v[16:17]
	;; [unrolled: 1-line block ×3, first 2 shown]
	v_lshlrev_b64_e32 v[18:19], 1, v[18:19]
	v_lshlrev_b64_e32 v[22:23], 1, v[22:23]
	v_add_nc_u64_e32 v[84:85], s[8:9], v[6:7]
	v_add_nc_u64_e32 v[86:87], s[10:11], v[6:7]
	v_lshlrev_b64_e32 v[6:7], 1, v[32:33]
	v_add_nc_u64_e32 v[14:15], 15, v[4:5]
	v_mul_u64_e32 v[16:17], s[6:7], v[16:17]
	v_add_nc_u64_e32 v[60:61], s[8:9], v[18:19]
	v_add_nc_u64_e32 v[62:63], s[10:11], v[18:19]
	v_add_nc_u64_e32 v[68:69], s[8:9], v[22:23]
	v_add_nc_u64_e32 v[70:71], s[10:11], v[22:23]
	v_lshlrev_b64_e32 v[18:19], 1, v[30:31]
	v_lshlrev_b64_e32 v[22:23], 1, v[34:35]
	v_add_nc_u64_e32 v[92:93], s[8:9], v[6:7]
	v_add_nc_u64_e32 v[24:25], 11, v[4:5]
	;; [unrolled: 1-line block ×5, first 2 shown]
	v_lshlrev_b64_e32 v[20:21], 1, v[20:21]
	v_mul_u64_e32 v[14:15], s[6:7], v[14:15]
	v_add_nc_u64_e32 v[88:89], s[8:9], v[18:19]
	v_add_nc_u64_e32 v[90:91], s[10:11], v[18:19]
	;; [unrolled: 1-line block ×4, first 2 shown]
	v_mul_u64_e32 v[24:25], s[6:7], v[24:25]
	v_lshlrev_b64_e32 v[10:11], 1, v[10:11]
	v_add_nc_u64_e32 v[28:29], 8, v[4:5]
	v_mul_u64_e32 v[6:7], s[6:7], v[6:7]
	v_add_nc_u64_e32 v[98:99], s[10:11], v[22:23]
	v_mul_u64_e32 v[22:23], s[6:7], v[26:27]
	v_add_nc_u64_e32 v[26:27], 6, v[4:5]
	v_add_nc_u64_e32 v[64:65], s[8:9], v[20:21]
	;; [unrolled: 1-line block ×4, first 2 shown]
	v_mul_u64_e32 v[18:19], s[6:7], v[18:19]
	v_add_nc_u64_e32 v[30:31], 7, v[4:5]
	v_lshlrev_b64_e32 v[12:13], 1, v[12:13]
	v_mul_u64_e32 v[28:29], s[6:7], v[28:29]
	v_add_nc_u64_e32 v[100:101], s[8:9], v[10:11]
	v_add_nc_u64_e32 v[32:33], 5, v[4:5]
	;; [unrolled: 1-line block ×3, first 2 shown]
	v_mul_u64_e32 v[10:11], s[6:7], v[26:27]
	v_add_nc_u64_e32 v[26:27], 4, v[4:5]
	v_add_nc_u64_e32 v[34:35], 3, v[4:5]
	;; [unrolled: 1-line block ×3, first 2 shown]
	v_mul_u64_e32 v[20:21], s[6:7], v[20:21]
	v_mul_u64_e32 v[30:31], s[6:7], v[30:31]
	v_add_nc_u64_e32 v[104:105], s[8:9], v[12:13]
	v_mul_u64_e32 v[32:33], s[6:7], v[32:33]
	v_add_nc_u64_e32 v[106:107], s[10:11], v[12:13]
	v_lshlrev_b64_e32 v[12:13], 1, v[16:17]
	v_mul_u64_e32 v[16:17], s[6:7], v[26:27]
	v_mul_u64_e32 v[26:27], s[6:7], v[34:35]
	;; [unrolled: 1-line block ×3, first 2 shown]
	v_lshlrev_b64_e32 v[14:15], 1, v[14:15]
	v_lshlrev_b64_e32 v[42:43], 1, v[8:9]
	v_add_nc_u64_e32 v[8:9], s[6:7], v[8:9]
	v_add_nc_u64_e32 v[112:113], s[8:9], v[12:13]
	;; [unrolled: 1-line block ×3, first 2 shown]
	v_lshlrev_b64_e32 v[12:13], 1, v[24:25]
	v_lshlrev_b64_e32 v[6:7], 1, v[6:7]
	v_add_nc_u64_e32 v[108:109], s[8:9], v[14:15]
	v_add_nc_u64_e32 v[110:111], s[10:11], v[14:15]
	v_lshlrev_b64_e32 v[8:9], 1, v[8:9]
	v_add_nc_u64_e32 v[40:41], s[8:9], v[42:43]
	v_add_nc_u64_e32 v[42:43], s[10:11], v[42:43]
	;; [unrolled: 3-line block ×4, first 2 shown]
	v_add_nc_u64_e32 v[164:165], s[8:9], v[8:9]
	v_lshlrev_b64_e32 v[6:7], 1, v[10:11]
	v_add_nc_u64_e32 v[120:121], s[8:9], v[14:15]
	v_add_nc_u64_e32 v[122:123], s[10:11], v[14:15]
	v_lshlrev_b64_e32 v[14:15], 1, v[22:23]
	v_lshlrev_b64_e32 v[20:21], 1, v[20:21]
	v_lshlrev_b64_e32 v[18:19], 1, v[30:31]
	v_add_nc_u64_e32 v[136:137], s[8:9], v[12:13]
	v_add_nc_u64_e32 v[138:139], s[10:11], v[12:13]
	v_lshlrev_b64_e32 v[10:11], 1, v[32:33]
	v_add_nc_u64_e32 v[144:145], s[8:9], v[6:7]
	v_lshlrev_b64_e32 v[12:13], 1, v[16:17]
	;; [unrolled: 2-line block ×3, first 2 shown]
	v_lshlrev_b64_e32 v[4:5], 1, v[4:5]
	v_add_nc_u64_e32 v[116:117], s[8:9], v[20:21]
	v_add_nc_u64_e32 v[118:119], s[10:11], v[20:21]
	;; [unrolled: 1-line block ×15, first 2 shown]
	s_branch .LBB84_5
.LBB84_3:                               ;   in Loop: Header=BB84_5 Depth=1
	s_or_b32 exec_lo, exec_lo, s20
	s_wait_loadcnt 0x1
	ds_bpermute_b32 v202, v2, v168
	ds_bpermute_b32 v204, v2, v168 offset:4
	s_wait_loadcnt 0x0
	ds_bpermute_b32 v203, v2, v169
	ds_bpermute_b32 v207, v2, v168 offset:8
	ds_bpermute_b32 v205, v2, v169 offset:4
	;; [unrolled: 1-line block ×17, first 2 shown]
	s_wait_dscnt 0x13
	v_dual_sub_f32 v202, v170, v202 :: v_dual_mov_b32 v170, v4
	s_wait_dscnt 0x12
	v_sub_f32_e32 v171, v171, v204
	s_wait_dscnt 0x10
	v_sub_f32_e32 v3, v3, v207
	ds_bpermute_b32 v220, v2, v169 offset:36
	v_dual_mul_f32 v204, v4, v202 :: v_dual_mov_b32 v4, v5
	v_dual_mov_b32 v202, v6 :: v_dual_mul_f32 v5, v5, v171
	s_wait_dscnt 0xf
	s_delay_alu instid0(VALU_DEP_2) | instskip(SKIP_1) | instid1(VALU_DEP_3)
	v_dual_sub_f32 v174, v174, v209 :: v_dual_mul_f32 v171, v204, v203
	v_dual_mov_b32 v204, v7 :: v_dual_mul_f32 v3, v6, v3
	v_dual_mov_b32 v6, v8 :: v_dual_mul_f32 v5, v5, v205
	s_set_vgpr_msb 1                        ;  msbs: dst=0 src0=1 src1=0 src2=0
	s_delay_alu instid0(VALU_DEP_3)
	v_pk_add_f32 v[170:171], v[36:37] /*v[292:293]*/, v[170:171]
	s_wait_dscnt 0xd
	s_set_vgpr_msb 0                        ;  msbs: dst=0 src0=0 src1=0 src2=0
	v_dual_sub_f32 v173, v173, v211 :: v_dual_mul_f32 v7, v7, v174
	s_wait_dscnt 0xb
	v_dual_mul_f32 v203, v3, v206 :: v_dual_sub_f32 v3, v176, v213
	v_pk_add_f32 v[4:5], v[4:5], v[170:171]
	s_delay_alu instid0(VALU_DEP_3) | instskip(SKIP_1) | instid1(VALU_DEP_3)
	v_dual_mov_b32 v170, v9 :: v_dual_mul_f32 v171, v8, v173
	v_dual_mov_b32 v8, v10 :: v_dual_mul_f32 v205, v7, v208
	v_pk_add_f32 v[4:5], v[202:203], v[4:5]
	s_wait_dscnt 0x9
	v_sub_f32_e32 v173, v175, v215
	v_dual_mul_f32 v3, v9, v3 :: v_dual_mul_f32 v7, v171, v210
	ds_bpermute_b32 v222, v2, v169 offset:40
	v_pk_add_f32 v[4:5], v[204:205], v[4:5]
	s_wait_dscnt 0x8
	v_sub_f32_e32 v9, v179, v217
	ds_bpermute_b32 v174, v2, v168 offset:44
	s_wait_dscnt 0x6
	v_dual_mul_f32 v171, v3, v212 :: v_dual_sub_f32 v3, v178, v219
	v_pk_add_f32 v[4:5], v[6:7], v[4:5]
	v_sub_f32_e32 v6, v181, v221
	v_mul_f32_e32 v10, v10, v173
	v_mul_f32_e32 v7, v11, v9
	ds_bpermute_b32 v173, v2, v169 offset:48
	v_pk_add_f32 v[4:5], v[170:171], v[4:5]
	v_mul_f32_e32 v170, v13, v6
	s_wait_dscnt 0x5
	v_dual_mul_f32 v9, v10, v214 :: v_dual_sub_f32 v10, v180, v223
	v_dual_mul_f32 v3, v12, v3 :: v_dual_mul_f32 v7, v7, v216
	s_wait_dscnt 0x3
	v_dual_mov_b32 v6, v11 :: v_dual_mul_f32 v11, v170, v220
	s_delay_alu instid0(VALU_DEP_3)
	v_pk_add_f32 v[4:5], v[8:9], v[4:5]
	ds_bpermute_b32 v171, v2, v168 offset:48
	v_dual_mul_f32 v9, v3, v218 :: v_dual_mov_b32 v8, v12
	v_dual_mul_f32 v3, v14, v10 :: v_dual_mov_b32 v10, v13
	v_pk_add_f32 v[4:5], v[6:7], v[4:5]
	ds_bpermute_b32 v12, v2, v168 offset:52
	ds_bpermute_b32 v170, v2, v168 offset:56
	;; [unrolled: 1-line block ×3, first 2 shown]
	s_wait_dscnt 0x6
	v_dual_mul_f32 v7, v3, v222 :: v_dual_mov_b32 v6, v14
	v_pk_add_f32 v[4:5], v[8:9], v[4:5]
	ds_bpermute_b32 v3, v2, v168 offset:60
	s_wait_dscnt 0x6
	v_sub_f32_e32 v8, v183, v174
	ds_bpermute_b32 v14, v2, v168 offset:64
	v_pk_add_f32 v[4:5], v[10:11], v[4:5]
	ds_bpermute_b32 v10, v2, v169 offset:52
	ds_bpermute_b32 v11, v2, v169 offset:56
	s_wait_dscnt 0x7
	v_dual_sub_f32 v9, v182, v171 :: v_dual_mul_f32 v8, v15, v8
	v_pk_add_f32 v[4:5], v[6:7], v[4:5]
	v_mov_b32_e32 v6, v15
	ds_bpermute_b32 v15, v2, v169 offset:64
	s_wait_dscnt 0x7
	v_dual_mul_f32 v9, v16, v9 :: v_dual_sub_f32 v12, v185, v12
	s_wait_dscnt 0x6
	v_sub_f32_e32 v170, v184, v170
	s_wait_dscnt 0x5
	v_mul_f32_e32 v7, v8, v13
	ds_bpermute_b32 v171, v2, v168 offset:68
	v_mul_f32_e32 v9, v9, v173
	v_dual_mul_f32 v12, v17, v12 :: v_dual_mul_f32 v13, v18, v170
	ds_bpermute_b32 v170, v2, v169 offset:60
	s_wait_dscnt 0x6
	v_dual_sub_f32 v3, v187, v3 :: v_dual_mov_b32 v8, v16
	v_pk_add_f32 v[4:5], v[6:7], v[4:5]
	ds_bpermute_b32 v173, v2, v168 offset:72
	s_wait_dscnt 0x4
	v_dual_mul_f32 v7, v12, v10 :: v_dual_mul_f32 v11, v13, v11
	v_dual_sub_f32 v10, v186, v14 :: v_dual_mul_f32 v3, v19, v3
	v_mov_b32_e32 v6, v17
	v_pk_add_f32 v[4:5], v[8:9], v[4:5]
	ds_bpermute_b32 v12, v2, v168 offset:76
	ds_bpermute_b32 v13, v2, v169 offset:68
	v_dual_mul_f32 v8, v20, v10 :: v_dual_mov_b32 v10, v18
	v_pk_add_f32 v[4:5], v[6:7], v[4:5]
	ds_bpermute_b32 v14, v2, v169 offset:72
	ds_bpermute_b32 v16, v2, v168 offset:80
	s_wait_dscnt 0x7
	v_dual_mul_f32 v9, v8, v15 :: v_dual_mov_b32 v6, v19
	v_pk_add_f32 v[4:5], v[10:11], v[4:5]
	ds_bpermute_b32 v11, v2, v169 offset:76
	s_wait_dscnt 0x6
	v_dual_mul_f32 v7, v3, v170 :: v_dual_sub_f32 v3, v189, v171
	ds_bpermute_b32 v15, v2, v168 offset:84
	s_wait_dscnt 0x6
	v_sub_f32_e32 v10, v188, v173
	ds_bpermute_b32 v17, v2, v169 offset:80
	v_pk_add_f32 v[4:5], v[6:7], v[4:5]
	v_dual_mul_f32 v3, v21, v3 :: v_dual_mov_b32 v8, v20
	s_wait_dscnt 0x6
	v_dual_mul_f32 v10, v22, v10 :: v_dual_sub_f32 v12, v192, v12
	s_wait_dscnt 0x5
	s_delay_alu instid0(VALU_DEP_2) | instskip(SKIP_1) | instid1(VALU_DEP_3)
	v_dual_mov_b32 v6, v21 :: v_dual_mul_f32 v7, v3, v13
	v_pk_add_f32 v[4:5], v[8:9], v[4:5]
	v_dual_mov_b32 v8, v22 :: v_dual_mul_f32 v3, v23, v12
	s_wait_dscnt 0x4
	v_mul_f32_e32 v9, v10, v14
	s_wait_dscnt 0x3
	v_sub_f32_e32 v10, v190, v16
	ds_bpermute_b32 v12, v2, v169 offset:84
	v_pk_add_f32 v[4:5], v[6:7], v[4:5]
	ds_bpermute_b32 v13, v2, v168 offset:88
	ds_bpermute_b32 v14, v2, v168 offset:92
	s_wait_dscnt 0x5
	v_mul_f32_e32 v7, v3, v11
	ds_bpermute_b32 v11, v2, v168 offset:96
	s_wait_dscnt 0x5
	v_dual_mul_f32 v3, v24, v10 :: v_dual_sub_f32 v10, v193, v15
	v_pk_add_f32 v[4:5], v[8:9], v[4:5]
	v_mov_b32_e32 v6, v23
	ds_bpermute_b32 v15, v2, v169 offset:92
	s_wait_dscnt 0x5
	v_dual_mul_f32 v9, v3, v17 :: v_dual_mov_b32 v8, v24
	v_mul_f32_e32 v3, v25, v10
	ds_bpermute_b32 v10, v2, v169 offset:88
	ds_bpermute_b32 v16, v2, v168 offset:100
	v_pk_add_f32 v[4:5], v[6:7], v[4:5]
	ds_bpermute_b32 v17, v2, v168 offset:108
	v_mov_b32_e32 v6, v25
	ds_bpermute_b32 v18, v2, v168 offset:116
	s_wait_dscnt 0x8
	v_mul_f32_e32 v7, v3, v12
	v_pk_add_f32 v[4:5], v[8:9], v[4:5]
	s_wait_dscnt 0x7
	v_sub_f32_e32 v3, v191, v13
	ds_bpermute_b32 v12, v2, v169 offset:96
	ds_bpermute_b32 v13, v2, v168 offset:104
	s_wait_dscnt 0x7
	v_dual_sub_f32 v11, v194, v11 :: v_dual_sub_f32 v8, v195, v14
	v_mul_f32_e32 v3, v26, v3
	ds_bpermute_b32 v14, v2, v169 offset:100
	v_pk_add_f32 v[4:5], v[6:7], v[4:5]
	v_dual_mov_b32 v6, v26 :: v_dual_mul_f32 v8, v27, v8
	s_wait_dscnt 0x6
	v_dual_mul_f32 v7, v3, v10 :: v_dual_mul_f32 v3, v28, v11
	s_wait_dscnt 0x5
	s_delay_alu instid0(VALU_DEP_2)
	v_dual_mul_f32 v9, v8, v15 :: v_dual_sub_f32 v10, v197, v16
	ds_bpermute_b32 v11, v2, v168 offset:112
	ds_bpermute_b32 v15, v2, v169 offset:104
	ds_bpermute_b32 v16, v2, v169 offset:108
	v_pk_add_f32 v[4:5], v[6:7], v[4:5]
	v_dual_mov_b32 v8, v27 :: v_dual_mul_f32 v10, v29, v10
	s_wait_dscnt 0x4
	v_dual_mul_f32 v7, v3, v12 :: v_dual_sub_f32 v3, v196, v13
	v_mov_b32_e32 v6, v28
	s_delay_alu instid0(VALU_DEP_3)
	v_pk_add_f32 v[4:5], v[8:9], v[4:5]
	s_wait_dscnt 0x3
	v_mul_f32_e32 v9, v10, v14
	ds_bpermute_b32 v10, v2, v169 offset:112
	v_dual_sub_f32 v12, v199, v17 :: v_dual_mul_f32 v3, v30, v3
	ds_bpermute_b32 v13, v2, v168 offset:120
	v_pk_add_f32 v[4:5], v[6:7], v[4:5]
	v_dual_mov_b32 v8, v29 :: v_dual_mul_f32 v12, v31, v12
	ds_bpermute_b32 v14, v2, v169 offset:116
	v_mov_b32_e32 v6, v30
	s_wait_dscnt 0x5
	v_sub_f32_e32 v11, v198, v11
	s_wait_dscnt 0x4
	v_mul_f32_e32 v7, v3, v15
	v_pk_add_f32 v[4:5], v[8:9], v[4:5]
	s_wait_dscnt 0x3
	v_mul_f32_e32 v9, v12, v16
	ds_bpermute_b32 v12, v2, v169 offset:120
	v_dual_mul_f32 v3, v32, v11 :: v_dual_sub_f32 v11, v201, v18
	v_pk_add_f32 v[4:5], v[6:7], v[4:5]
	v_dual_mov_b32 v8, v31 :: v_dual_mov_b32 v6, v32
	s_wait_dscnt 0x3
	s_delay_alu instid0(VALU_DEP_3) | instskip(NEXT) | instid1(VALU_DEP_2)
	v_dual_mul_f32 v7, v3, v10 :: v_dual_mul_f32 v10, v33, v11
	v_pk_add_f32 v[8:9], v[8:9], v[4:5]
	s_wait_dscnt 0x2
	v_sub_f32_e32 v5, v200, v13
	ds_bpermute_b32 v3, v2, v169 offset:124
	ds_bpermute_b32 v4, v2, v168 offset:124
	s_wait_dscnt 0x3
	v_mul_f32_e32 v11, v10, v14
	v_pk_add_f32 v[6:7], v[6:7], v[8:9]
	v_dual_mov_b32 v10, v33 :: v_dual_mul_f32 v5, v34, v5
	v_mov_b32_e32 v8, v34
	s_delay_alu instid0(VALU_DEP_2) | instskip(SKIP_1) | instid1(VALU_DEP_3)
	v_pk_add_f32 v[6:7], v[10:11], v[6:7]
	s_wait_dscnt 0x2
	v_mul_f32_e32 v9, v5, v12
	s_delay_alu instid0(VALU_DEP_1)
	v_pk_add_f32 v[170:171], v[8:9], v[6:7]
.LBB84_4:                               ;   in Loop: Header=BB84_5 Depth=1
	s_wait_dscnt 0x0
	v_dual_sub_f32 v5, v177, v4 :: v_dual_mov_b32 v4, v35
	s_add_nc_u64 s[30:31], s[30:31], s[24:25]
	v_add_nc_u64_e32 v[40:41], s[26:27], v[40:41]
	v_cmp_lt_i64_e64 s20, s[30:31], s[4:5]
	s_delay_alu instid0(VALU_DEP_3)
	v_mul_f32_e32 v5, v35, v5
	v_add_nc_u64_e32 v[42:43], s[26:27], v[42:43]
	v_add_nc_u64_e32 v[44:45], s[26:27], v[44:45]
	;; [unrolled: 1-line block ×4, first 2 shown]
	v_mul_f32_e32 v5, v5, v3
	v_add_nc_u64_e32 v[50:51], s[26:27], v[50:51]
	v_add_nc_u64_e32 v[52:53], s[26:27], v[52:53]
	;; [unrolled: 1-line block ×60, first 2 shown]
	s_set_vgpr_msb 64                       ;  msbs: dst=1 src0=0 src1=0 src2=0
	v_pk_add_f32 v[36:37] /*v[292:293]*/, v[170:171], v[4:5]
	s_and_b32 vcc_lo, exec_lo, s20
	s_add_nc_u64 s[28:29], s[28:29], s[24:25]
	s_set_vgpr_msb 0                        ;  msbs: dst=0 src0=0 src1=0 src2=0
	s_cbranch_vccz .LBB84_142
.LBB84_5:                               ; =>This Inner Loop Header: Depth=1
	s_add_nc_u64 s[34:35], s[18:19], s[28:29]
	v_add_nc_u64_e32 v[168:169], s[18:19], v[36:37]
	v_cmp_ge_i64_e64 s20, s[34:35], s[4:5]
                                        ; implicit-def: $vgpr4_vgpr5_vgpr6_vgpr7_vgpr8_vgpr9_vgpr10_vgpr11_vgpr12_vgpr13_vgpr14_vgpr15_vgpr16_vgpr17_vgpr18_vgpr19_vgpr20_vgpr21_vgpr22_vgpr23_vgpr24_vgpr25_vgpr26_vgpr27_vgpr28_vgpr29_vgpr30_vgpr31_vgpr32_vgpr33_vgpr34_vgpr35
                                        ; implicit-def: $vgpr170_vgpr171
                                        ; implicit-def: $vgpr3
                                        ; implicit-def: $vgpr177
                                        ; implicit-def: $vgpr4
	s_and_b32 vcc_lo, exec_lo, s20
	s_mov_b32 s20, -1
	s_cbranch_vccz .LBB84_73
; %bb.6:                                ;   in Loop: Header=BB84_5 Depth=1
	s_load_b32 s20, s[22:23], 0xc
	v_dual_mov_b32 v173, 0 :: v_dual_mov_b32 v171, 0
	v_mov_b32_e32 v170, 0
	s_wait_kmcnt 0x0
	s_and_b32 s20, s20, 0xffff
	s_delay_alu instid0(SALU_CYCLE_1) | instskip(SKIP_2) | instid1(VALU_DEP_2)
	v_mad_u32_u24 v3, v1, s20, v172
	v_mov_b32_e32 v5, v2
	s_mov_b32 s20, exec_lo
	v_and_b32_e32 v4, 31, v3
	s_delay_alu instid0(VALU_DEP_1) | instskip(NEXT) | instid1(VALU_DEP_1)
	v_add_nc_u64_e32 v[4:5], v[168:169], v[4:5]
	v_cmpx_gt_i64_e64 s[4:5], v[4:5]
	s_cbranch_execz .LBB84_8
; %bb.7:                                ;   in Loop: Header=BB84_5 Depth=1
	v_lshlrev_b64_e32 v[4:5], 2, v[4:5]
	s_delay_alu instid0(VALU_DEP_1)
	v_add_nc_u64_e32 v[6:7], s[12:13], v[4:5]
	v_add_nc_u64_e32 v[4:5], s[14:15], v[4:5]
	global_load_b32 v170, v[6:7], off
	global_load_b32 v171, v[4:5], off
.LBB84_8:                               ;   in Loop: Header=BB84_5 Depth=1
	s_wait_xcnt 0x0
	s_or_b32 exec_lo, exec_lo, s20
	v_dual_mov_b32 v31, v2 :: v_dual_mov_b32 v32, v2
	v_dual_mov_b32 v33, v2 :: v_dual_mov_b32 v3, v2
	;; [unrolled: 1-line block ×15, first 2 shown]
	v_mov_b32_e32 v30, v2
	v_cmp_gt_i64_e32 vcc_lo, s[4:5], v[168:169]
	v_mov_b64_e32 v[34:35], v[32:33]
	s_delay_alu instid0(VALU_DEP_3)
	v_mov_b64_e32 v[32:33], v[30:31]
	v_mov_b64_e32 v[30:31], v[28:29]
	;; [unrolled: 1-line block ×15, first 2 shown]
	s_and_b32 s34, s2, vcc_lo
	s_delay_alu instid0(SALU_CYCLE_1)
	s_and_saveexec_b32 s20, s34
	s_cbranch_execz .LBB84_10
; %bb.9:                                ;   in Loop: Header=BB84_5 Depth=1
	v_add_nc_u64_e32 v[4:5], v[40:41], v[38:39]
	v_add_nc_u64_e32 v[6:7], v[42:43], v[38:39]
	v_dual_mov_b32 v9, v2 :: v_dual_mov_b32 v10, v2
	v_dual_mov_b32 v11, v2 :: v_dual_mov_b32 v12, v2
	;; [unrolled: 1-line block ×3, first 2 shown]
	global_load_u16 v3, v[4:5], off
	global_load_u16 v173, v[6:7], off
	s_wait_xcnt 0x0
	v_dual_mov_b32 v5, v2 :: v_dual_mov_b32 v6, v2
	v_dual_mov_b32 v7, v2 :: v_dual_mov_b32 v8, v2
	;; [unrolled: 1-line block ×12, first 2 shown]
	v_mov_b32_e32 v35, v2
	s_wait_loadcnt 0x1
	v_cvt_f32_f16_e32 v4, v3
	s_wait_loadcnt 0x0
	v_cvt_f32_f16_e64 v173, v173
.LBB84_10:                              ;   in Loop: Header=BB84_5 Depth=1
	s_or_b32 exec_lo, exec_lo, s20
	v_add_nc_u64_e32 v[174:175], 1, v[168:169]
	v_mov_b32_e32 v3, 0
	s_delay_alu instid0(VALU_DEP_2) | instskip(SKIP_2) | instid1(SALU_CYCLE_1)
	v_cmp_gt_i64_e32 vcc_lo, s[4:5], v[174:175]
	v_mov_b32_e32 v174, 0
	s_and_b32 s34, s2, vcc_lo
	s_and_saveexec_b32 s20, s34
	s_cbranch_execz .LBB84_12
; %bb.11:                               ;   in Loop: Header=BB84_5 Depth=1
	v_add_nc_u64_e32 v[174:175], v[164:165], v[38:39]
	v_add_nc_u64_e32 v[176:177], v[166:167], v[38:39]
	global_load_u16 v5, v[174:175], off
	global_load_u16 v178, v[176:177], off
	s_wait_loadcnt 0x1
	v_cvt_f32_f16_e32 v5, v5
	s_wait_loadcnt 0x0
	v_cvt_f32_f16_e64 v174, v178
.LBB84_12:                              ;   in Loop: Header=BB84_5 Depth=1
	s_or_b32 exec_lo, exec_lo, s20
	v_add_nc_u64_e32 v[176:177], 2, v[168:169]
	s_delay_alu instid0(VALU_DEP_1) | instskip(SKIP_1) | instid1(SALU_CYCLE_1)
	v_cmp_gt_i64_e32 vcc_lo, s[4:5], v[176:177]
	s_and_b32 s34, s2, vcc_lo
	s_and_saveexec_b32 s20, s34
	s_cbranch_execz .LBB84_14
; %bb.13:                               ;   in Loop: Header=BB84_5 Depth=1
	v_add_nc_u64_e32 v[176:177], v[160:161], v[38:39]
	v_add_nc_u64_e32 v[178:179], v[162:163], v[38:39]
	global_load_u16 v3, v[176:177], off
	global_load_u16 v175, v[178:179], off
	s_wait_loadcnt 0x1
	v_cvt_f32_f16_e32 v6, v3
	s_wait_loadcnt 0x0
	v_cvt_f32_f16_e64 v3, v175
.LBB84_14:                              ;   in Loop: Header=BB84_5 Depth=1
	s_or_b32 exec_lo, exec_lo, s20
	v_add_nc_u64_e32 v[176:177], 3, v[168:169]
	v_mov_b32_e32 v175, 0
	s_delay_alu instid0(VALU_DEP_2) | instskip(SKIP_2) | instid1(SALU_CYCLE_1)
	v_cmp_gt_i64_e32 vcc_lo, s[4:5], v[176:177]
	v_mov_b32_e32 v176, 0
	s_and_b32 s34, s2, vcc_lo
	s_and_saveexec_b32 s20, s34
	s_cbranch_execz .LBB84_16
; %bb.15:                               ;   in Loop: Header=BB84_5 Depth=1
	v_add_nc_u64_e32 v[176:177], v[156:157], v[38:39]
	v_add_nc_u64_e32 v[178:179], v[158:159], v[38:39]
	global_load_u16 v7, v[176:177], off
	global_load_u16 v180, v[178:179], off
	s_wait_loadcnt 0x1
	v_cvt_f32_f16_e32 v7, v7
	s_wait_loadcnt 0x0
	v_cvt_f32_f16_e64 v176, v180
.LBB84_16:                              ;   in Loop: Header=BB84_5 Depth=1
	s_or_b32 exec_lo, exec_lo, s20
	v_add_nc_u64_e32 v[178:179], 4, v[168:169]
	s_delay_alu instid0(VALU_DEP_1) | instskip(SKIP_1) | instid1(SALU_CYCLE_1)
	v_cmp_gt_i64_e32 vcc_lo, s[4:5], v[178:179]
	s_and_b32 s34, s2, vcc_lo
	s_and_saveexec_b32 s20, s34
	s_cbranch_execz .LBB84_18
; %bb.17:                               ;   in Loop: Header=BB84_5 Depth=1
	v_add_nc_u64_e32 v[178:179], v[152:153], v[38:39]
	v_add_nc_u64_e32 v[180:181], v[154:155], v[38:39]
	global_load_u16 v8, v[178:179], off
	global_load_u16 v175, v[180:181], off
	s_wait_loadcnt 0x1
	v_cvt_f32_f16_e32 v8, v8
	s_wait_loadcnt 0x0
	v_cvt_f32_f16_e64 v175, v175
.LBB84_18:                              ;   in Loop: Header=BB84_5 Depth=1
	s_or_b32 exec_lo, exec_lo, s20
	v_add_nc_u64_e32 v[178:179], 5, v[168:169]
	s_delay_alu instid0(VALU_DEP_1) | instskip(SKIP_2) | instid1(SALU_CYCLE_1)
	v_cmp_gt_i64_e32 vcc_lo, s[4:5], v[178:179]
	v_dual_mov_b32 v178, 0 :: v_dual_mov_b32 v179, 0
	s_and_b32 s34, s2, vcc_lo
	s_and_saveexec_b32 s20, s34
	s_cbranch_execz .LBB84_20
; %bb.19:                               ;   in Loop: Header=BB84_5 Depth=1
	v_add_nc_u64_e32 v[180:181], v[148:149], v[38:39]
	v_add_nc_u64_e32 v[182:183], v[150:151], v[38:39]
	global_load_u16 v9, v[180:181], off
	global_load_u16 v177, v[182:183], off
	s_wait_loadcnt 0x1
	v_cvt_f32_f16_e32 v9, v9
	s_wait_loadcnt 0x0
	v_cvt_f32_f16_e64 v179, v177
.LBB84_20:                              ;   in Loop: Header=BB84_5 Depth=1
	s_or_b32 exec_lo, exec_lo, s20
	v_add_nc_u64_e32 v[180:181], 6, v[168:169]
	s_delay_alu instid0(VALU_DEP_1) | instskip(SKIP_1) | instid1(SALU_CYCLE_1)
	v_cmp_gt_i64_e32 vcc_lo, s[4:5], v[180:181]
	s_and_b32 s34, s2, vcc_lo
	s_and_saveexec_b32 s20, s34
	s_cbranch_execz .LBB84_22
; %bb.21:                               ;   in Loop: Header=BB84_5 Depth=1
	v_add_nc_u64_e32 v[180:181], v[144:145], v[38:39]
	v_add_nc_u64_e32 v[182:183], v[146:147], v[38:39]
	global_load_u16 v10, v[180:181], off
	global_load_u16 v177, v[182:183], off
	s_wait_loadcnt 0x1
	v_cvt_f32_f16_e32 v10, v10
	s_wait_loadcnt 0x0
	v_cvt_f32_f16_e64 v178, v177
.LBB84_22:                              ;   in Loop: Header=BB84_5 Depth=1
	s_or_b32 exec_lo, exec_lo, s20
	v_add_nc_u64_e32 v[180:181], 7, v[168:169]
	s_delay_alu instid0(VALU_DEP_1) | instskip(SKIP_2) | instid1(SALU_CYCLE_1)
	v_cmp_gt_i64_e32 vcc_lo, s[4:5], v[180:181]
	v_dual_mov_b32 v180, 0 :: v_dual_mov_b32 v181, 0
	;; [unrolled: 35-line block ×13, first 2 shown]
	s_and_b32 s34, s2, vcc_lo
	s_and_saveexec_b32 s20, s34
	s_cbranch_execz .LBB84_68
; %bb.67:                               ;   in Loop: Header=BB84_5 Depth=1
	v_add_nc_u64_e32 v[204:205], v[52:53], v[38:39]
	v_add_nc_u64_e32 v[206:207], v[54:55], v[38:39]
	global_load_u16 v33, v[204:205], off
	global_load_u16 v177, v[206:207], off
	s_wait_loadcnt 0x1
	v_cvt_f32_f16_e32 v33, v33
	s_wait_loadcnt 0x0
	v_cvt_f32_f16_e64 v203, v177
.LBB84_68:                              ;   in Loop: Header=BB84_5 Depth=1
	s_or_b32 exec_lo, exec_lo, s20
	v_add_nc_u64_e32 v[204:205], 30, v[168:169]
	s_delay_alu instid0(VALU_DEP_1) | instskip(SKIP_1) | instid1(SALU_CYCLE_1)
	v_cmp_gt_i64_e32 vcc_lo, s[4:5], v[204:205]
	s_and_b32 s34, s2, vcc_lo
	s_and_saveexec_b32 s20, s34
	s_cbranch_execz .LBB84_70
; %bb.69:                               ;   in Loop: Header=BB84_5 Depth=1
	v_add_nc_u64_e32 v[204:205], v[48:49], v[38:39]
	v_add_nc_u64_e32 v[206:207], v[50:51], v[38:39]
	global_load_u16 v34, v[204:205], off
	global_load_u16 v177, v[206:207], off
	s_wait_loadcnt 0x1
	v_cvt_f32_f16_e32 v34, v34
	s_wait_loadcnt 0x0
	v_cvt_f32_f16_e64 v202, v177
.LBB84_70:                              ;   in Loop: Header=BB84_5 Depth=1
	s_or_b32 exec_lo, exec_lo, s20
	v_add_nc_u64_e32 v[204:205], 31, v[168:169]
	v_mov_b32_e32 v177, 0
	s_delay_alu instid0(VALU_DEP_2) | instskip(SKIP_1) | instid1(SALU_CYCLE_1)
	v_cmp_gt_i64_e32 vcc_lo, s[4:5], v[204:205]
	s_and_b32 s34, s2, vcc_lo
	s_and_saveexec_b32 s20, s34
	s_cbranch_execz .LBB84_72
; %bb.71:                               ;   in Loop: Header=BB84_5 Depth=1
	v_add_nc_u64_e32 v[204:205], v[44:45], v[38:39]
	v_add_nc_u64_e32 v[206:207], v[46:47], v[38:39]
	global_load_u16 v35, v[204:205], off
	global_load_u16 v177, v[206:207], off
	s_wait_loadcnt 0x1
	v_cvt_f32_f16_e32 v35, v35
	s_wait_loadcnt 0x0
	v_cvt_f32_f16_e64 v177, v177
.LBB84_72:                              ;   in Loop: Header=BB84_5 Depth=1
	s_or_b32 exec_lo, exec_lo, s20
	s_wait_loadcnt 0x1
	ds_bpermute_b32 v204, v2, v170
	ds_bpermute_b32 v206, v2, v170 offset:4
	s_wait_loadcnt 0x0
	ds_bpermute_b32 v205, v2, v171
	ds_bpermute_b32 v209, v2, v170 offset:8
	ds_bpermute_b32 v207, v2, v171 offset:4
	ds_bpermute_b32 v211, v2, v170 offset:12
	ds_bpermute_b32 v213, v2, v170 offset:16
	ds_bpermute_b32 v208, v2, v171 offset:8
	ds_bpermute_b32 v210, v2, v171 offset:12
	ds_bpermute_b32 v215, v2, v170 offset:20
	ds_bpermute_b32 v212, v2, v171 offset:16
	ds_bpermute_b32 v217, v2, v170 offset:24
	ds_bpermute_b32 v214, v2, v171 offset:20
	ds_bpermute_b32 v219, v2, v170 offset:28
	ds_bpermute_b32 v221, v2, v170 offset:32
	ds_bpermute_b32 v223, v2, v170 offset:36
	ds_bpermute_b32 v216, v2, v171 offset:24
	ds_bpermute_b32 v225, v2, v170 offset:40
	ds_bpermute_b32 v218, v2, v171 offset:28
	ds_bpermute_b32 v220, v2, v171 offset:32
	s_wait_dscnt 0x13
	v_dual_sub_f32 v173, v173, v204 :: v_dual_mov_b32 v204, v4
	s_wait_dscnt 0x12
	v_sub_f32_e32 v206, v174, v206
	ds_bpermute_b32 v222, v2, v171 offset:36
	ds_bpermute_b32 v224, v2, v171 offset:40
	v_dual_mul_f32 v173, v4, v173 :: v_dual_mov_b32 v4, v5
	s_wait_dscnt 0x12
	v_dual_mov_b32 v174, v6 :: v_dual_sub_f32 v3, v3, v209
	v_mul_f32_e32 v5, v5, v206
	s_delay_alu instid0(VALU_DEP_3) | instskip(SKIP_3) | instid1(VALU_DEP_2)
	v_dual_mul_f32 v205, v173, v205 :: v_dual_mov_b32 v206, v7
	s_wait_dscnt 0xf
	v_dual_sub_f32 v173, v176, v211 :: v_dual_sub_f32 v176, v175, v213
	v_dual_mul_f32 v3, v6, v3 :: v_dual_mov_b32 v6, v8
	v_dual_mul_f32 v5, v5, v207 :: v_dual_mul_f32 v7, v7, v173
	s_set_vgpr_msb 1                        ;  msbs: dst=0 src0=1 src1=0 src2=0
	v_pk_add_f32 v[204:205], v[36:37] /*v[292:293]*/, v[204:205]
	s_wait_dscnt 0xe
	s_set_vgpr_msb 0                        ;  msbs: dst=0 src0=0 src1=0 src2=0
	v_mul_f32_e32 v175, v3, v208
	s_wait_dscnt 0xc
	v_dual_sub_f32 v3, v179, v215 :: v_dual_mul_f32 v173, v8, v176
	v_dual_mul_f32 v207, v7, v210 :: v_dual_mov_b32 v8, v10
	v_pk_add_f32 v[4:5], v[4:5], v[204:205]
	s_delay_alu instid0(VALU_DEP_3)
	v_dual_mov_b32 v204, v9 :: v_dual_mul_f32 v3, v9, v3
	s_wait_dscnt 0x8
	v_sub_f32_e32 v9, v181, v219
	ds_bpermute_b32 v176, v2, v171 offset:48
	v_pk_add_f32 v[4:5], v[174:175], v[4:5]
	v_dual_sub_f32 v174, v178, v217 :: v_dual_mul_f32 v7, v173, v212
	s_wait_dscnt 0x8
	v_dual_mul_f32 v205, v3, v214 :: v_dual_sub_f32 v3, v180, v221
	s_delay_alu instid0(VALU_DEP_3) | instskip(NEXT) | instid1(VALU_DEP_3)
	v_pk_add_f32 v[4:5], v[206:207], v[4:5]
	v_mul_f32_e32 v10, v10, v174
	ds_bpermute_b32 v173, v2, v170 offset:44
	ds_bpermute_b32 v175, v2, v170 offset:48
	s_mov_b32 s20, 0
	v_pk_add_f32 v[4:5], v[6:7], v[4:5]
	s_wait_dscnt 0x9
	v_sub_f32_e32 v6, v183, v223
	s_wait_dscnt 0x8
	v_dual_mul_f32 v7, v11, v9 :: v_dual_mul_f32 v9, v10, v216
	s_wait_dscnt 0x7
	v_dual_sub_f32 v10, v182, v225 :: v_dual_mul_f32 v3, v12, v3
	v_pk_add_f32 v[4:5], v[204:205], v[4:5]
	v_dual_mul_f32 v174, v13, v6 :: v_dual_mov_b32 v6, v11
	s_wait_dscnt 0x6
	v_mul_f32_e32 v7, v7, v218
	s_delay_alu instid0(VALU_DEP_3)
	v_pk_add_f32 v[4:5], v[8:9], v[4:5]
	s_wait_dscnt 0x4
	v_dual_mul_f32 v9, v3, v220 :: v_dual_mul_f32 v11, v174, v222
	v_mov_b32_e32 v8, v12
	ds_bpermute_b32 v12, v2, v170 offset:52
	ds_bpermute_b32 v174, v2, v170 offset:56
	v_dual_mul_f32 v3, v14, v10 :: v_dual_mov_b32 v10, v13
	v_pk_add_f32 v[4:5], v[6:7], v[4:5]
	ds_bpermute_b32 v13, v2, v171 offset:44
	s_wait_dscnt 0x6
	v_dual_mov_b32 v6, v14 :: v_dual_mul_f32 v7, v3, v224
	ds_bpermute_b32 v3, v2, v170 offset:60
	v_pk_add_f32 v[4:5], v[8:9], v[4:5]
	s_wait_dscnt 0x5
	v_sub_f32_e32 v8, v185, v173
	ds_bpermute_b32 v14, v2, v170 offset:64
	s_wait_dscnt 0x5
	v_sub_f32_e32 v9, v184, v175
	ds_bpermute_b32 v175, v2, v170 offset:72
	v_pk_add_f32 v[4:5], v[10:11], v[4:5]
	ds_bpermute_b32 v10, v2, v171 offset:52
	ds_bpermute_b32 v11, v2, v171 offset:56
	v_dual_mul_f32 v8, v15, v8 :: v_dual_mul_f32 v9, v16, v9
	v_pk_add_f32 v[4:5], v[6:7], v[4:5]
	s_wait_dscnt 0x6
	v_dual_sub_f32 v12, v187, v12 :: v_dual_sub_f32 v173, v186, v174
	v_mov_b32_e32 v6, v15
	ds_bpermute_b32 v15, v2, v171 offset:64
	s_wait_dscnt 0x6
	v_dual_mul_f32 v9, v9, v176 :: v_dual_mul_f32 v7, v8, v13
	v_dual_mul_f32 v12, v17, v12 :: v_dual_mul_f32 v13, v18, v173
	ds_bpermute_b32 v173, v2, v171 offset:60
	ds_bpermute_b32 v174, v2, v170 offset:68
	s_wait_dscnt 0x7
	v_sub_f32_e32 v3, v189, v3
	v_pk_add_f32 v[4:5], v[6:7], v[4:5]
	v_dual_mov_b32 v8, v16 :: v_dual_mov_b32 v6, v17
	ds_bpermute_b32 v16, v2, v170 offset:80
	s_wait_dscnt 0x5
	v_dual_mul_f32 v7, v12, v10 :: v_dual_mul_f32 v3, v19, v3
	s_wait_dscnt 0x4
	v_dual_mul_f32 v11, v13, v11 :: v_dual_sub_f32 v10, v188, v14
	v_pk_add_f32 v[4:5], v[8:9], v[4:5]
	ds_bpermute_b32 v12, v2, v170 offset:76
	ds_bpermute_b32 v13, v2, v171 offset:68
	;; [unrolled: 1-line block ×3, first 2 shown]
	v_dual_mul_f32 v8, v20, v10 :: v_dual_mov_b32 v10, v18
	v_pk_add_f32 v[4:5], v[6:7], v[4:5]
	ds_bpermute_b32 v17, v2, v171 offset:80
	ds_bpermute_b32 v18, v2, v170 offset:116
	s_wait_dscnt 0x7
	v_dual_mul_f32 v7, v3, v173 :: v_dual_mul_f32 v9, v8, v15
	v_pk_add_f32 v[4:5], v[10:11], v[4:5]
	ds_bpermute_b32 v11, v2, v171 offset:76
	ds_bpermute_b32 v15, v2, v170 offset:84
	s_wait_dscnt 0x8
	v_dual_sub_f32 v3, v191, v174 :: v_dual_sub_f32 v10, v190, v175
	v_dual_mov_b32 v6, v19 :: v_dual_mov_b32 v8, v20
	s_delay_alu instid0(VALU_DEP_2) | instskip(NEXT) | instid1(VALU_DEP_2)
	v_dual_mul_f32 v3, v21, v3 :: v_dual_mul_f32 v10, v22, v10
	v_pk_add_f32 v[4:5], v[6:7], v[4:5]
	s_wait_dscnt 0x6
	v_sub_f32_e32 v12, v193, v12
	s_wait_dscnt 0x5
	v_dual_mov_b32 v6, v21 :: v_dual_mul_f32 v7, v3, v13
	ds_bpermute_b32 v13, v2, v170 offset:88
	v_pk_add_f32 v[4:5], v[8:9], v[4:5]
	s_wait_dscnt 0x5
	v_dual_mul_f32 v9, v10, v14 :: v_dual_mul_f32 v3, v23, v12
	v_dual_mov_b32 v8, v22 :: v_dual_sub_f32 v10, v192, v16
	ds_bpermute_b32 v12, v2, v171 offset:84
	ds_bpermute_b32 v14, v2, v170 offset:92
	v_pk_add_f32 v[4:5], v[6:7], v[4:5]
	s_wait_dscnt 0x4
	v_dual_mul_f32 v7, v3, v11 :: v_dual_mul_f32 v3, v24, v10
	s_wait_dscnt 0x3
	v_sub_f32_e32 v10, v195, v15
	ds_bpermute_b32 v11, v2, v170 offset:96
	v_pk_add_f32 v[4:5], v[8:9], v[4:5]
	v_mov_b32_e32 v6, v23
	v_dual_mul_f32 v9, v3, v17 :: v_dual_mov_b32 v8, v24
	v_mul_f32_e32 v3, v25, v10
	ds_bpermute_b32 v10, v2, v171 offset:88
	ds_bpermute_b32 v15, v2, v171 offset:92
	;; [unrolled: 1-line block ×3, first 2 shown]
	v_pk_add_f32 v[4:5], v[6:7], v[4:5]
	ds_bpermute_b32 v17, v2, v170 offset:108
	s_wait_dscnt 0x6
	v_dual_mul_f32 v7, v3, v12 :: v_dual_sub_f32 v3, v194, v13
	v_pk_add_f32 v[4:5], v[8:9], v[4:5]
	s_wait_dscnt 0x5
	v_sub_f32_e32 v8, v197, v14
	ds_bpermute_b32 v12, v2, v171 offset:96
	ds_bpermute_b32 v13, v2, v170 offset:104
	;; [unrolled: 1-line block ×3, first 2 shown]
	v_dual_mul_f32 v3, v26, v3 :: v_dual_mov_b32 v6, v25
	s_wait_dscnt 0x7
	v_dual_mul_f32 v8, v27, v8 :: v_dual_sub_f32 v11, v196, v11
	s_delay_alu instid0(VALU_DEP_2) | instskip(SKIP_1) | instid1(VALU_DEP_2)
	v_pk_add_f32 v[4:5], v[6:7], v[4:5]
	s_wait_dscnt 0x5
	v_dual_mul_f32 v7, v3, v10 :: v_dual_mul_f32 v9, v8, v15
	s_delay_alu instid0(VALU_DEP_3)
	v_dual_mov_b32 v6, v26 :: v_dual_mul_f32 v3, v28, v11
	s_wait_dscnt 0x4
	v_sub_f32_e32 v10, v199, v16
	ds_bpermute_b32 v11, v2, v170 offset:112
	ds_bpermute_b32 v15, v2, v171 offset:104
	;; [unrolled: 1-line block ×3, first 2 shown]
	v_pk_add_f32 v[4:5], v[6:7], v[4:5]
	v_dual_mov_b32 v8, v27 :: v_dual_mul_f32 v10, v29, v10
	s_wait_dscnt 0x4
	v_dual_mul_f32 v7, v3, v12 :: v_dual_sub_f32 v3, v198, v13
	v_mov_b32_e32 v6, v28
	s_delay_alu instid0(VALU_DEP_3)
	v_pk_add_f32 v[4:5], v[8:9], v[4:5]
	s_wait_dscnt 0x3
	v_mul_f32_e32 v9, v10, v14
	ds_bpermute_b32 v10, v2, v171 offset:112
	v_dual_sub_f32 v12, v201, v17 :: v_dual_mul_f32 v3, v30, v3
	ds_bpermute_b32 v13, v2, v170 offset:120
	v_pk_add_f32 v[4:5], v[6:7], v[4:5]
	v_dual_mov_b32 v8, v29 :: v_dual_mul_f32 v12, v31, v12
	ds_bpermute_b32 v14, v2, v171 offset:116
	s_wait_dscnt 0x5
	v_dual_mov_b32 v6, v30 :: v_dual_sub_f32 v11, v200, v11
	s_wait_dscnt 0x4
	v_mul_f32_e32 v7, v3, v15
	v_pk_add_f32 v[4:5], v[8:9], v[4:5]
	s_wait_dscnt 0x3
	v_mul_f32_e32 v9, v12, v16
	ds_bpermute_b32 v12, v2, v171 offset:120
	v_dual_mul_f32 v3, v32, v11 :: v_dual_sub_f32 v11, v203, v18
	v_pk_add_f32 v[4:5], v[6:7], v[4:5]
	v_dual_mov_b32 v8, v31 :: v_dual_mov_b32 v6, v32
	s_wait_dscnt 0x3
	s_delay_alu instid0(VALU_DEP_3) | instskip(NEXT) | instid1(VALU_DEP_2)
	v_dual_mul_f32 v7, v3, v10 :: v_dual_mul_f32 v10, v33, v11
	v_pk_add_f32 v[8:9], v[8:9], v[4:5]
	s_wait_dscnt 0x2
	v_sub_f32_e32 v5, v202, v13
	ds_bpermute_b32 v3, v2, v171 offset:124
	ds_bpermute_b32 v4, v2, v170 offset:124
	s_wait_dscnt 0x3
	v_mul_f32_e32 v11, v10, v14
	v_pk_add_f32 v[6:7], v[6:7], v[8:9]
	v_dual_mov_b32 v10, v33 :: v_dual_mul_f32 v5, v34, v5
	s_wait_dscnt 0x2
	s_delay_alu instid0(VALU_DEP_1) | instskip(NEXT) | instid1(VALU_DEP_2)
	v_dual_mov_b32 v8, v34 :: v_dual_mul_f32 v9, v5, v12
	v_pk_add_f32 v[6:7], v[10:11], v[6:7]
	s_delay_alu instid0(VALU_DEP_1)
	v_pk_add_f32 v[170:171], v[8:9], v[6:7]
.LBB84_73:                              ;   in Loop: Header=BB84_5 Depth=1
	s_and_b32 vcc_lo, exec_lo, s20
	s_cbranch_vccz .LBB84_4
; %bb.74:                               ;   in Loop: Header=BB84_5 Depth=1
	s_load_b32 s20, s[22:23], 0x0
	v_mov_b32_e32 v170, 0
	s_wait_kmcnt 0x0
	s_cmp_lt_u32 s16, s20
	s_cselect_b32 s20, 12, 18
	s_delay_alu instid0(SALU_CYCLE_1)
	s_add_nc_u64 s[34:35], s[22:23], s[20:21]
	s_load_u16 s20, s[34:35], 0x0
	s_wait_dscnt 0x1
	s_wait_kmcnt 0x0
	v_mad_u32_u24 v3, v1, s20, v172
	v_mov_b32_e32 v5, v2
	s_mov_b32 s20, exec_lo
	s_wait_dscnt 0x0
	s_delay_alu instid0(VALU_DEP_2) | instskip(NEXT) | instid1(VALU_DEP_1)
	v_and_b32_e32 v4, 31, v3
	v_add_nc_u64_e32 v[4:5], v[168:169], v[4:5]
	v_dual_mov_b32 v169, 0 :: v_dual_mov_b32 v168, 0
	s_delay_alu instid0(VALU_DEP_2)
	v_cmpx_gt_i64_e64 s[4:5], v[4:5]
	s_cbranch_execz .LBB84_76
; %bb.75:                               ;   in Loop: Header=BB84_5 Depth=1
	v_lshlrev_b64_e32 v[4:5], 2, v[4:5]
	s_delay_alu instid0(VALU_DEP_1)
	v_add_nc_u64_e32 v[6:7], s[12:13], v[4:5]
	v_add_nc_u64_e32 v[4:5], s[14:15], v[4:5]
	global_load_b32 v168, v[6:7], off
	global_load_b32 v169, v[4:5], off
.LBB84_76:                              ;   in Loop: Header=BB84_5 Depth=1
	s_wait_xcnt 0x0
	s_or_b32 exec_lo, exec_lo, s20
	v_dual_mov_b32 v31, v2 :: v_dual_mov_b32 v32, v2
	v_dual_mov_b32 v33, v2 :: v_dual_mov_b32 v3, v2
	;; [unrolled: 1-line block ×15, first 2 shown]
	v_mov_b32_e32 v30, v2
	v_mov_b64_e32 v[34:35], v[32:33]
	s_delay_alu instid0(VALU_DEP_2) | instskip(NEXT) | instid1(VALU_DEP_4)
	v_mov_b64_e32 v[32:33], v[30:31]
	v_mov_b64_e32 v[30:31], v[28:29]
	;; [unrolled: 1-line block ×15, first 2 shown]
	s_and_saveexec_b32 s20, s2
	s_cbranch_execz .LBB84_78
; %bb.77:                               ;   in Loop: Header=BB84_5 Depth=1
	v_add_nc_u64_e32 v[4:5], v[40:41], v[38:39]
	v_add_nc_u64_e32 v[6:7], v[42:43], v[38:39]
	v_dual_mov_b32 v9, v2 :: v_dual_mov_b32 v10, v2
	v_dual_mov_b32 v11, v2 :: v_dual_mov_b32 v12, v2
	;; [unrolled: 1-line block ×3, first 2 shown]
	global_load_u16 v3, v[4:5], off
	global_load_u16 v170, v[6:7], off
	s_wait_xcnt 0x0
	v_dual_mov_b32 v5, v2 :: v_dual_mov_b32 v6, v2
	v_dual_mov_b32 v7, v2 :: v_dual_mov_b32 v8, v2
	;; [unrolled: 1-line block ×12, first 2 shown]
	v_mov_b32_e32 v35, v2
	s_wait_loadcnt 0x1
	v_cvt_f32_f16_e32 v4, v3
	s_wait_loadcnt 0x0
	v_cvt_f32_f16_e64 v170, v170
.LBB84_78:                              ;   in Loop: Header=BB84_5 Depth=1
	s_or_b32 exec_lo, exec_lo, s20
	v_dual_mov_b32 v3, 0 :: v_dual_mov_b32 v171, 0
	s_and_saveexec_b32 s20, s2
	s_cbranch_execz .LBB84_80
; %bb.79:                               ;   in Loop: Header=BB84_5 Depth=1
	v_add_nc_u64_e32 v[174:175], v[164:165], v[38:39]
	v_add_nc_u64_e32 v[176:177], v[166:167], v[38:39]
	global_load_u16 v5, v[174:175], off
	global_load_u16 v171, v[176:177], off
	s_wait_loadcnt 0x1
	v_cvt_f32_f16_e32 v5, v5
	s_wait_loadcnt 0x0
	v_cvt_f32_f16_e64 v171, v171
.LBB84_80:                              ;   in Loop: Header=BB84_5 Depth=1
	s_or_b32 exec_lo, exec_lo, s20
	s_and_saveexec_b32 s20, s2
	s_cbranch_execz .LBB84_82
; %bb.81:                               ;   in Loop: Header=BB84_5 Depth=1
	v_add_nc_u64_e32 v[174:175], v[160:161], v[38:39]
	v_add_nc_u64_e32 v[176:177], v[162:163], v[38:39]
	global_load_u16 v3, v[174:175], off
	global_load_u16 v173, v[176:177], off
	s_wait_loadcnt 0x1
	v_cvt_f32_f16_e32 v6, v3
	s_wait_loadcnt 0x0
	v_cvt_f32_f16_e64 v3, v173
.LBB84_82:                              ;   in Loop: Header=BB84_5 Depth=1
	s_or_b32 exec_lo, exec_lo, s20
	v_dual_mov_b32 v173, 0 :: v_dual_mov_b32 v174, 0
	s_and_saveexec_b32 s20, s2
	s_cbranch_execz .LBB84_84
; %bb.83:                               ;   in Loop: Header=BB84_5 Depth=1
	v_add_nc_u64_e32 v[174:175], v[156:157], v[38:39]
	v_add_nc_u64_e32 v[176:177], v[158:159], v[38:39]
	global_load_u16 v7, v[174:175], off
	global_load_u16 v178, v[176:177], off
	s_wait_loadcnt 0x1
	v_cvt_f32_f16_e32 v7, v7
	s_wait_loadcnt 0x0
	v_cvt_f32_f16_e64 v174, v178
.LBB84_84:                              ;   in Loop: Header=BB84_5 Depth=1
	s_or_b32 exec_lo, exec_lo, s20
	s_and_saveexec_b32 s20, s2
	s_cbranch_execz .LBB84_86
; %bb.85:                               ;   in Loop: Header=BB84_5 Depth=1
	v_add_nc_u64_e32 v[176:177], v[152:153], v[38:39]
	v_add_nc_u64_e32 v[178:179], v[154:155], v[38:39]
	global_load_u16 v8, v[176:177], off
	global_load_u16 v173, v[178:179], off
	s_wait_loadcnt 0x1
	v_cvt_f32_f16_e32 v8, v8
	s_wait_loadcnt 0x0
	v_cvt_f32_f16_e64 v173, v173
.LBB84_86:                              ;   in Loop: Header=BB84_5 Depth=1
	s_or_b32 exec_lo, exec_lo, s20
	v_dual_mov_b32 v175, 0 :: v_dual_mov_b32 v176, 0
	s_and_saveexec_b32 s20, s2
	s_cbranch_execz .LBB84_88
; %bb.87:                               ;   in Loop: Header=BB84_5 Depth=1
	v_add_nc_u64_e32 v[176:177], v[148:149], v[38:39]
	v_add_nc_u64_e32 v[178:179], v[150:151], v[38:39]
	global_load_u16 v9, v[176:177], off
	global_load_u16 v180, v[178:179], off
	s_wait_loadcnt 0x1
	v_cvt_f32_f16_e32 v9, v9
	s_wait_loadcnt 0x0
	v_cvt_f32_f16_e64 v176, v180
.LBB84_88:                              ;   in Loop: Header=BB84_5 Depth=1
	s_or_b32 exec_lo, exec_lo, s20
	s_and_saveexec_b32 s20, s2
	s_cbranch_execz .LBB84_90
; %bb.89:                               ;   in Loop: Header=BB84_5 Depth=1
	v_add_nc_u64_e32 v[178:179], v[144:145], v[38:39]
	v_add_nc_u64_e32 v[180:181], v[146:147], v[38:39]
	global_load_u16 v10, v[178:179], off
	global_load_u16 v175, v[180:181], off
	s_wait_loadcnt 0x1
	v_cvt_f32_f16_e32 v10, v10
	s_wait_loadcnt 0x0
	v_cvt_f32_f16_e64 v175, v175
.LBB84_90:                              ;   in Loop: Header=BB84_5 Depth=1
	s_or_b32 exec_lo, exec_lo, s20
	v_dual_mov_b32 v178, 0 :: v_dual_mov_b32 v179, 0
	s_and_saveexec_b32 s20, s2
	s_cbranch_execz .LBB84_92
; %bb.91:                               ;   in Loop: Header=BB84_5 Depth=1
	v_add_nc_u64_e32 v[180:181], v[140:141], v[38:39]
	v_add_nc_u64_e32 v[182:183], v[142:143], v[38:39]
	global_load_u16 v11, v[180:181], off
	global_load_u16 v177, v[182:183], off
	s_wait_loadcnt 0x1
	v_cvt_f32_f16_e32 v11, v11
	s_wait_loadcnt 0x0
	v_cvt_f32_f16_e64 v179, v177
.LBB84_92:                              ;   in Loop: Header=BB84_5 Depth=1
	s_or_b32 exec_lo, exec_lo, s20
	s_and_saveexec_b32 s20, s2
	s_cbranch_execz .LBB84_94
; %bb.93:                               ;   in Loop: Header=BB84_5 Depth=1
	v_add_nc_u64_e32 v[180:181], v[136:137], v[38:39]
	v_add_nc_u64_e32 v[182:183], v[138:139], v[38:39]
	global_load_u16 v12, v[180:181], off
	global_load_u16 v177, v[182:183], off
	s_wait_loadcnt 0x1
	v_cvt_f32_f16_e32 v12, v12
	s_wait_loadcnt 0x0
	v_cvt_f32_f16_e64 v178, v177
.LBB84_94:                              ;   in Loop: Header=BB84_5 Depth=1
	s_or_b32 exec_lo, exec_lo, s20
	v_dual_mov_b32 v180, 0 :: v_dual_mov_b32 v181, 0
	s_and_saveexec_b32 s20, s2
	s_cbranch_execz .LBB84_96
; %bb.95:                               ;   in Loop: Header=BB84_5 Depth=1
	v_add_nc_u64_e32 v[182:183], v[132:133], v[38:39]
	v_add_nc_u64_e32 v[184:185], v[134:135], v[38:39]
	global_load_u16 v13, v[182:183], off
	global_load_u16 v177, v[184:185], off
	s_wait_loadcnt 0x1
	v_cvt_f32_f16_e32 v13, v13
	s_wait_loadcnt 0x0
	v_cvt_f32_f16_e64 v181, v177
.LBB84_96:                              ;   in Loop: Header=BB84_5 Depth=1
	s_or_b32 exec_lo, exec_lo, s20
	s_and_saveexec_b32 s20, s2
	s_cbranch_execz .LBB84_98
; %bb.97:                               ;   in Loop: Header=BB84_5 Depth=1
	v_add_nc_u64_e32 v[182:183], v[128:129], v[38:39]
	v_add_nc_u64_e32 v[184:185], v[130:131], v[38:39]
	global_load_u16 v14, v[182:183], off
	global_load_u16 v177, v[184:185], off
	s_wait_loadcnt 0x1
	v_cvt_f32_f16_e32 v14, v14
	s_wait_loadcnt 0x0
	v_cvt_f32_f16_e64 v180, v177
.LBB84_98:                              ;   in Loop: Header=BB84_5 Depth=1
	s_or_b32 exec_lo, exec_lo, s20
	v_dual_mov_b32 v182, 0 :: v_dual_mov_b32 v183, 0
	s_and_saveexec_b32 s20, s2
	s_cbranch_execz .LBB84_100
; %bb.99:                               ;   in Loop: Header=BB84_5 Depth=1
	v_add_nc_u64_e32 v[184:185], v[124:125], v[38:39]
	v_add_nc_u64_e32 v[186:187], v[126:127], v[38:39]
	global_load_u16 v15, v[184:185], off
	global_load_u16 v177, v[186:187], off
	s_wait_loadcnt 0x1
	v_cvt_f32_f16_e32 v15, v15
	s_wait_loadcnt 0x0
	v_cvt_f32_f16_e64 v183, v177
.LBB84_100:                             ;   in Loop: Header=BB84_5 Depth=1
	s_or_b32 exec_lo, exec_lo, s20
	s_and_saveexec_b32 s20, s2
	s_cbranch_execz .LBB84_102
; %bb.101:                              ;   in Loop: Header=BB84_5 Depth=1
	v_add_nc_u64_e32 v[184:185], v[120:121], v[38:39]
	v_add_nc_u64_e32 v[186:187], v[122:123], v[38:39]
	global_load_u16 v16, v[184:185], off
	global_load_u16 v177, v[186:187], off
	s_wait_loadcnt 0x1
	v_cvt_f32_f16_e32 v16, v16
	s_wait_loadcnt 0x0
	v_cvt_f32_f16_e64 v182, v177
.LBB84_102:                             ;   in Loop: Header=BB84_5 Depth=1
	s_or_b32 exec_lo, exec_lo, s20
	v_dual_mov_b32 v184, 0 :: v_dual_mov_b32 v185, 0
	s_and_saveexec_b32 s20, s2
	s_cbranch_execz .LBB84_104
; %bb.103:                              ;   in Loop: Header=BB84_5 Depth=1
	v_add_nc_u64_e32 v[186:187], v[116:117], v[38:39]
	v_add_nc_u64_e32 v[188:189], v[118:119], v[38:39]
	global_load_u16 v17, v[186:187], off
	global_load_u16 v177, v[188:189], off
	s_wait_loadcnt 0x1
	v_cvt_f32_f16_e32 v17, v17
	s_wait_loadcnt 0x0
	v_cvt_f32_f16_e64 v185, v177
.LBB84_104:                             ;   in Loop: Header=BB84_5 Depth=1
	s_or_b32 exec_lo, exec_lo, s20
	s_and_saveexec_b32 s20, s2
	s_cbranch_execz .LBB84_106
; %bb.105:                              ;   in Loop: Header=BB84_5 Depth=1
	v_add_nc_u64_e32 v[186:187], v[112:113], v[38:39]
	v_add_nc_u64_e32 v[188:189], v[114:115], v[38:39]
	global_load_u16 v18, v[186:187], off
	global_load_u16 v177, v[188:189], off
	s_wait_loadcnt 0x1
	v_cvt_f32_f16_e32 v18, v18
	s_wait_loadcnt 0x0
	v_cvt_f32_f16_e64 v184, v177
.LBB84_106:                             ;   in Loop: Header=BB84_5 Depth=1
	s_or_b32 exec_lo, exec_lo, s20
	v_dual_mov_b32 v186, 0 :: v_dual_mov_b32 v187, 0
	s_and_saveexec_b32 s20, s2
	s_cbranch_execz .LBB84_108
; %bb.107:                              ;   in Loop: Header=BB84_5 Depth=1
	v_add_nc_u64_e32 v[188:189], v[108:109], v[38:39]
	v_add_nc_u64_e32 v[190:191], v[110:111], v[38:39]
	global_load_u16 v19, v[188:189], off
	global_load_u16 v177, v[190:191], off
	s_wait_loadcnt 0x1
	v_cvt_f32_f16_e32 v19, v19
	s_wait_loadcnt 0x0
	v_cvt_f32_f16_e64 v187, v177
.LBB84_108:                             ;   in Loop: Header=BB84_5 Depth=1
	;; [unrolled: 27-line block ×8, first 2 shown]
	s_or_b32 exec_lo, exec_lo, s20
	s_and_saveexec_b32 s20, s2
	s_cbranch_execz .LBB84_134
; %bb.133:                              ;   in Loop: Header=BB84_5 Depth=1
	v_add_nc_u64_e32 v[200:201], v[56:57], v[38:39]
	v_add_nc_u64_e32 v[202:203], v[58:59], v[38:39]
	global_load_u16 v32, v[200:201], off
	global_load_u16 v177, v[202:203], off
	s_wait_loadcnt 0x1
	v_cvt_f32_f16_e32 v32, v32
	s_wait_loadcnt 0x0
	v_cvt_f32_f16_e64 v198, v177
.LBB84_134:                             ;   in Loop: Header=BB84_5 Depth=1
	s_or_b32 exec_lo, exec_lo, s20
	v_dual_mov_b32 v200, 0 :: v_dual_mov_b32 v201, 0
	s_and_saveexec_b32 s20, s2
	s_cbranch_execnz .LBB84_137
; %bb.135:                              ;   in Loop: Header=BB84_5 Depth=1
	s_or_b32 exec_lo, exec_lo, s20
	s_and_saveexec_b32 s20, s2
	s_cbranch_execnz .LBB84_138
.LBB84_136:                             ;   in Loop: Header=BB84_5 Depth=1
	s_or_b32 exec_lo, exec_lo, s20
	v_mov_b32_e32 v177, 0
	s_and_saveexec_b32 s20, s2
	s_cbranch_execz .LBB84_3
	s_branch .LBB84_139
.LBB84_137:                             ;   in Loop: Header=BB84_5 Depth=1
	v_add_nc_u64_e32 v[202:203], v[52:53], v[38:39]
	v_add_nc_u64_e32 v[204:205], v[54:55], v[38:39]
	global_load_u16 v33, v[202:203], off
	global_load_u16 v177, v[204:205], off
	s_wait_loadcnt 0x1
	v_cvt_f32_f16_e32 v33, v33
	s_wait_loadcnt 0x0
	v_cvt_f32_f16_e64 v201, v177
	s_or_b32 exec_lo, exec_lo, s20
	s_and_saveexec_b32 s20, s2
	s_cbranch_execz .LBB84_136
.LBB84_138:                             ;   in Loop: Header=BB84_5 Depth=1
	v_add_nc_u64_e32 v[202:203], v[48:49], v[38:39]
	v_add_nc_u64_e32 v[204:205], v[50:51], v[38:39]
	global_load_u16 v34, v[202:203], off
	global_load_u16 v177, v[204:205], off
	s_wait_loadcnt 0x1
	v_cvt_f32_f16_e32 v34, v34
	s_wait_loadcnt 0x0
	v_cvt_f32_f16_e64 v200, v177
	s_or_b32 exec_lo, exec_lo, s20
	v_mov_b32_e32 v177, 0
	s_and_saveexec_b32 s20, s2
	s_cbranch_execz .LBB84_3
.LBB84_139:                             ;   in Loop: Header=BB84_5 Depth=1
	v_add_nc_u64_e32 v[202:203], v[44:45], v[38:39]
	v_add_nc_u64_e32 v[204:205], v[46:47], v[38:39]
	global_load_u16 v35, v[202:203], off
	global_load_u16 v177, v[204:205], off
	s_wait_loadcnt 0x1
	v_cvt_f32_f16_e32 v35, v35
	s_wait_loadcnt 0x0
	v_cvt_f32_f16_e64 v177, v177
	s_branch .LBB84_3
.LBB84_140:
                                        ; implicit-def: $vgpr292_vgpr293
	s_branch .LBB84_143
.LBB84_141:
	s_set_vgpr_msb 64                       ;  msbs: dst=1 src0=0 src1=0 src2=0
	v_mov_b64_e32 v[36:37] /*v[292:293]*/, 0
.LBB84_142:
	s_set_vgpr_msb 0                        ;  msbs: dst=0 src0=0 src1=0 src2=0
	s_cbranch_execnz .LBB84_219
.LBB84_143:
	s_and_not1_b32 vcc_lo, exec_lo, s17
	s_cbranch_vccnz .LBB84_218
; %bb.144:
	v_bfe_u32 v1, v0, 10, 10
	v_mov_b32_e32 v2, 0
	s_set_vgpr_msb 64                       ;  msbs: dst=1 src0=0 src1=0 src2=0
	v_and_b32_e32 v42 /*v298*/, 0x3ff, v0
	s_load_b32 s2, s[0:1], 0x44
	s_add_nc_u64 s[20:21], s[0:1], 64
	s_set_vgpr_msb 0                        ;  msbs: dst=0 src0=0 src1=0 src2=0
	v_dual_mov_b32 v5, v2 :: v_dual_lshlrev_b32 v4, 6, v1
	v_dual_mov_b32 v145, v2 :: v_dual_lshlrev_b32 v144, 5, v1
	s_set_vgpr_msb 64                       ;  msbs: dst=1 src0=0 src1=0 src2=0
	v_dual_mov_b32 v38 /*v294*/, 0 :: v_dual_mov_b32 v39 /*v295*/, v2
	s_set_vgpr_msb 0                        ;  msbs: dst=0 src0=0 src1=0 src2=0
	v_lshl_add_u64 v[4:5], s[18:19], 1, v[4:5]
	s_delay_alu instid0(VALU_DEP_1)
	v_add_nc_u64_e32 v[6:7], 2, v[4:5]
	v_add_nc_u64_e32 v[8:9], 4, v[4:5]
	;; [unrolled: 1-line block ×7, first 2 shown]
	v_mad_nc_u64_u32 v[36:37], s6, v6, s[8:9]
	v_mul_lo_u32 v3, s6, v7
	v_mul_lo_u32 v7, s7, v6
	v_mad_nc_u64_u32 v[38:39], s6, v6, s[10:11]
	v_mad_nc_u64_u32 v[40:41], s6, v8, s[8:9]
	v_mul_lo_u32 v6, s6, v9
	v_mul_lo_u32 v9, s7, v8
	v_mad_nc_u64_u32 v[44:45], s6, v8, s[10:11]
	;; [unrolled: 4-line block ×4, first 2 shown]
	v_mad_nc_u64_u32 v[52:53], s6, v14, s[8:9]
	v_mul_lo_u32 v12, s6, v15
	v_add3_u32 v37, v7, v37, v3
	v_add3_u32 v39, v7, v39, v3
	v_mul_lo_u32 v3, s7, v14
	v_mad_nc_u64_u32 v[54:55], s6, v14, s[10:11]
	v_add3_u32 v41, v9, v41, v6
	v_add3_u32 v45, v9, v45, v6
	v_add_nc_u64_e32 v[6:7], 16, v[4:5]
	v_mul_lo_u32 v14, s7, v16
	v_mad_nc_u64_u32 v[56:57], s6, v16, s[8:9]
	v_mad_nc_u64_u32 v[58:59], s6, v16, s[10:11]
	v_mul_lo_u32 v15, s6, v19
	v_mul_lo_u32 v16, s7, v18
	v_mad_nc_u64_u32 v[60:61], s6, v18, s[8:9]
	v_mad_nc_u64_u32 v[62:63], s6, v18, s[10:11]
	v_add3_u32 v43, v11, v43, v8
	v_add3_u32 v47, v11, v47, v8
	;; [unrolled: 1-line block ×6, first 2 shown]
	v_mul_lo_u32 v3, s6, v7
	v_mul_lo_u32 v12, s7, v6
	v_mad_nc_u64_u32 v[64:65], s6, v6, s[8:9]
	v_add_nc_u64_e32 v[10:11], 20, v[4:5]
	v_mad_nc_u64_u32 v[66:67], s6, v6, s[10:11]
	v_add_nc_u64_e32 v[6:7], 22, v[4:5]
	v_add3_u32 v61, v16, v61, v15
	v_add3_u32 v63, v16, v63, v15
	v_mul_lo_u32 v9, s6, v17
	s_wait_kmcnt 0x0
	s_lshl_b32 s22, s2, 5
	v_mul_lo_u32 v11, s6, v11
	v_mul_lo_u32 v15, s7, v10
	v_mad_nc_u64_u32 v[72:73], s6, v10, s[8:9]
	v_mad_nc_u64_u32 v[74:75], s6, v10, s[10:11]
	v_mul_lo_u32 v10, s6, v7
	v_mul_lo_u32 v16, s7, v6
	v_mad_nc_u64_u32 v[76:77], s6, v6, s[8:9]
	v_mad_nc_u64_u32 v[78:79], s6, v6, s[10:11]
	v_add_nc_u64_e32 v[6:7], 26, v[4:5]
	v_add3_u32 v65, v12, v65, v3
	v_add3_u32 v67, v12, v67, v3
	;; [unrolled: 1-line block ×6, first 2 shown]
	v_mul_lo_u32 v3, s6, v7
	v_mul_lo_u32 v12, s7, v6
	v_add3_u32 v77, v16, v77, v10
	v_add3_u32 v79, v16, v79, v10
	v_mad_nc_u64_u32 v[84:85], s6, v6, s[8:9]
	v_add_nc_u64_e32 v[10:11], 30, v[4:5]
	v_mad_nc_u64_u32 v[86:87], s6, v6, s[10:11]
	v_add_nc_u64_e32 v[6:7], 32, v[4:5]
	v_add_nc_u64_e32 v[8:9], 18, v[4:5]
	s_delay_alu instid0(VALU_DEP_4)
	v_mul_lo_u32 v11, s6, v11
	v_mul_lo_u32 v15, s7, v10
	v_mad_nc_u64_u32 v[92:93], s6, v10, s[8:9]
	v_mad_nc_u64_u32 v[94:95], s6, v10, s[10:11]
	v_mul_lo_u32 v10, s6, v7
	v_mul_lo_u32 v16, s7, v6
	v_mad_nc_u64_u32 v[96:97], s6, v6, s[8:9]
	v_mad_nc_u64_u32 v[98:99], s6, v6, s[10:11]
	v_add_nc_u64_e32 v[6:7], 36, v[4:5]
	v_add3_u32 v85, v12, v85, v3
	v_add3_u32 v87, v12, v87, v3
	v_mul_lo_u32 v13, s6, v9
	v_mul_lo_u32 v14, s7, v8
	v_add3_u32 v93, v15, v93, v11
	v_add3_u32 v95, v15, v95, v11
	v_mul_lo_u32 v3, s6, v7
	v_mul_lo_u32 v12, s7, v6
	v_add3_u32 v97, v16, v97, v10
	v_add3_u32 v99, v16, v99, v10
	v_mad_nc_u64_u32 v[104:105], s6, v6, s[8:9]
	v_add_nc_u64_e32 v[10:11], 40, v[4:5]
	v_mad_nc_u64_u32 v[106:107], s6, v6, s[10:11]
	v_add_nc_u64_e32 v[6:7], 42, v[4:5]
	v_mad_nc_u64_u32 v[68:69], s6, v8, s[8:9]
	v_mad_nc_u64_u32 v[70:71], s6, v8, s[10:11]
	v_add_nc_u64_e32 v[8:9], 24, v[4:5]
	v_mul_lo_u32 v11, s6, v11
	v_mul_lo_u32 v15, s7, v10
	v_mad_nc_u64_u32 v[112:113], s6, v10, s[8:9]
	v_mad_nc_u64_u32 v[114:115], s6, v10, s[10:11]
	v_mul_lo_u32 v10, s6, v7
	v_mul_lo_u32 v16, s7, v6
	v_mad_nc_u64_u32 v[116:117], s6, v6, s[8:9]
	v_mad_nc_u64_u32 v[118:119], s6, v6, s[10:11]
	v_mul_lo_u32 v17, s6, v9
	v_mul_lo_u32 v18, s7, v8
	v_mad_nc_u64_u32 v[80:81], s6, v8, s[8:9]
	v_mad_nc_u64_u32 v[82:83], s6, v8, s[10:11]
	v_add_nc_u64_e32 v[8:9], 28, v[4:5]
	v_add_nc_u64_e32 v[6:7], 46, v[4:5]
	v_add3_u32 v69, v14, v69, v13
	v_add3_u32 v71, v14, v71, v13
	v_add3_u32 v105, v12, v105, v3
	v_add3_u32 v107, v12, v107, v3
	v_add3_u32 v113, v15, v113, v11
	v_mul_lo_u32 v13, s6, v9
	v_mul_lo_u32 v14, s7, v8
	v_mad_nc_u64_u32 v[88:89], s6, v8, s[8:9]
	v_mad_nc_u64_u32 v[90:91], s6, v8, s[10:11]
	v_add_nc_u64_e32 v[8:9], 34, v[4:5]
	v_add3_u32 v115, v15, v115, v11
	v_add3_u32 v117, v16, v117, v10
	;; [unrolled: 1-line block ×3, first 2 shown]
	v_mul_lo_u32 v3, s6, v7
	v_mul_lo_u32 v12, s7, v6
	v_mad_nc_u64_u32 v[124:125], s6, v6, s[8:9]
	v_add_nc_u64_e32 v[10:11], 50, v[4:5]
	v_mad_nc_u64_u32 v[126:127], s6, v6, s[10:11]
	v_add_nc_u64_e32 v[6:7], 52, v[4:5]
	v_add3_u32 v81, v18, v81, v17
	v_add3_u32 v83, v18, v83, v17
	v_mul_lo_u32 v17, s6, v9
	v_mul_lo_u32 v18, s7, v8
	v_mad_nc_u64_u32 v[100:101], s6, v8, s[8:9]
	v_mad_nc_u64_u32 v[102:103], s6, v8, s[10:11]
	v_add_nc_u64_e32 v[8:9], 38, v[4:5]
	v_mul_lo_u32 v15, s7, v10
	v_mad_nc_u64_u32 v[132:133], s6, v10, s[8:9]
	v_mad_nc_u64_u32 v[134:135], s6, v10, s[10:11]
	v_mul_lo_u32 v10, s6, v7
	v_mul_lo_u32 v16, s7, v6
	v_mad_nc_u64_u32 v[136:137], s6, v6, s[8:9]
	v_mad_nc_u64_u32 v[138:139], s6, v6, s[10:11]
	v_add3_u32 v89, v14, v89, v13
	v_add3_u32 v91, v14, v91, v13
	v_mul_lo_u32 v13, s6, v9
	v_mul_lo_u32 v14, s7, v8
	v_mad_nc_u64_u32 v[108:109], s6, v8, s[8:9]
	v_mad_nc_u64_u32 v[110:111], s6, v8, s[10:11]
	v_add_nc_u64_e32 v[8:9], 44, v[4:5]
	v_add_nc_u64_e32 v[6:7], 56, v[4:5]
	v_add3_u32 v101, v18, v101, v17
	v_add3_u32 v103, v18, v103, v17
	;; [unrolled: 1-line block ×5, first 2 shown]
	v_mul_lo_u32 v17, s6, v9
	v_mul_lo_u32 v18, s7, v8
	v_mad_nc_u64_u32 v[120:121], s6, v8, s[8:9]
	v_mad_nc_u64_u32 v[122:123], s6, v8, s[10:11]
	v_add_nc_u64_e32 v[8:9], 48, v[4:5]
	v_add3_u32 v139, v16, v139, v10
	v_mul_lo_u32 v3, s6, v7
	v_mul_lo_u32 v16, s7, v6
	v_mad_nc_u64_u32 v[146:147], s6, v6, s[8:9]
	v_mad_nc_u64_u32 v[148:149], s6, v6, s[10:11]
	v_add3_u32 v109, v14, v109, v13
	v_add3_u32 v111, v14, v111, v13
	v_mul_lo_u32 v13, s6, v9
	v_mul_lo_u32 v14, s7, v8
	v_mad_nc_u64_u32 v[128:129], s6, v8, s[8:9]
	v_mad_nc_u64_u32 v[130:131], s6, v8, s[10:11]
	v_mul_lo_u32 v11, s6, v11
	v_add_nc_u64_e32 v[8:9], 54, v[4:5]
	v_add3_u32 v121, v18, v121, v17
	v_add3_u32 v147, v16, v147, v3
	v_add3_u32 v149, v16, v149, v3
	s_set_vgpr_msb 4                        ;  msbs: dst=0 src0=0 src1=1 src2=0
	v_add_nc_u32_e32 v16, s3, v42 /*v298*/
	s_set_vgpr_msb 0                        ;  msbs: dst=0 src0=0 src1=0 src2=0
	v_add_nc_u64_e32 v[6:7], s[18:19], v[144:145]
	v_add3_u32 v123, v18, v123, v17
	v_mul_lo_u32 v17, s6, v9
	v_mul_lo_u32 v18, s7, v8
	v_mad_nc_u64_u32 v[140:141], s6, v8, s[8:9]
	v_mad_nc_u64_u32 v[142:143], s6, v8, s[10:11]
	v_add_nc_u64_e32 v[8:9], 58, v[4:5]
	v_add3_u32 v129, v14, v129, v13
	v_add3_u32 v131, v14, v131, v13
	;; [unrolled: 1-line block ×4, first 2 shown]
	v_mul_u64_e32 v[14:15], s[6:7], v[6:7]
	v_add_nc_u64_e32 v[10:11], 60, v[4:5]
	v_mul_lo_u32 v19, s6, v9
	v_mul_lo_u32 v20, s7, v8
	v_mad_nc_u64_u32 v[150:151], s6, v8, s[8:9]
	v_mad_nc_u64_u32 v[152:153], s6, v8, s[10:11]
	v_add_nc_u64_e32 v[8:9], 31, v[6:7]
	v_add_nc_u64_e32 v[4:5], 62, v[4:5]
	v_mul_lo_u32 v21, s6, v11
	v_mul_lo_u32 v22, s7, v10
	v_add_nc_u64_e32 v[12:13], 30, v[6:7]
	v_mad_nc_u64_u32 v[154:155], s6, v10, s[8:9]
	v_mad_nc_u64_u32 v[156:157], s6, v10, s[10:11]
	v_mul_u64_e32 v[8:9], s[6:7], v[8:9]
	v_add_nc_u64_e32 v[10:11], 29, v[6:7]
	v_mul_lo_u32 v23, s6, v5
	v_mul_lo_u32 v24, s7, v4
	v_mul_u64_e32 v[12:13], s[6:7], v[12:13]
	v_mad_nc_u64_u32 v[158:159], s6, v4, s[8:9]
	v_mad_nc_u64_u32 v[160:161], s6, v4, s[10:11]
	v_add3_u32 v141, v18, v141, v17
	v_mul_u64_e32 v[4:5], s[6:7], v[10:11]
	v_add_nc_u64_e32 v[10:11], 28, v[6:7]
	v_add3_u32 v143, v18, v143, v17
	v_mov_b32_e32 v17, v2
	v_add3_u32 v151, v20, v151, v19
	v_add3_u32 v153, v20, v153, v19
	v_add_nc_u64_e32 v[18:19], 27, v[6:7]
	v_add3_u32 v155, v22, v155, v21
	v_mul_u64_e32 v[10:11], s[6:7], v[10:11]
	v_lshlrev_b64_e32 v[162:163], 1, v[16:17]
	v_add_nc_u64_e32 v[16:17], 26, v[6:7]
	v_add3_u32 v157, v22, v157, v21
	v_add3_u32 v159, v24, v159, v23
	v_add3_u32 v161, v24, v161, v23
	v_mul_u64_e32 v[18:19], s[6:7], v[18:19]
	v_add_nc_u64_e32 v[22:23], 24, v[6:7]
	v_lshlrev_b64_e32 v[24:25], 1, v[14:15]
	v_mul_u64_e32 v[16:17], s[6:7], v[16:17]
	v_add_nc_u64_e32 v[26:27], 23, v[6:7]
	v_add_nc_u64_e32 v[20:21], 25, v[6:7]
	;; [unrolled: 1-line block ×4, first 2 shown]
	v_mul_u64_e32 v[22:23], s[6:7], v[22:23]
	v_add_nc_u64_e32 v[164:165], s[8:9], v[24:25]
	v_add_nc_u64_e32 v[166:167], s[10:11], v[24:25]
	v_mul_u64_e32 v[24:25], s[6:7], v[26:27]
	v_lshlrev_b64_e32 v[8:9], 1, v[8:9]
	v_mul_u64_e32 v[20:21], s[6:7], v[20:21]
	v_add_nc_u64_e32 v[26:27], 20, v[6:7]
	v_lshlrev_b64_e32 v[12:13], 1, v[12:13]
	v_add_nc_u64_e32 v[30:31], 21, v[6:7]
	v_mul_u64_e32 v[28:29], s[6:7], v[28:29]
	v_add_nc_u64_e32 v[34:35], 18, v[6:7]
	v_add_nc_u64_e32 v[168:169], s[8:9], v[8:9]
	;; [unrolled: 1-line block ×3, first 2 shown]
	v_mul_u64_e32 v[26:27], s[6:7], v[26:27]
	v_add_nc_u64_e32 v[170:171], s[10:11], v[8:9]
	v_mul_u64_e32 v[8:9], s[6:7], v[32:33]
	v_lshlrev_b64_e32 v[4:5], 1, v[4:5]
	v_mul_u64_e32 v[30:31], s[6:7], v[30:31]
	v_lshlrev_b64_e32 v[10:11], 1, v[10:11]
	v_add_nc_u64_e32 v[172:173], s[8:9], v[12:13]
	v_mul_u64_e32 v[32:33], s[6:7], v[34:35]
	v_add_nc_u64_e32 v[174:175], s[10:11], v[12:13]
	v_mul_u64_e32 v[12:13], s[6:7], v[178:179]
	v_add_nc_u64_e32 v[176:177], s[8:9], v[4:5]
	v_add_nc_u64_e32 v[178:179], s[10:11], v[4:5]
	;; [unrolled: 1-line block ×3, first 2 shown]
	v_lshlrev_b64_e32 v[18:19], 1, v[18:19]
	v_add_nc_u64_e32 v[180:181], s[8:9], v[10:11]
	v_add_nc_u64_e32 v[182:183], s[10:11], v[10:11]
	v_lshlrev_b64_e32 v[10:11], 1, v[16:17]
	v_add_nc_u64_e32 v[34:35], 15, v[6:7]
	s_mov_b32 s3, 0
	v_mul_u64_e32 v[4:5], s[6:7], v[4:5]
	v_add_nc_u64_e32 v[184:185], s[8:9], v[18:19]
	v_add_nc_u64_e32 v[186:187], s[10:11], v[18:19]
	v_lshlrev_b64_e32 v[18:19], 1, v[22:23]
	v_add_nc_u64_e32 v[188:189], s[8:9], v[10:11]
	v_add_nc_u64_e32 v[190:191], s[10:11], v[10:11]
	v_lshlrev_b64_e32 v[10:11], 1, v[24:25]
	v_add_nc_u64_e32 v[22:23], 14, v[6:7]
	v_add_nc_u64_e32 v[24:25], 13, v[6:7]
	v_lshlrev_b64_e32 v[16:17], 1, v[20:21]
	v_add_nc_u64_e32 v[196:197], s[8:9], v[18:19]
	v_add_nc_u64_e32 v[198:199], s[10:11], v[18:19]
	v_mul_u64_e32 v[20:21], s[6:7], v[34:35]
	v_add_nc_u64_e32 v[200:201], s[8:9], v[10:11]
	v_mul_u64_e32 v[22:23], s[6:7], v[22:23]
	v_mul_u64_e32 v[24:25], s[6:7], v[24:25]
	v_add_nc_u64_e32 v[192:193], s[8:9], v[16:17]
	v_add_nc_u64_e32 v[194:195], s[10:11], v[16:17]
	v_lshlrev_b64_e32 v[16:17], 1, v[28:29]
	v_add_nc_u64_e32 v[202:203], s[10:11], v[10:11]
	v_lshlrev_b64_e32 v[10:11], 1, v[26:27]
	v_lshlrev_b64_e32 v[8:9], 1, v[8:9]
	v_add_nc_u64_e32 v[26:27], 11, v[6:7]
	v_lshlrev_b64_e32 v[18:19], 1, v[30:31]
	v_lshlrev_b64_e32 v[12:13], 1, v[12:13]
	v_add_nc_u64_e32 v[204:205], s[8:9], v[16:17]
	v_add_nc_u64_e32 v[206:207], s[10:11], v[16:17]
	v_lshlrev_b64_e32 v[16:17], 1, v[32:33]
	v_add_nc_u64_e32 v[212:213], s[8:9], v[10:11]
	v_add_nc_u64_e32 v[214:215], s[10:11], v[10:11]
	;; [unrolled: 1-line block ×4, first 2 shown]
	v_mul_u64_e32 v[26:27], s[6:7], v[26:27]
	v_add_nc_u64_e32 v[28:29], 9, v[6:7]
	v_add_nc_u64_e32 v[30:31], 8, v[6:7]
	v_add_nc_u64_e32 v[218:219], s[10:11], v[8:9]
	v_add_nc_u64_e32 v[8:9], 7, v[6:7]
	v_add_nc_u64_e32 v[220:221], s[8:9], v[16:17]
	v_mul_u64_e32 v[10:11], s[6:7], v[10:11]
	v_add_nc_u64_e32 v[222:223], s[10:11], v[16:17]
	v_mul_u64_e32 v[16:17], s[6:7], v[28:29]
	v_mul_u64_e32 v[28:29], s[6:7], v[30:31]
	v_add_nc_u64_e32 v[30:31], 6, v[6:7]
	v_mul_u64_e32 v[8:9], s[6:7], v[8:9]
	v_add_nc_u64_e32 v[32:33], 5, v[6:7]
	v_add_nc_u64_e32 v[224:225], s[8:9], v[12:13]
	;; [unrolled: 1-line block ×7, first 2 shown]
	v_lshlrev_b64_e32 v[4:5], 1, v[4:5]
	v_mul_u64_e32 v[30:31], s[6:7], v[30:31]
	v_mul_u64_e32 v[32:33], s[6:7], v[32:33]
	v_add_nc_u64_e32 v[34:35], 3, v[6:7]
	v_add_nc_u64_e32 v[6:7], 2, v[6:7]
	v_mul_u64_e32 v[12:13], s[6:7], v[12:13]
	v_mul_u64_e32 v[18:19], s[6:7], v[18:19]
	v_add_nc_u64_e32 v[228:229], s[8:9], v[4:5]
	v_add_nc_u64_e32 v[230:231], s[10:11], v[4:5]
	v_lshlrev_b64_e32 v[4:5], 1, v[22:23]
	v_lshlrev_b64_e32 v[22:23], 1, v[24:25]
	v_mul_u64_e32 v[24:25], s[6:7], v[34:35]
	v_mul_u64_e32 v[6:7], s[6:7], v[6:7]
	v_lshlrev_b64_e32 v[20:21], 1, v[20:21]
	s_mov_b32 s23, s3
	v_add_nc_u64_e32 v[236:237], s[8:9], v[4:5]
	v_add_nc_u64_e32 v[238:239], s[10:11], v[4:5]
	v_lshlrev_b64_e32 v[4:5], 1, v[26:27]
	v_lshlrev_b64_e32 v[10:11], 1, v[10:11]
	v_add_nc_u64_e32 v[232:233], s[8:9], v[20:21]
	v_lshlrev_b64_e32 v[16:17], 1, v[16:17]
	v_add_nc_u64_e32 v[234:235], s[10:11], v[20:21]
	v_add_nc_u64_e32 v[240:241], s[8:9], v[22:23]
	v_lshlrev_b64_e32 v[8:9], 1, v[8:9]
	v_add_nc_u64_e32 v[248:249], s[8:9], v[4:5]
	;; [unrolled: 3-line block ×3, first 2 shown]
	v_add_nc_u64_e32 v[254:255], s[10:11], v[10:11]
	v_add_nc_u64_e32 v[242:243], s[10:11], v[22:23]
	s_set_vgpr_msb 64                       ;  msbs: dst=1 src0=0 src1=0 src2=0
	v_add_nc_u64_e32 v[8:9] /*v[264:265]*/, s[8:9], v[8:9]
	v_add_nc_u64_e32 v[10:11] /*v[266:267]*/, s[10:11], v[8:9]
	s_set_vgpr_msb 0                        ;  msbs: dst=0 src0=0 src1=0 src2=0
	v_lshlrev_b64_e32 v[10:11], 1, v[30:31]
	s_set_vgpr_msb 64                       ;  msbs: dst=1 src0=0 src1=0 src2=0
	v_add_nc_u64_e32 v[4:5] /*v[260:261]*/, s[8:9], v[4:5]
	v_add_nc_u64_e32 v[6:7] /*v[262:263]*/, s[10:11], v[4:5]
	s_set_vgpr_msb 0                        ;  msbs: dst=0 src0=0 src1=0 src2=0
	v_lshlrev_b64_e32 v[4:5], 1, v[32:33]
	v_lshlrev_b64_e32 v[8:9], 1, v[12:13]
	v_add_nc_u64_e32 v[12:13], s[6:7], v[14:15]
	v_lshlrev_b64_e32 v[18:19], 1, v[18:19]
	s_set_vgpr_msb 64                       ;  msbs: dst=1 src0=0 src1=0 src2=0
	v_add_nc_u64_e32 v[12:13] /*v[268:269]*/, s[8:9], v[10:11]
	v_add_nc_u64_e32 v[14:15] /*v[270:271]*/, s[10:11], v[10:11]
	;; [unrolled: 1-line block ×3, first 2 shown]
	s_set_vgpr_msb 0                        ;  msbs: dst=0 src0=0 src1=0 src2=0
	v_lshlrev_b64_e32 v[10:11], 1, v[24:25]
	v_lshlrev_b64_e32 v[6:7], 1, v[6:7]
	s_set_vgpr_msb 64                       ;  msbs: dst=1 src0=0 src1=0 src2=0
	v_add_nc_u64_e32 v[16:17] /*v[272:273]*/, s[8:9], v[4:5]
	v_add_nc_u64_e32 v[18:19] /*v[274:275]*/, s[10:11], v[4:5]
	s_set_vgpr_msb 0                        ;  msbs: dst=0 src0=0 src1=0 src2=0
	v_lshlrev_b64_e32 v[4:5], 1, v[12:13]
	v_add_nc_u64_e32 v[244:245], s[8:9], v[18:19]
	v_add_nc_u64_e32 v[246:247], s[10:11], v[18:19]
	s_set_vgpr_msb 64                       ;  msbs: dst=1 src0=0 src1=0 src2=0
	v_add_nc_u64_e32 v[2:3] /*v[258:259]*/, s[10:11], v[16:17]
	v_add_nc_u64_e32 v[20:21] /*v[276:277]*/, s[8:9], v[8:9]
	;; [unrolled: 1-line block ×9, first 2 shown]
	s_mul_u64 s[24:25], s[6:7], s[22:23]
	s_mov_b64 s[10:11], 31
	s_lshl_b64 s[8:9], s[24:25], 1
	s_mov_b64 s[24:25], s[18:19]
	s_set_vgpr_msb 0                        ;  msbs: dst=0 src0=0 src1=0 src2=0
	s_branch .LBB84_147
.LBB84_145:                             ;   in Loop: Header=BB84_147 Depth=1
	s_wait_xcnt 0x0
	s_or_b32 exec_lo, exec_lo, s2
	v_add_nc_u64_e32 v[4:5], v[164:165], v[162:163]
	v_add_nc_u64_e32 v[8:9], v[166:167], v[162:163]
	;; [unrolled: 1-line block ×7, first 2 shown]
	global_load_u16 v4, v[4:5], off
	global_load_u16 v5, v[8:9], off
	s_wait_xcnt 0x0
	v_add_nc_u64_e32 v[8:9], v[36:37], v[162:163]
	v_add_nc_u64_e32 v[20:21], v[58:59], v[162:163]
	;; [unrolled: 1-line block ×7, first 2 shown]
	global_load_u16 v7, v[8:9], off
	v_add_nc_u64_e32 v[32:33], v[82:83], v[162:163]
	v_add_nc_u64_e32 v[34:35], v[86:87], v[162:163]
	s_set_vgpr_msb 64                       ;  msbs: dst=1 src0=0 src1=0 src2=0
	v_add_nc_u64_e32 v[36:37] /*v[292:293]*/, v[90:91], v[162:163]
	v_add_nc_u64_e32 v[40:41] /*v[296:297]*/, v[94:95], v[162:163]
	;; [unrolled: 1-line block ×18, first 2 shown]
	s_wait_loadcnt 0x2
	s_set_vgpr_msb 0                        ;  msbs: dst=0 src0=0 src1=0 src2=0
	v_cvt_f32_f16_e32 v4, v4
	s_wait_loadcnt 0x1
	v_cvt_f32_f16_e32 v5, v5
	s_wait_loadcnt 0x0
	v_cvt_f32_f16_e32 v8, v7
	global_load_u16 v7, v[10:11], off
	s_wait_xcnt 0x0
	v_add_nc_u64_e32 v[10:11], v[40:41], v[162:163]
	global_load_u16 v9, v[10:11], off
	s_wait_loadcnt 0x1
	v_cvt_f32_f16_e32 v7, v7
	s_wait_loadcnt 0x0
	v_cvt_f32_f16_e32 v10, v9
	global_load_u16 v9, v[12:13], off
	s_wait_xcnt 0x0
	v_add_nc_u64_e32 v[12:13], v[42:43], v[162:163]
	s_wait_loadcnt 0x0
	v_cvt_f32_f16_e32 v11, v9
	global_load_u16 v9, v[12:13], off
	s_wait_loadcnt 0x0
	v_cvt_f32_f16_e32 v12, v9
	global_load_u16 v9, v[14:15], off
	s_wait_xcnt 0x0
	v_add_nc_u64_e32 v[14:15], v[48:49], v[162:163]
	s_wait_loadcnt 0x0
	v_cvt_f32_f16_e32 v13, v9
	global_load_u16 v9, v[14:15], off
	;; [unrolled: 8-line block ×12, first 2 shown]
	s_wait_loadcnt 0x0
	v_cvt_f32_f16_e32 v34, v9
	s_set_vgpr_msb 1                        ;  msbs: dst=0 src0=1 src1=0 src2=0
	global_load_u16 v9, v[36:37] /*v[292:293]*/, off
	s_wait_xcnt 0x0
	s_set_vgpr_msb 64                       ;  msbs: dst=1 src0=0 src1=0 src2=0
	v_add_nc_u64_e32 v[36:37] /*v[292:293]*/, v[92:93], v[162:163]
	s_wait_loadcnt 0x0
	s_set_vgpr_msb 0                        ;  msbs: dst=0 src0=0 src1=0 src2=0
	v_cvt_f32_f16_e32 v35, v9
	s_set_vgpr_msb 1                        ;  msbs: dst=0 src0=1 src1=0 src2=0
	global_load_u16 v9, v[36:37] /*v[292:293]*/, off
	s_wait_loadcnt 0x0
	s_set_vgpr_msb 64                       ;  msbs: dst=1 src0=0 src1=0 src2=0
	v_cvt_f32_f16_e64 v36 /*v292*/, v9
	s_set_vgpr_msb 1                        ;  msbs: dst=0 src0=1 src1=0 src2=0
	global_load_u16 v9, v[40:41] /*v[296:297]*/, off
	s_wait_xcnt 0x0
	s_set_vgpr_msb 64                       ;  msbs: dst=1 src0=0 src1=0 src2=0
	v_add_nc_u64_e32 v[40:41] /*v[296:297]*/, v[96:97], v[162:163]
	s_wait_loadcnt 0x0
	v_cvt_f32_f16_e64 v37 /*v293*/, v9
	s_set_vgpr_msb 1                        ;  msbs: dst=0 src0=1 src1=0 src2=0
	global_load_u16 v9, v[40:41] /*v[296:297]*/, off
	s_wait_loadcnt 0x0
	s_set_vgpr_msb 64                       ;  msbs: dst=1 src0=0 src1=0 src2=0
	v_cvt_f32_f16_e64 v40 /*v296*/, v9
	s_set_vgpr_msb 1                        ;  msbs: dst=0 src0=1 src1=0 src2=0
	global_load_u16 v9, v[44:45] /*v[300:301]*/, off
	s_wait_xcnt 0x0
	s_set_vgpr_msb 64                       ;  msbs: dst=1 src0=0 src1=0 src2=0
	v_add_nc_u64_e32 v[44:45] /*v[300:301]*/, v[100:101], v[162:163]
	s_wait_loadcnt 0x0
	v_cvt_f32_f16_e64 v41 /*v297*/, v9
	s_set_vgpr_msb 1                        ;  msbs: dst=0 src0=1 src1=0 src2=0
	global_load_u16 v9, v[44:45] /*v[300:301]*/, off
	s_wait_xcnt 0x0
	s_set_vgpr_msb 64                       ;  msbs: dst=1 src0=0 src1=0 src2=0
	ds_bpermute_b32 v45 /*v301*/, v2, v6
	s_wait_dscnt 0x0
	s_set_vgpr_msb 4                        ;  msbs: dst=0 src0=0 src1=1 src2=0
	v_sub_f32_e32 v5, v5, v45 /*v301*/
	s_set_vgpr_msb 64                       ;  msbs: dst=1 src0=0 src1=0 src2=0
	ds_bpermute_b32 v45 /*v301*/, v2, v6 offset:4
	s_wait_dscnt 0x0
	s_set_vgpr_msb 4                        ;  msbs: dst=0 src0=0 src1=1 src2=0
	v_sub_f32_e32 v7, v7, v45 /*v301*/
	s_set_vgpr_msb 64                       ;  msbs: dst=1 src0=0 src1=0 src2=0
	ds_bpermute_b32 v45 /*v301*/, v2, v6 offset:8
	s_set_vgpr_msb 0                        ;  msbs: dst=0 src0=0 src1=0 src2=0
	v_mul_f32_e32 v7, v7, v8
	v_mul_f32_e32 v5, v5, v4
	s_wait_dscnt 0x0
	s_set_vgpr_msb 4                        ;  msbs: dst=0 src0=0 src1=1 src2=0
	v_sub_f32_e32 v11, v11, v45 /*v301*/
	s_set_vgpr_msb 64                       ;  msbs: dst=1 src0=0 src1=0 src2=0
	ds_bpermute_b32 v45 /*v301*/, v2, v6 offset:12
	s_wait_dscnt 0x0
	s_set_vgpr_msb 4                        ;  msbs: dst=0 src0=0 src1=1 src2=0
	v_sub_f32_e32 v13, v13, v45 /*v301*/
	s_set_vgpr_msb 64                       ;  msbs: dst=1 src0=0 src1=0 src2=0
	ds_bpermute_b32 v45 /*v301*/, v2, v6 offset:16
	s_set_vgpr_msb 0                        ;  msbs: dst=0 src0=0 src1=0 src2=0
	v_dual_mul_f32 v11, v11, v10 :: v_dual_mul_f32 v13, v13, v12
	s_wait_dscnt 0x0
	s_set_vgpr_msb 4                        ;  msbs: dst=0 src0=0 src1=1 src2=0
	v_sub_f32_e32 v15, v15, v45 /*v301*/
	s_set_vgpr_msb 64                       ;  msbs: dst=1 src0=0 src1=0 src2=0
	ds_bpermute_b32 v45 /*v301*/, v2, v6 offset:20
	s_wait_dscnt 0x0
	s_set_vgpr_msb 4                        ;  msbs: dst=0 src0=0 src1=1 src2=0
	v_sub_f32_e32 v17, v17, v45 /*v301*/
	s_set_vgpr_msb 64                       ;  msbs: dst=1 src0=0 src1=0 src2=0
	ds_bpermute_b32 v45 /*v301*/, v2, v6 offset:24
	s_set_vgpr_msb 0                        ;  msbs: dst=0 src0=0 src1=0 src2=0
	v_dual_mul_f32 v15, v15, v14 :: v_dual_mul_f32 v17, v17, v16
	;; [unrolled: 12-line block ×4, first 2 shown]
	s_wait_dscnt 0x0
	s_set_vgpr_msb 4                        ;  msbs: dst=0 src0=0 src1=1 src2=0
	v_sub_f32_e32 v27, v27, v45 /*v301*/
	s_set_vgpr_msb 0                        ;  msbs: dst=0 src0=0 src1=0 src2=0
	s_delay_alu instid0(VALU_DEP_1)
	v_mul_f32_e32 v27, v27, v26
	s_wait_loadcnt 0x0
	s_set_vgpr_msb 64                       ;  msbs: dst=1 src0=0 src1=0 src2=0
	v_cvt_f32_f16_e64 v44 /*v300*/, v9
	s_set_vgpr_msb 1                        ;  msbs: dst=0 src0=1 src1=0 src2=0
	global_load_u16 v9, v[46:47] /*v[302:303]*/, off
	s_wait_xcnt 0x0
	s_set_vgpr_msb 64                       ;  msbs: dst=1 src0=0 src1=0 src2=0
	v_add_nc_u64_e32 v[46:47] /*v[302:303]*/, v[104:105], v[162:163]
	s_wait_loadcnt 0x0
	v_cvt_f32_f16_e64 v43 /*v299*/, v9
	s_set_vgpr_msb 1                        ;  msbs: dst=0 src0=1 src1=0 src2=0
	global_load_u16 v9, v[46:47] /*v[302:303]*/, off
	s_wait_loadcnt 0x0
	s_set_vgpr_msb 64                       ;  msbs: dst=1 src0=0 src1=0 src2=0
	v_cvt_f32_f16_e64 v46 /*v302*/, v9
	s_set_vgpr_msb 1                        ;  msbs: dst=0 src0=1 src1=0 src2=0
	global_load_u16 v9, v[48:49] /*v[304:305]*/, off
	s_wait_xcnt 0x0
	s_set_vgpr_msb 64                       ;  msbs: dst=1 src0=0 src1=0 src2=0
	v_add_nc_u64_e32 v[48:49] /*v[304:305]*/, v[108:109], v[162:163]
	s_wait_loadcnt 0x0
	v_cvt_f32_f16_e64 v47 /*v303*/, v9
	s_set_vgpr_msb 1                        ;  msbs: dst=0 src0=1 src1=0 src2=0
	global_load_u16 v9, v[48:49] /*v[304:305]*/, off
	;; [unrolled: 12-line block ×14, first 2 shown]
	s_wait_loadcnt 0x0
	s_set_vgpr_msb 64                       ;  msbs: dst=1 src0=0 src1=0 src2=0
	v_cvt_f32_f16_e64 v72 /*v328*/, v9
	s_set_vgpr_msb 1                        ;  msbs: dst=0 src0=1 src1=0 src2=0
	global_load_u16 v9, v[74:75] /*v[330:331]*/, off
	s_wait_loadcnt 0x0
	s_set_vgpr_msb 64                       ;  msbs: dst=1 src0=0 src1=0 src2=0
	v_cvt_f32_f16_e64 v73 /*v329*/, v9
	s_set_vgpr_msb 0                        ;  msbs: dst=0 src0=0 src1=0 src2=0
	ds_bpermute_b32 v9, v2, v3
	s_wait_dscnt 0x0
	v_mul_f32_e32 v5, v5, v9
	ds_bpermute_b32 v9, v2, v3 offset:4
	s_set_vgpr_msb 1                        ;  msbs: dst=0 src0=1 src1=0 src2=0
	v_pk_add_f32 v[4:5], v[38:39] /*v[294:295]*/, v[4:5]
	s_wait_dscnt 0x0
	s_set_vgpr_msb 0                        ;  msbs: dst=0 src0=0 src1=0 src2=0
	v_mul_f32_e32 v9, v7, v9
	ds_bpermute_b32 v7, v2, v3 offset:8
	v_pk_add_f32 v[4:5], v[4:5], v[8:9]
	ds_bpermute_b32 v8, v2, v6 offset:44
	s_wait_dscnt 0x1
	v_mul_f32_e32 v11, v11, v7
	ds_bpermute_b32 v7, v2, v3 offset:12
	s_wait_dscnt 0x1
	v_sub_f32_e32 v8, v29, v8
	v_pk_add_f32 v[4:5], v[4:5], v[10:11]
	s_wait_dscnt 0x0
	s_delay_alu instid0(VALU_DEP_2)
	v_dual_mul_f32 v8, v8, v28 :: v_dual_mul_f32 v13, v13, v7
	ds_bpermute_b32 v7, v2, v3 offset:16
	v_pk_add_f32 v[4:5], v[4:5], v[12:13]
	s_wait_dscnt 0x0
	v_mul_f32_e32 v15, v15, v7
	ds_bpermute_b32 v7, v2, v3 offset:20
	v_pk_add_f32 v[4:5], v[4:5], v[14:15]
	s_wait_dscnt 0x0
	v_mul_f32_e32 v17, v17, v7
	;; [unrolled: 4-line block ×8, first 2 shown]
	ds_bpermute_b32 v8, v2, v6 offset:48
	ds_bpermute_b32 v7, v2, v3 offset:48
	s_wait_dscnt 0x1
	v_sub_f32_e32 v8, v31, v8
	v_pk_add_f32 v[4:5], v[4:5], v[28:29]
	s_delay_alu instid0(VALU_DEP_2) | instskip(SKIP_1) | instid1(VALU_DEP_1)
	v_mul_f32_e32 v8, v8, v30
	s_wait_dscnt 0x0
	v_mul_f32_e32 v31, v8, v7
	ds_bpermute_b32 v8, v2, v6 offset:52
	ds_bpermute_b32 v7, v2, v3 offset:52
	s_wait_dscnt 0x1
	v_sub_f32_e32 v8, v33, v8
	v_pk_add_f32 v[4:5], v[4:5], v[30:31]
	s_delay_alu instid0(VALU_DEP_2) | instskip(SKIP_1) | instid1(VALU_DEP_1)
	v_mul_f32_e32 v8, v8, v32
	s_wait_dscnt 0x0
	v_mul_f32_e32 v33, v8, v7
	;; [unrolled: 9-line block ×3, first 2 shown]
	ds_bpermute_b32 v8, v2, v6 offset:60
	ds_bpermute_b32 v7, v2, v3 offset:60
	v_pk_add_f32 v[4:5], v[4:5], v[34:35]
	s_wait_dscnt 0x1
	s_set_vgpr_msb 1                        ;  msbs: dst=0 src0=1 src1=0 src2=0
	v_sub_f32_e32 v8, v37 /*v293*/, v8
	s_set_vgpr_msb 4                        ;  msbs: dst=0 src0=0 src1=1 src2=0
	s_delay_alu instid0(VALU_DEP_1) | instskip(SKIP_2) | instid1(VALU_DEP_1)
	v_mul_f32_e32 v8, v8, v36 /*v292*/
	s_wait_dscnt 0x0
	s_set_vgpr_msb 64                       ;  msbs: dst=1 src0=0 src1=0 src2=0
	v_mul_f32_e32 v37 /*v293*/, v8, v7
	s_set_vgpr_msb 0                        ;  msbs: dst=0 src0=0 src1=0 src2=0
	ds_bpermute_b32 v8, v2, v6 offset:64
	ds_bpermute_b32 v7, v2, v3 offset:64
	s_wait_dscnt 0x1
	s_set_vgpr_msb 1                        ;  msbs: dst=0 src0=1 src1=0 src2=0
	v_sub_f32_e32 v8, v41 /*v297*/, v8
	s_set_vgpr_msb 4                        ;  msbs: dst=0 src0=0 src1=1 src2=0
	s_delay_alu instid0(VALU_DEP_1) | instskip(SKIP_2) | instid1(VALU_DEP_1)
	v_mul_f32_e32 v8, v8, v40 /*v296*/
	s_wait_dscnt 0x0
	s_set_vgpr_msb 64                       ;  msbs: dst=1 src0=0 src1=0 src2=0
	v_mul_f32_e32 v41 /*v297*/, v8, v7
	s_set_vgpr_msb 0                        ;  msbs: dst=0 src0=0 src1=0 src2=0
	ds_bpermute_b32 v8, v2, v6 offset:68
	ds_bpermute_b32 v7, v2, v3 offset:68
	s_set_vgpr_msb 4                        ;  msbs: dst=0 src0=0 src1=1 src2=0
	v_pk_add_f32 v[4:5], v[4:5], v[36:37] /*v[292:293]*/
	s_delay_alu instid0(VALU_DEP_1) | instskip(SKIP_4) | instid1(VALU_DEP_1)
	v_pk_add_f32 v[4:5], v[4:5], v[40:41] /*v[296:297]*/
	s_wait_dscnt 0x1
	s_set_vgpr_msb 1                        ;  msbs: dst=0 src0=1 src1=0 src2=0
	v_sub_f32_e32 v8, v43 /*v299*/, v8
	s_set_vgpr_msb 4                        ;  msbs: dst=0 src0=0 src1=1 src2=0
	v_mul_f32_e32 v8, v8, v44 /*v300*/
	s_wait_dscnt 0x0
	s_set_vgpr_msb 64                       ;  msbs: dst=1 src0=0 src1=0 src2=0
	s_delay_alu instid0(VALU_DEP_1)
	v_mul_f32_e32 v45 /*v301*/, v8, v7
	s_set_vgpr_msb 0                        ;  msbs: dst=0 src0=0 src1=0 src2=0
	ds_bpermute_b32 v8, v2, v6 offset:72
	ds_bpermute_b32 v7, v2, v3 offset:72
	s_wait_dscnt 0x1
	s_set_vgpr_msb 1                        ;  msbs: dst=0 src0=1 src1=0 src2=0
	v_sub_f32_e32 v8, v47 /*v303*/, v8
	s_set_vgpr_msb 4                        ;  msbs: dst=0 src0=0 src1=1 src2=0
	s_delay_alu instid0(VALU_DEP_1) | instskip(SKIP_2) | instid1(VALU_DEP_1)
	v_mul_f32_e32 v8, v8, v46 /*v302*/
	s_wait_dscnt 0x0
	s_set_vgpr_msb 64                       ;  msbs: dst=1 src0=0 src1=0 src2=0
	v_mul_f32_e32 v47 /*v303*/, v8, v7
	s_set_vgpr_msb 0                        ;  msbs: dst=0 src0=0 src1=0 src2=0
	ds_bpermute_b32 v8, v2, v6 offset:76
	ds_bpermute_b32 v7, v2, v3 offset:76
	s_set_vgpr_msb 4                        ;  msbs: dst=0 src0=0 src1=1 src2=0
	v_pk_add_f32 v[4:5], v[4:5], v[44:45] /*v[300:301]*/
	s_delay_alu instid0(VALU_DEP_1) | instskip(SKIP_4) | instid1(VALU_DEP_1)
	v_pk_add_f32 v[4:5], v[4:5], v[46:47] /*v[302:303]*/
	s_wait_dscnt 0x1
	s_set_vgpr_msb 1                        ;  msbs: dst=0 src0=1 src1=0 src2=0
	v_sub_f32_e32 v8, v49 /*v305*/, v8
	s_set_vgpr_msb 4                        ;  msbs: dst=0 src0=0 src1=1 src2=0
	v_mul_f32_e32 v8, v8, v48 /*v304*/
	s_wait_dscnt 0x0
	s_set_vgpr_msb 64                       ;  msbs: dst=1 src0=0 src1=0 src2=0
	s_delay_alu instid0(VALU_DEP_1)
	;; [unrolled: 28-line block ×7, first 2 shown]
	v_mul_f32_e32 v69 /*v325*/, v8, v7
	s_set_vgpr_msb 0                        ;  msbs: dst=0 src0=0 src1=0 src2=0
	ds_bpermute_b32 v8, v2, v6 offset:120
	ds_bpermute_b32 v6, v2, v6 offset:124
	;; [unrolled: 1-line block ×4, first 2 shown]
	s_wait_dscnt 0x2
	s_set_vgpr_msb 1                        ;  msbs: dst=0 src0=1 src1=0 src2=0
	v_dual_sub_f32 v8, v71 /*v327*/, v8 :: v_dual_sub_f32 v6, v73 /*v329*/, v6
	s_set_vgpr_msb 4                        ;  msbs: dst=0 src0=0 src1=1 src2=0
	s_delay_alu instid0(VALU_DEP_1) | instskip(SKIP_2) | instid1(VALU_DEP_1)
	v_dual_mul_f32 v8, v8, v70 /*v326*/ :: v_dual_mul_f32 v6, v6, v72 /*v328*/
	s_wait_dscnt 0x1
	s_set_vgpr_msb 64                       ;  msbs: dst=1 src0=0 src1=0 src2=0
	v_mul_f32_e32 v71 /*v327*/, v8, v7
	s_set_vgpr_msb 4                        ;  msbs: dst=0 src0=0 src1=1 src2=0
	v_pk_add_f32 v[4:5], v[4:5], v[68:69] /*v[324:325]*/
	s_wait_dscnt 0x0
	s_set_vgpr_msb 64                       ;  msbs: dst=1 src0=0 src1=0 src2=0
	v_mul_f32_e32 v73 /*v329*/, v6, v3
	s_set_vgpr_msb 4                        ;  msbs: dst=0 src0=0 src1=1 src2=0
	v_pk_add_f32 v[4:5], v[4:5], v[70:71] /*v[326:327]*/
	s_set_vgpr_msb 0x44                     ;  msbs: dst=1 src0=0 src1=1 src2=0
	s_delay_alu instid0(VALU_DEP_1)
	v_pk_add_f32 v[36:37] /*v[292:293]*/, v[4:5], v[72:73] /*v[328:329]*/
.LBB84_146:                             ;   in Loop: Header=BB84_147 Depth=1
	s_add_nc_u64 s[24:25], s[24:25], s[22:23]
	s_set_vgpr_msb 0                        ;  msbs: dst=0 src0=0 src1=0 src2=0
	v_add_nc_u64_e32 v[164:165], s[8:9], v[164:165]
	v_cmp_ge_i64_e64 s2, s[24:25], s[4:5]
	v_add_nc_u64_e32 v[166:167], s[8:9], v[166:167]
	v_add_nc_u64_e32 v[36:37], s[8:9], v[36:37]
	;; [unrolled: 1-line block ×108, first 2 shown]
	s_set_vgpr_msb 0x44                     ;  msbs: dst=1 src0=0 src1=1 src2=0
	v_add_nc_u64_e32 v[0:1] /*v[256:257]*/, s[8:9], v[0:1] /*v[256:257]*/
	v_add_nc_u64_e32 v[2:3] /*v[258:259]*/, s[8:9], v[2:3] /*v[258:259]*/
	;; [unrolled: 1-line block ×18, first 2 shown]
	s_set_vgpr_msb 0x41                     ;  msbs: dst=1 src0=1 src1=0 src2=0
	v_dual_mov_b32 v38 /*v294*/, v36 /*v292*/ :: v_dual_mov_b32 v39 /*v295*/, v37 /*v293*/
	s_and_b32 vcc_lo, exec_lo, s2
	s_add_nc_u64 s[10:11], s[10:11], s[22:23]
	s_set_vgpr_msb 0                        ;  msbs: dst=0 src0=0 src1=0 src2=0
	s_cbranch_vccnz .LBB84_219
.LBB84_147:                             ; =>This Inner Loop Header: Depth=1
	s_add_nc_u64 s[26:27], s[18:19], s[10:11]
	s_set_vgpr_msb 64                       ;  msbs: dst=1 src0=0 src1=0 src2=0
	v_add_nc_u64_e32 v[40:41] /*v[296:297]*/, s[18:19], v[144:145]
	v_cmp_ge_i64_e64 s2, s[26:27], s[4:5]
                                        ; implicit-def: $vgpr292_vgpr293
	s_and_b32 vcc_lo, exec_lo, s2
	s_mov_b32 s2, -1
	s_set_vgpr_msb 0                        ;  msbs: dst=0 src0=0 src1=0 src2=0
	s_cbranch_vccz .LBB84_215
; %bb.148:                              ;   in Loop: Header=BB84_147 Depth=1
	s_load_b32 s2, s[20:21], 0xc
	s_set_vgpr_msb 64                       ;  msbs: dst=1 src0=0 src1=0 src2=0
	v_dual_mov_b32 v43 /*v299*/, 0 :: v_dual_mov_b32 v37 /*v293*/, 0
	v_mov_b32_e32 v36 /*v292*/, 0
	s_wait_kmcnt 0x0
	s_and_b32 s2, s2, 0xffff
	s_set_vgpr_msb 16                       ;  msbs: dst=0 src0=0 src1=0 src2=1
	v_mad_u32_u24 v3, v1, s2, v42 /*v298*/
	v_mov_b32_e32 v5, v2
	s_mov_b32 s2, exec_lo
	s_delay_alu instid0(VALU_DEP_2) | instskip(SKIP_1) | instid1(VALU_DEP_1)
	v_and_b32_e32 v4, 31, v3
	s_set_vgpr_msb 1                        ;  msbs: dst=0 src0=1 src1=0 src2=0
	v_add_nc_u64_e32 v[4:5], v[40:41] /*v[296:297]*/, v[4:5]
	s_delay_alu instid0(VALU_DEP_1)
	v_cmpx_gt_i64_e64 s[4:5], v[4:5]
	s_set_vgpr_msb 0                        ;  msbs: dst=0 src0=0 src1=0 src2=0
	s_cbranch_execz .LBB84_150
; %bb.149:                              ;   in Loop: Header=BB84_147 Depth=1
	v_lshlrev_b64_e32 v[4:5], 2, v[4:5]
	s_delay_alu instid0(VALU_DEP_1)
	v_add_nc_u64_e32 v[6:7], s[12:13], v[4:5]
	v_add_nc_u64_e32 v[4:5], s[14:15], v[4:5]
	s_set_vgpr_msb 64                       ;  msbs: dst=1 src0=0 src1=0 src2=0
	global_load_b32 v36 /*v292*/, v[6:7], off
	global_load_b32 v37 /*v293*/, v[4:5], off
.LBB84_150:                             ;   in Loop: Header=BB84_147 Depth=1
	s_wait_xcnt 0x0
	s_or_b32 exec_lo, exec_lo, s2
	s_set_vgpr_msb 4                        ;  msbs: dst=0 src0=0 src1=1 src2=0
	v_dual_mov_b32 v31, v2 :: v_dual_mov_b32 v32, v2
	v_dual_mov_b32 v33, v2 :: v_dual_mov_b32 v3, v2
	v_dual_mov_b32 v4, v2 :: v_dual_mov_b32 v5, v2
	v_dual_mov_b32 v6, v2 :: v_dual_mov_b32 v7, v2
	v_dual_mov_b32 v8, v2 :: v_dual_mov_b32 v9, v2
	v_dual_mov_b32 v10, v2 :: v_dual_mov_b32 v11, v2
	v_dual_mov_b32 v12, v2 :: v_dual_mov_b32 v13, v2
	v_dual_mov_b32 v14, v2 :: v_dual_mov_b32 v15, v2
	v_dual_mov_b32 v16, v2 :: v_dual_mov_b32 v17, v2
	v_dual_mov_b32 v18, v2 :: v_dual_mov_b32 v19, v2
	v_dual_mov_b32 v20, v2 :: v_dual_mov_b32 v21, v2
	v_dual_mov_b32 v22, v2 :: v_dual_mov_b32 v23, v2
	v_dual_mov_b32 v24, v2 :: v_dual_mov_b32 v25, v2
	v_dual_mov_b32 v26, v2 :: v_dual_mov_b32 v27, v2
	v_dual_mov_b32 v28, v2 :: v_dual_mov_b32 v29, v2
	v_mov_b32_e32 v30, v2
	v_mov_b64_e32 v[34:35], v[32:33]
	s_delay_alu instid0(VALU_DEP_2) | instskip(NEXT) | instid1(VALU_DEP_4)
	v_mov_b64_e32 v[32:33], v[30:31]
	v_mov_b64_e32 v[30:31], v[28:29]
	v_mov_b64_e32 v[28:29], v[26:27]
	v_mov_b64_e32 v[26:27], v[24:25]
	v_mov_b64_e32 v[24:25], v[22:23]
	v_mov_b64_e32 v[22:23], v[20:21]
	v_mov_b64_e32 v[20:21], v[18:19]
	v_mov_b64_e32 v[18:19], v[16:17]
	v_mov_b64_e32 v[16:17], v[14:15]
	v_mov_b64_e32 v[14:15], v[12:13]
	v_mov_b64_e32 v[12:13], v[10:11]
	v_mov_b64_e32 v[10:11], v[8:9]
	v_mov_b64_e32 v[8:9], v[6:7]
	v_mov_b64_e32 v[6:7], v[4:5]
	v_mov_b64_e32 v[4:5], v[2:3]
	s_mov_b32 s2, exec_lo
	v_cmpx_gt_i64_e64 s[4:5], v[40:41] /*v[296:297]*/
	s_set_vgpr_msb 0                        ;  msbs: dst=0 src0=0 src1=0 src2=0
	s_cbranch_execz .LBB84_152
; %bb.151:                              ;   in Loop: Header=BB84_147 Depth=1
	v_add_nc_u64_e32 v[4:5], v[164:165], v[162:163]
	v_add_nc_u64_e32 v[6:7], v[166:167], v[162:163]
	v_dual_mov_b32 v9, v2 :: v_dual_mov_b32 v10, v2
	v_dual_mov_b32 v11, v2 :: v_dual_mov_b32 v12, v2
	;; [unrolled: 1-line block ×3, first 2 shown]
	global_load_u16 v3, v[4:5], off
	s_set_vgpr_msb 64                       ;  msbs: dst=1 src0=0 src1=0 src2=0
	global_load_u16 v43 /*v299*/, v[6:7], off
	s_wait_xcnt 0x0
	s_set_vgpr_msb 0                        ;  msbs: dst=0 src0=0 src1=0 src2=0
	v_dual_mov_b32 v5, v2 :: v_dual_mov_b32 v6, v2
	v_dual_mov_b32 v7, v2 :: v_dual_mov_b32 v8, v2
	v_dual_mov_b32 v15, v2 :: v_dual_mov_b32 v16, v2
	v_dual_mov_b32 v17, v2 :: v_dual_mov_b32 v18, v2
	v_dual_mov_b32 v19, v2 :: v_dual_mov_b32 v20, v2
	v_dual_mov_b32 v21, v2 :: v_dual_mov_b32 v22, v2
	v_dual_mov_b32 v23, v2 :: v_dual_mov_b32 v24, v2
	v_dual_mov_b32 v25, v2 :: v_dual_mov_b32 v26, v2
	v_dual_mov_b32 v27, v2 :: v_dual_mov_b32 v28, v2
	v_dual_mov_b32 v29, v2 :: v_dual_mov_b32 v30, v2
	v_dual_mov_b32 v31, v2 :: v_dual_mov_b32 v32, v2
	v_dual_mov_b32 v33, v2 :: v_dual_mov_b32 v34, v2
	v_mov_b32_e32 v35, v2
	s_wait_loadcnt 0x1
	v_cvt_f32_f16_e32 v4, v3
	s_wait_loadcnt 0x0
	s_set_vgpr_msb 0x41                     ;  msbs: dst=1 src0=1 src1=0 src2=0
	v_cvt_f32_f16_e64 v43 /*v299*/, v43 /*v299*/
.LBB84_152:                             ;   in Loop: Header=BB84_147 Depth=1
	s_or_b32 exec_lo, exec_lo, s2
	s_set_vgpr_msb 0x44                     ;  msbs: dst=1 src0=0 src1=1 src2=0
	v_add_nc_u64_e32 v[44:45] /*v[300:301]*/, 1, v[40:41] /*v[296:297]*/
	s_set_vgpr_msb 4                        ;  msbs: dst=0 src0=0 src1=1 src2=0
	v_mov_b32_e32 v3, 0
	s_delay_alu instid0(VALU_DEP_2)
	v_cmp_gt_i64_e32 vcc_lo, s[4:5], v[44:45] /*v[300:301]*/
	s_set_vgpr_msb 64                       ;  msbs: dst=1 src0=0 src1=0 src2=0
	v_mov_b32_e32 v44 /*v300*/, 0
	s_and_saveexec_b32 s2, vcc_lo
	s_set_vgpr_msb 0                        ;  msbs: dst=0 src0=0 src1=0 src2=0
	s_cbranch_execz .LBB84_154
; %bb.153:                              ;   in Loop: Header=BB84_147 Depth=1
	s_set_vgpr_msb 0x41                     ;  msbs: dst=1 src0=1 src1=0 src2=0
	v_add_nc_u64_e32 v[44:45] /*v[300:301]*/, v[32:33] /*v[288:289]*/, v[162:163]
	v_add_nc_u64_e32 v[46:47] /*v[302:303]*/, v[34:35] /*v[290:291]*/, v[162:163]
	s_set_vgpr_msb 1                        ;  msbs: dst=0 src0=1 src1=0 src2=0
	global_load_u16 v5, v[44:45] /*v[300:301]*/, off
	s_set_vgpr_msb 0x41                     ;  msbs: dst=1 src0=1 src1=0 src2=0
	global_load_u16 v48 /*v304*/, v[46:47] /*v[302:303]*/, off
	s_wait_loadcnt 0x1
	s_set_vgpr_msb 0                        ;  msbs: dst=0 src0=0 src1=0 src2=0
	v_cvt_f32_f16_e32 v5, v5
	s_wait_loadcnt 0x0
	s_set_vgpr_msb 0x41                     ;  msbs: dst=1 src0=1 src1=0 src2=0
	v_cvt_f32_f16_e64 v44 /*v300*/, v48 /*v304*/
.LBB84_154:                             ;   in Loop: Header=BB84_147 Depth=1
	s_or_b32 exec_lo, exec_lo, s2
	s_set_vgpr_msb 0x44                     ;  msbs: dst=1 src0=0 src1=1 src2=0
	v_add_nc_u64_e32 v[46:47] /*v[302:303]*/, 2, v[40:41] /*v[296:297]*/
	s_mov_b32 s2, exec_lo
	s_delay_alu instid0(VALU_DEP_1)
	v_cmpx_gt_i64_e64 s[4:5], v[46:47] /*v[302:303]*/
	s_set_vgpr_msb 0                        ;  msbs: dst=0 src0=0 src1=0 src2=0
	s_cbranch_execz .LBB84_156
; %bb.155:                              ;   in Loop: Header=BB84_147 Depth=1
	s_set_vgpr_msb 0x41                     ;  msbs: dst=1 src0=1 src1=0 src2=0
	v_add_nc_u64_e32 v[46:47] /*v[302:303]*/, v[28:29] /*v[284:285]*/, v[162:163]
	v_add_nc_u64_e32 v[48:49] /*v[304:305]*/, v[30:31] /*v[286:287]*/, v[162:163]
	s_set_vgpr_msb 1                        ;  msbs: dst=0 src0=1 src1=0 src2=0
	global_load_u16 v3, v[46:47] /*v[302:303]*/, off
	s_set_vgpr_msb 0x41                     ;  msbs: dst=1 src0=1 src1=0 src2=0
	global_load_u16 v45 /*v301*/, v[48:49] /*v[304:305]*/, off
	s_wait_loadcnt 0x1
	s_set_vgpr_msb 0                        ;  msbs: dst=0 src0=0 src1=0 src2=0
	v_cvt_f32_f16_e32 v6, v3
	s_wait_loadcnt 0x0
	s_set_vgpr_msb 1                        ;  msbs: dst=0 src0=1 src1=0 src2=0
	v_cvt_f32_f16_e64 v3, v45 /*v301*/
.LBB84_156:                             ;   in Loop: Header=BB84_147 Depth=1
	s_or_b32 exec_lo, exec_lo, s2
	s_set_vgpr_msb 0x44                     ;  msbs: dst=1 src0=0 src1=1 src2=0
	v_add_nc_u64_e32 v[46:47] /*v[302:303]*/, 3, v[40:41] /*v[296:297]*/
	v_mov_b32_e32 v45 /*v301*/, 0
	s_delay_alu instid0(VALU_DEP_2)
	v_cmp_gt_i64_e32 vcc_lo, s[4:5], v[46:47] /*v[302:303]*/
	v_mov_b32_e32 v46 /*v302*/, 0
	s_and_saveexec_b32 s2, vcc_lo
	s_set_vgpr_msb 0                        ;  msbs: dst=0 src0=0 src1=0 src2=0
	s_cbranch_execz .LBB84_158
; %bb.157:                              ;   in Loop: Header=BB84_147 Depth=1
	s_set_vgpr_msb 0x41                     ;  msbs: dst=1 src0=1 src1=0 src2=0
	v_add_nc_u64_e32 v[46:47] /*v[302:303]*/, v[24:25] /*v[280:281]*/, v[162:163]
	v_add_nc_u64_e32 v[48:49] /*v[304:305]*/, v[26:27] /*v[282:283]*/, v[162:163]
	s_set_vgpr_msb 1                        ;  msbs: dst=0 src0=1 src1=0 src2=0
	global_load_u16 v7, v[46:47] /*v[302:303]*/, off
	s_set_vgpr_msb 0x41                     ;  msbs: dst=1 src0=1 src1=0 src2=0
	global_load_u16 v50 /*v306*/, v[48:49] /*v[304:305]*/, off
	s_wait_loadcnt 0x1
	s_set_vgpr_msb 0                        ;  msbs: dst=0 src0=0 src1=0 src2=0
	v_cvt_f32_f16_e32 v7, v7
	s_wait_loadcnt 0x0
	s_set_vgpr_msb 0x41                     ;  msbs: dst=1 src0=1 src1=0 src2=0
	v_cvt_f32_f16_e64 v46 /*v302*/, v50 /*v306*/
.LBB84_158:                             ;   in Loop: Header=BB84_147 Depth=1
	s_or_b32 exec_lo, exec_lo, s2
	s_set_vgpr_msb 0x44                     ;  msbs: dst=1 src0=0 src1=1 src2=0
	v_add_nc_u64_e32 v[48:49] /*v[304:305]*/, 4, v[40:41] /*v[296:297]*/
	s_mov_b32 s2, exec_lo
	s_delay_alu instid0(VALU_DEP_1)
	v_cmpx_gt_i64_e64 s[4:5], v[48:49] /*v[304:305]*/
	s_set_vgpr_msb 0                        ;  msbs: dst=0 src0=0 src1=0 src2=0
	s_cbranch_execz .LBB84_160
; %bb.159:                              ;   in Loop: Header=BB84_147 Depth=1
	s_set_vgpr_msb 0x41                     ;  msbs: dst=1 src0=1 src1=0 src2=0
	v_add_nc_u64_e32 v[48:49] /*v[304:305]*/, v[20:21] /*v[276:277]*/, v[162:163]
	v_add_nc_u64_e32 v[50:51] /*v[306:307]*/, v[22:23] /*v[278:279]*/, v[162:163]
	s_set_vgpr_msb 1                        ;  msbs: dst=0 src0=1 src1=0 src2=0
	global_load_u16 v8, v[48:49] /*v[304:305]*/, off
	s_set_vgpr_msb 0x41                     ;  msbs: dst=1 src0=1 src1=0 src2=0
	global_load_u16 v45 /*v301*/, v[50:51] /*v[306:307]*/, off
	s_wait_loadcnt 0x1
	s_set_vgpr_msb 0                        ;  msbs: dst=0 src0=0 src1=0 src2=0
	v_cvt_f32_f16_e32 v8, v8
	s_wait_loadcnt 0x0
	s_set_vgpr_msb 0x41                     ;  msbs: dst=1 src0=1 src1=0 src2=0
	v_cvt_f32_f16_e64 v45 /*v301*/, v45 /*v301*/
.LBB84_160:                             ;   in Loop: Header=BB84_147 Depth=1
	s_or_b32 exec_lo, exec_lo, s2
	s_set_vgpr_msb 0x44                     ;  msbs: dst=1 src0=0 src1=1 src2=0
	v_add_nc_u64_e32 v[48:49] /*v[304:305]*/, 5, v[40:41] /*v[296:297]*/
	v_mov_b32_e32 v47 /*v303*/, 0
	s_delay_alu instid0(VALU_DEP_2)
	v_cmp_gt_i64_e32 vcc_lo, s[4:5], v[48:49] /*v[304:305]*/
	v_mov_b32_e32 v48 /*v304*/, 0
	s_and_saveexec_b32 s2, vcc_lo
	s_set_vgpr_msb 0                        ;  msbs: dst=0 src0=0 src1=0 src2=0
	s_cbranch_execz .LBB84_162
; %bb.161:                              ;   in Loop: Header=BB84_147 Depth=1
	s_set_vgpr_msb 0x41                     ;  msbs: dst=1 src0=1 src1=0 src2=0
	v_add_nc_u64_e32 v[48:49] /*v[304:305]*/, v[16:17] /*v[272:273]*/, v[162:163]
	v_add_nc_u64_e32 v[50:51] /*v[306:307]*/, v[18:19] /*v[274:275]*/, v[162:163]
	s_set_vgpr_msb 1                        ;  msbs: dst=0 src0=1 src1=0 src2=0
	global_load_u16 v9, v[48:49] /*v[304:305]*/, off
	s_set_vgpr_msb 0x41                     ;  msbs: dst=1 src0=1 src1=0 src2=0
	global_load_u16 v52 /*v308*/, v[50:51] /*v[306:307]*/, off
	s_wait_loadcnt 0x1
	s_set_vgpr_msb 0                        ;  msbs: dst=0 src0=0 src1=0 src2=0
	v_cvt_f32_f16_e32 v9, v9
	s_wait_loadcnt 0x0
	s_set_vgpr_msb 0x41                     ;  msbs: dst=1 src0=1 src1=0 src2=0
	v_cvt_f32_f16_e64 v48 /*v304*/, v52 /*v308*/
.LBB84_162:                             ;   in Loop: Header=BB84_147 Depth=1
	s_or_b32 exec_lo, exec_lo, s2
	s_set_vgpr_msb 0x44                     ;  msbs: dst=1 src0=0 src1=1 src2=0
	v_add_nc_u64_e32 v[50:51] /*v[306:307]*/, 6, v[40:41] /*v[296:297]*/
	s_mov_b32 s2, exec_lo
	s_delay_alu instid0(VALU_DEP_1)
	v_cmpx_gt_i64_e64 s[4:5], v[50:51] /*v[306:307]*/
	s_set_vgpr_msb 0                        ;  msbs: dst=0 src0=0 src1=0 src2=0
	s_cbranch_execz .LBB84_164
; %bb.163:                              ;   in Loop: Header=BB84_147 Depth=1
	s_set_vgpr_msb 0x41                     ;  msbs: dst=1 src0=1 src1=0 src2=0
	v_add_nc_u64_e32 v[50:51] /*v[306:307]*/, v[12:13] /*v[268:269]*/, v[162:163]
	v_add_nc_u64_e32 v[52:53] /*v[308:309]*/, v[14:15] /*v[270:271]*/, v[162:163]
	s_set_vgpr_msb 1                        ;  msbs: dst=0 src0=1 src1=0 src2=0
	global_load_u16 v10, v[50:51] /*v[306:307]*/, off
	s_set_vgpr_msb 0x41                     ;  msbs: dst=1 src0=1 src1=0 src2=0
	global_load_u16 v47 /*v303*/, v[52:53] /*v[308:309]*/, off
	s_wait_loadcnt 0x1
	s_set_vgpr_msb 0                        ;  msbs: dst=0 src0=0 src1=0 src2=0
	v_cvt_f32_f16_e32 v10, v10
	s_wait_loadcnt 0x0
	s_set_vgpr_msb 0x41                     ;  msbs: dst=1 src0=1 src1=0 src2=0
	v_cvt_f32_f16_e64 v47 /*v303*/, v47 /*v303*/
.LBB84_164:                             ;   in Loop: Header=BB84_147 Depth=1
	s_or_b32 exec_lo, exec_lo, s2
	s_set_vgpr_msb 0x44                     ;  msbs: dst=1 src0=0 src1=1 src2=0
	v_add_nc_u64_e32 v[50:51] /*v[306:307]*/, 7, v[40:41] /*v[296:297]*/
	s_delay_alu instid0(VALU_DEP_1)
	v_cmp_gt_i64_e32 vcc_lo, s[4:5], v[50:51] /*v[306:307]*/
	v_dual_mov_b32 v50 /*v306*/, 0 :: v_dual_mov_b32 v51 /*v307*/, 0
	s_and_saveexec_b32 s2, vcc_lo
	s_set_vgpr_msb 0                        ;  msbs: dst=0 src0=0 src1=0 src2=0
	s_cbranch_execz .LBB84_166
; %bb.165:                              ;   in Loop: Header=BB84_147 Depth=1
	s_set_vgpr_msb 0x41                     ;  msbs: dst=1 src0=1 src1=0 src2=0
	v_add_nc_u64_e32 v[52:53] /*v[308:309]*/, v[8:9] /*v[264:265]*/, v[162:163]
	v_add_nc_u64_e32 v[54:55] /*v[310:311]*/, v[10:11] /*v[266:267]*/, v[162:163]
	s_set_vgpr_msb 1                        ;  msbs: dst=0 src0=1 src1=0 src2=0
	global_load_u16 v11, v[52:53] /*v[308:309]*/, off
	s_set_vgpr_msb 0x41                     ;  msbs: dst=1 src0=1 src1=0 src2=0
	global_load_u16 v49 /*v305*/, v[54:55] /*v[310:311]*/, off
	s_wait_loadcnt 0x1
	s_set_vgpr_msb 0                        ;  msbs: dst=0 src0=0 src1=0 src2=0
	v_cvt_f32_f16_e32 v11, v11
	s_wait_loadcnt 0x0
	s_set_vgpr_msb 0x41                     ;  msbs: dst=1 src0=1 src1=0 src2=0
	v_cvt_f32_f16_e64 v51 /*v307*/, v49 /*v305*/
.LBB84_166:                             ;   in Loop: Header=BB84_147 Depth=1
	s_or_b32 exec_lo, exec_lo, s2
	s_set_vgpr_msb 0x44                     ;  msbs: dst=1 src0=0 src1=1 src2=0
	v_add_nc_u64_e32 v[52:53] /*v[308:309]*/, 8, v[40:41] /*v[296:297]*/
	s_mov_b32 s2, exec_lo
	s_delay_alu instid0(VALU_DEP_1)
	v_cmpx_gt_i64_e64 s[4:5], v[52:53] /*v[308:309]*/
	s_set_vgpr_msb 0                        ;  msbs: dst=0 src0=0 src1=0 src2=0
	s_cbranch_execz .LBB84_168
; %bb.167:                              ;   in Loop: Header=BB84_147 Depth=1
	s_set_vgpr_msb 0x41                     ;  msbs: dst=1 src0=1 src1=0 src2=0
	v_add_nc_u64_e32 v[52:53] /*v[308:309]*/, v[4:5] /*v[260:261]*/, v[162:163]
	v_add_nc_u64_e32 v[54:55] /*v[310:311]*/, v[6:7] /*v[262:263]*/, v[162:163]
	s_set_vgpr_msb 1                        ;  msbs: dst=0 src0=1 src1=0 src2=0
	global_load_u16 v12, v[52:53] /*v[308:309]*/, off
	s_set_vgpr_msb 0x41                     ;  msbs: dst=1 src0=1 src1=0 src2=0
	global_load_u16 v49 /*v305*/, v[54:55] /*v[310:311]*/, off
	s_wait_loadcnt 0x1
	s_set_vgpr_msb 0                        ;  msbs: dst=0 src0=0 src1=0 src2=0
	v_cvt_f32_f16_e32 v12, v12
	s_wait_loadcnt 0x0
	s_set_vgpr_msb 0x41                     ;  msbs: dst=1 src0=1 src1=0 src2=0
	v_cvt_f32_f16_e64 v50 /*v306*/, v49 /*v305*/
.LBB84_168:                             ;   in Loop: Header=BB84_147 Depth=1
	s_or_b32 exec_lo, exec_lo, s2
	s_set_vgpr_msb 0x44                     ;  msbs: dst=1 src0=0 src1=1 src2=0
	v_add_nc_u64_e32 v[52:53] /*v[308:309]*/, 9, v[40:41] /*v[296:297]*/
	v_dual_mov_b32 v54 /*v310*/, 0 :: v_dual_mov_b32 v56 /*v312*/, 0
	s_mov_b32 s2, exec_lo
	s_delay_alu instid0(VALU_DEP_2)
	v_cmpx_gt_i64_e64 s[4:5], v[52:53] /*v[308:309]*/
	s_set_vgpr_msb 0                        ;  msbs: dst=0 src0=0 src1=0 src2=0
	s_cbranch_execz .LBB84_170
; %bb.169:                              ;   in Loop: Header=BB84_147 Depth=1
	s_set_vgpr_msb 0x41                     ;  msbs: dst=1 src0=1 src1=0 src2=0
	v_add_nc_u64_e32 v[52:53] /*v[308:309]*/, v[0:1] /*v[256:257]*/, v[162:163]
	v_add_nc_u64_e32 v[56:57] /*v[312:313]*/, v[2:3] /*v[258:259]*/, v[162:163]
	s_set_vgpr_msb 1                        ;  msbs: dst=0 src0=1 src1=0 src2=0
	global_load_u16 v13, v[52:53] /*v[308:309]*/, off
	s_set_vgpr_msb 0x41                     ;  msbs: dst=1 src0=1 src1=0 src2=0
	global_load_u16 v49 /*v305*/, v[56:57] /*v[312:313]*/, off
	s_wait_loadcnt 0x1
	s_set_vgpr_msb 0                        ;  msbs: dst=0 src0=0 src1=0 src2=0
	v_cvt_f32_f16_e32 v13, v13
	s_wait_loadcnt 0x0
	s_set_vgpr_msb 0x41                     ;  msbs: dst=1 src0=1 src1=0 src2=0
	v_cvt_f32_f16_e64 v56 /*v312*/, v49 /*v305*/
.LBB84_170:                             ;   in Loop: Header=BB84_147 Depth=1
	s_or_b32 exec_lo, exec_lo, s2
	s_set_vgpr_msb 0x44                     ;  msbs: dst=1 src0=0 src1=1 src2=0
	v_add_nc_u64_e32 v[52:53] /*v[308:309]*/, 10, v[40:41] /*v[296:297]*/
	s_mov_b32 s2, exec_lo
	s_delay_alu instid0(VALU_DEP_1)
	v_cmpx_gt_i64_e64 s[4:5], v[52:53] /*v[308:309]*/
	s_set_vgpr_msb 0                        ;  msbs: dst=0 src0=0 src1=0 src2=0
	s_cbranch_execz .LBB84_172
; %bb.171:                              ;   in Loop: Header=BB84_147 Depth=1
	s_set_vgpr_msb 64                       ;  msbs: dst=1 src0=0 src1=0 src2=0
	v_add_nc_u64_e32 v[52:53] /*v[308:309]*/, v[252:253], v[162:163]
	v_add_nc_u64_e32 v[54:55] /*v[310:311]*/, v[254:255], v[162:163]
	s_set_vgpr_msb 1                        ;  msbs: dst=0 src0=1 src1=0 src2=0
	global_load_u16 v14, v[52:53] /*v[308:309]*/, off
	s_set_vgpr_msb 0x41                     ;  msbs: dst=1 src0=1 src1=0 src2=0
	global_load_u16 v49 /*v305*/, v[54:55] /*v[310:311]*/, off
	s_wait_loadcnt 0x1
	s_set_vgpr_msb 0                        ;  msbs: dst=0 src0=0 src1=0 src2=0
	v_cvt_f32_f16_e32 v14, v14
	s_wait_loadcnt 0x0
	s_set_vgpr_msb 0x41                     ;  msbs: dst=1 src0=1 src1=0 src2=0
	v_cvt_f32_f16_e64 v54 /*v310*/, v49 /*v305*/
.LBB84_172:                             ;   in Loop: Header=BB84_147 Depth=1
	s_or_b32 exec_lo, exec_lo, s2
	s_set_vgpr_msb 0x44                     ;  msbs: dst=1 src0=0 src1=1 src2=0
	v_add_nc_u64_e32 v[52:53] /*v[308:309]*/, 11, v[40:41] /*v[296:297]*/
	v_mov_b32_e32 v49 /*v305*/, 0
	s_delay_alu instid0(VALU_DEP_2)
	v_cmp_gt_i64_e32 vcc_lo, s[4:5], v[52:53] /*v[308:309]*/
	v_mov_b32_e32 v52 /*v308*/, 0
	s_and_saveexec_b32 s2, vcc_lo
	s_set_vgpr_msb 0                        ;  msbs: dst=0 src0=0 src1=0 src2=0
	s_cbranch_execz .LBB84_174
; %bb.173:                              ;   in Loop: Header=BB84_147 Depth=1
	s_set_vgpr_msb 64                       ;  msbs: dst=1 src0=0 src1=0 src2=0
	v_add_nc_u64_e32 v[52:53] /*v[308:309]*/, v[248:249], v[162:163]
	v_add_nc_u64_e32 v[58:59] /*v[314:315]*/, v[250:251], v[162:163]
	s_set_vgpr_msb 1                        ;  msbs: dst=0 src0=1 src1=0 src2=0
	global_load_u16 v15, v[52:53] /*v[308:309]*/, off
	s_set_vgpr_msb 0x41                     ;  msbs: dst=1 src0=1 src1=0 src2=0
	global_load_u16 v55 /*v311*/, v[58:59] /*v[314:315]*/, off
	s_wait_loadcnt 0x1
	s_set_vgpr_msb 0                        ;  msbs: dst=0 src0=0 src1=0 src2=0
	v_cvt_f32_f16_e32 v15, v15
	s_wait_loadcnt 0x0
	s_set_vgpr_msb 0x41                     ;  msbs: dst=1 src0=1 src1=0 src2=0
	v_cvt_f32_f16_e64 v52 /*v308*/, v55 /*v311*/
.LBB84_174:                             ;   in Loop: Header=BB84_147 Depth=1
	s_or_b32 exec_lo, exec_lo, s2
	s_set_vgpr_msb 0x44                     ;  msbs: dst=1 src0=0 src1=1 src2=0
	v_add_nc_u64_e32 v[58:59] /*v[314:315]*/, 12, v[40:41] /*v[296:297]*/
	s_mov_b32 s2, exec_lo
	s_delay_alu instid0(VALU_DEP_1)
	v_cmpx_gt_i64_e64 s[4:5], v[58:59] /*v[314:315]*/
	s_set_vgpr_msb 0                        ;  msbs: dst=0 src0=0 src1=0 src2=0
	s_cbranch_execz .LBB84_176
; %bb.175:                              ;   in Loop: Header=BB84_147 Depth=1
	s_set_vgpr_msb 64                       ;  msbs: dst=1 src0=0 src1=0 src2=0
	v_add_nc_u64_e32 v[58:59] /*v[314:315]*/, v[244:245], v[162:163]
	v_add_nc_u64_e32 v[60:61] /*v[316:317]*/, v[246:247], v[162:163]
	s_set_vgpr_msb 1                        ;  msbs: dst=0 src0=1 src1=0 src2=0
	global_load_u16 v16, v[58:59] /*v[314:315]*/, off
	s_set_vgpr_msb 0x41                     ;  msbs: dst=1 src0=1 src1=0 src2=0
	global_load_u16 v49 /*v305*/, v[60:61] /*v[316:317]*/, off
	s_wait_loadcnt 0x1
	s_set_vgpr_msb 0                        ;  msbs: dst=0 src0=0 src1=0 src2=0
	v_cvt_f32_f16_e32 v16, v16
	s_wait_loadcnt 0x0
	s_set_vgpr_msb 0x41                     ;  msbs: dst=1 src0=1 src1=0 src2=0
	v_cvt_f32_f16_e64 v49 /*v305*/, v49 /*v305*/
.LBB84_176:                             ;   in Loop: Header=BB84_147 Depth=1
	s_or_b32 exec_lo, exec_lo, s2
	s_set_vgpr_msb 0x44                     ;  msbs: dst=1 src0=0 src1=1 src2=0
	v_add_nc_u64_e32 v[58:59] /*v[314:315]*/, 13, v[40:41] /*v[296:297]*/
	v_dual_mov_b32 v53 /*v309*/, 0 :: v_dual_mov_b32 v55 /*v311*/, 0
	s_mov_b32 s2, exec_lo
	s_delay_alu instid0(VALU_DEP_2)
	v_cmpx_gt_i64_e64 s[4:5], v[58:59] /*v[314:315]*/
	s_set_vgpr_msb 0                        ;  msbs: dst=0 src0=0 src1=0 src2=0
	s_cbranch_execz .LBB84_178
; %bb.177:                              ;   in Loop: Header=BB84_147 Depth=1
	s_set_vgpr_msb 64                       ;  msbs: dst=1 src0=0 src1=0 src2=0
	v_add_nc_u64_e32 v[58:59] /*v[314:315]*/, v[240:241], v[162:163]
	v_add_nc_u64_e32 v[60:61] /*v[316:317]*/, v[242:243], v[162:163]
	s_set_vgpr_msb 1                        ;  msbs: dst=0 src0=1 src1=0 src2=0
	global_load_u16 v17, v[58:59] /*v[314:315]*/, off
	s_set_vgpr_msb 0x41                     ;  msbs: dst=1 src0=1 src1=0 src2=0
	global_load_u16 v55 /*v311*/, v[60:61] /*v[316:317]*/, off
	s_wait_loadcnt 0x1
	s_set_vgpr_msb 0                        ;  msbs: dst=0 src0=0 src1=0 src2=0
	v_cvt_f32_f16_e32 v17, v17
	s_wait_loadcnt 0x0
	s_set_vgpr_msb 0x41                     ;  msbs: dst=1 src0=1 src1=0 src2=0
	v_cvt_f32_f16_e64 v55 /*v311*/, v55 /*v311*/
.LBB84_178:                             ;   in Loop: Header=BB84_147 Depth=1
	s_or_b32 exec_lo, exec_lo, s2
	s_set_vgpr_msb 0x44                     ;  msbs: dst=1 src0=0 src1=1 src2=0
	v_add_nc_u64_e32 v[58:59] /*v[314:315]*/, 14, v[40:41] /*v[296:297]*/
	s_mov_b32 s2, exec_lo
	s_delay_alu instid0(VALU_DEP_1)
	v_cmpx_gt_i64_e64 s[4:5], v[58:59] /*v[314:315]*/
	s_set_vgpr_msb 0                        ;  msbs: dst=0 src0=0 src1=0 src2=0
	s_cbranch_execz .LBB84_180
; %bb.179:                              ;   in Loop: Header=BB84_147 Depth=1
	s_set_vgpr_msb 64                       ;  msbs: dst=1 src0=0 src1=0 src2=0
	v_add_nc_u64_e32 v[58:59] /*v[314:315]*/, v[236:237], v[162:163]
	v_add_nc_u64_e32 v[60:61] /*v[316:317]*/, v[238:239], v[162:163]
	s_set_vgpr_msb 1                        ;  msbs: dst=0 src0=1 src1=0 src2=0
	global_load_u16 v18, v[58:59] /*v[314:315]*/, off
	s_set_vgpr_msb 0x41                     ;  msbs: dst=1 src0=1 src1=0 src2=0
	global_load_u16 v53 /*v309*/, v[60:61] /*v[316:317]*/, off
	s_wait_loadcnt 0x1
	s_set_vgpr_msb 0                        ;  msbs: dst=0 src0=0 src1=0 src2=0
	v_cvt_f32_f16_e32 v18, v18
	s_wait_loadcnt 0x0
	s_set_vgpr_msb 0x41                     ;  msbs: dst=1 src0=1 src1=0 src2=0
	v_cvt_f32_f16_e64 v53 /*v309*/, v53 /*v309*/
.LBB84_180:                             ;   in Loop: Header=BB84_147 Depth=1
	s_or_b32 exec_lo, exec_lo, s2
	s_set_vgpr_msb 0x44                     ;  msbs: dst=1 src0=0 src1=1 src2=0
	v_add_nc_u64_e32 v[58:59] /*v[314:315]*/, 15, v[40:41] /*v[296:297]*/
	v_mov_b32_e32 v57 /*v313*/, 0
	s_delay_alu instid0(VALU_DEP_2)
	v_cmp_gt_i64_e32 vcc_lo, s[4:5], v[58:59] /*v[314:315]*/
	v_mov_b32_e32 v58 /*v314*/, 0
	s_and_saveexec_b32 s2, vcc_lo
	s_set_vgpr_msb 0                        ;  msbs: dst=0 src0=0 src1=0 src2=0
	s_cbranch_execz .LBB84_182
; %bb.181:                              ;   in Loop: Header=BB84_147 Depth=1
	s_set_vgpr_msb 64                       ;  msbs: dst=1 src0=0 src1=0 src2=0
	v_add_nc_u64_e32 v[58:59] /*v[314:315]*/, v[232:233], v[162:163]
	v_add_nc_u64_e32 v[60:61] /*v[316:317]*/, v[234:235], v[162:163]
	s_set_vgpr_msb 1                        ;  msbs: dst=0 src0=1 src1=0 src2=0
	global_load_u16 v19, v[58:59] /*v[314:315]*/, off
	s_set_vgpr_msb 0x41                     ;  msbs: dst=1 src0=1 src1=0 src2=0
	global_load_u16 v62 /*v318*/, v[60:61] /*v[316:317]*/, off
	s_wait_loadcnt 0x1
	s_set_vgpr_msb 0                        ;  msbs: dst=0 src0=0 src1=0 src2=0
	v_cvt_f32_f16_e32 v19, v19
	s_wait_loadcnt 0x0
	s_set_vgpr_msb 0x41                     ;  msbs: dst=1 src0=1 src1=0 src2=0
	v_cvt_f32_f16_e64 v58 /*v314*/, v62 /*v318*/
.LBB84_182:                             ;   in Loop: Header=BB84_147 Depth=1
	s_or_b32 exec_lo, exec_lo, s2
	s_set_vgpr_msb 0x44                     ;  msbs: dst=1 src0=0 src1=1 src2=0
	v_add_nc_u64_e32 v[60:61] /*v[316:317]*/, 16, v[40:41] /*v[296:297]*/
	s_mov_b32 s2, exec_lo
	s_delay_alu instid0(VALU_DEP_1)
	v_cmpx_gt_i64_e64 s[4:5], v[60:61] /*v[316:317]*/
	s_set_vgpr_msb 0                        ;  msbs: dst=0 src0=0 src1=0 src2=0
	s_cbranch_execz .LBB84_184
; %bb.183:                              ;   in Loop: Header=BB84_147 Depth=1
	s_set_vgpr_msb 64                       ;  msbs: dst=1 src0=0 src1=0 src2=0
	v_add_nc_u64_e32 v[60:61] /*v[316:317]*/, v[228:229], v[162:163]
	v_add_nc_u64_e32 v[62:63] /*v[318:319]*/, v[230:231], v[162:163]
	s_set_vgpr_msb 1                        ;  msbs: dst=0 src0=1 src1=0 src2=0
	global_load_u16 v20, v[60:61] /*v[316:317]*/, off
	s_set_vgpr_msb 0x41                     ;  msbs: dst=1 src0=1 src1=0 src2=0
	global_load_u16 v57 /*v313*/, v[62:63] /*v[318:319]*/, off
	s_wait_loadcnt 0x1
	s_set_vgpr_msb 0                        ;  msbs: dst=0 src0=0 src1=0 src2=0
	v_cvt_f32_f16_e32 v20, v20
	s_wait_loadcnt 0x0
	s_set_vgpr_msb 0x41                     ;  msbs: dst=1 src0=1 src1=0 src2=0
	v_cvt_f32_f16_e64 v57 /*v313*/, v57 /*v313*/
.LBB84_184:                             ;   in Loop: Header=BB84_147 Depth=1
	s_or_b32 exec_lo, exec_lo, s2
	s_set_vgpr_msb 0x44                     ;  msbs: dst=1 src0=0 src1=1 src2=0
	v_add_nc_u64_e32 v[60:61] /*v[316:317]*/, 17, v[40:41] /*v[296:297]*/
	v_mov_b32_e32 v59 /*v315*/, 0
	s_delay_alu instid0(VALU_DEP_2)
	v_cmp_gt_i64_e32 vcc_lo, s[4:5], v[60:61] /*v[316:317]*/
	v_mov_b32_e32 v61 /*v317*/, 0
	s_and_saveexec_b32 s2, vcc_lo
	s_set_vgpr_msb 0                        ;  msbs: dst=0 src0=0 src1=0 src2=0
	s_cbranch_execz .LBB84_186
; %bb.185:                              ;   in Loop: Header=BB84_147 Depth=1
	s_set_vgpr_msb 64                       ;  msbs: dst=1 src0=0 src1=0 src2=0
	v_add_nc_u64_e32 v[60:61] /*v[316:317]*/, v[224:225], v[162:163]
	v_add_nc_u64_e32 v[62:63] /*v[318:319]*/, v[226:227], v[162:163]
	s_set_vgpr_msb 1                        ;  msbs: dst=0 src0=1 src1=0 src2=0
	global_load_u16 v21, v[60:61] /*v[316:317]*/, off
	s_set_vgpr_msb 0x41                     ;  msbs: dst=1 src0=1 src1=0 src2=0
	global_load_u16 v64 /*v320*/, v[62:63] /*v[318:319]*/, off
	s_wait_loadcnt 0x1
	s_set_vgpr_msb 0                        ;  msbs: dst=0 src0=0 src1=0 src2=0
	v_cvt_f32_f16_e32 v21, v21
	s_wait_loadcnt 0x0
	s_set_vgpr_msb 0x41                     ;  msbs: dst=1 src0=1 src1=0 src2=0
	v_cvt_f32_f16_e64 v61 /*v317*/, v64 /*v320*/
.LBB84_186:                             ;   in Loop: Header=BB84_147 Depth=1
	s_or_b32 exec_lo, exec_lo, s2
	s_set_vgpr_msb 0x44                     ;  msbs: dst=1 src0=0 src1=1 src2=0
	v_add_nc_u64_e32 v[62:63] /*v[318:319]*/, 18, v[40:41] /*v[296:297]*/
	s_mov_b32 s2, exec_lo
	s_delay_alu instid0(VALU_DEP_1)
	v_cmpx_gt_i64_e64 s[4:5], v[62:63] /*v[318:319]*/
	s_set_vgpr_msb 0                        ;  msbs: dst=0 src0=0 src1=0 src2=0
	s_cbranch_execz .LBB84_188
; %bb.187:                              ;   in Loop: Header=BB84_147 Depth=1
	s_set_vgpr_msb 64                       ;  msbs: dst=1 src0=0 src1=0 src2=0
	v_add_nc_u64_e32 v[62:63] /*v[318:319]*/, v[220:221], v[162:163]
	v_add_nc_u64_e32 v[64:65] /*v[320:321]*/, v[222:223], v[162:163]
	s_set_vgpr_msb 1                        ;  msbs: dst=0 src0=1 src1=0 src2=0
	global_load_u16 v22, v[62:63] /*v[318:319]*/, off
	s_set_vgpr_msb 0x41                     ;  msbs: dst=1 src0=1 src1=0 src2=0
	global_load_u16 v59 /*v315*/, v[64:65] /*v[320:321]*/, off
	s_wait_loadcnt 0x1
	s_set_vgpr_msb 0                        ;  msbs: dst=0 src0=0 src1=0 src2=0
	v_cvt_f32_f16_e32 v22, v22
	s_wait_loadcnt 0x0
	s_set_vgpr_msb 0x41                     ;  msbs: dst=1 src0=1 src1=0 src2=0
	v_cvt_f32_f16_e64 v59 /*v315*/, v59 /*v315*/
.LBB84_188:                             ;   in Loop: Header=BB84_147 Depth=1
	s_or_b32 exec_lo, exec_lo, s2
	s_set_vgpr_msb 0x44                     ;  msbs: dst=1 src0=0 src1=1 src2=0
	v_add_nc_u64_e32 v[62:63] /*v[318:319]*/, 19, v[40:41] /*v[296:297]*/
	v_dual_mov_b32 v64 /*v320*/, 0 :: v_dual_mov_b32 v65 /*v321*/, 0
	s_mov_b32 s2, exec_lo
	s_delay_alu instid0(VALU_DEP_2)
	v_cmpx_gt_i64_e64 s[4:5], v[62:63] /*v[318:319]*/
	s_set_vgpr_msb 0                        ;  msbs: dst=0 src0=0 src1=0 src2=0
	s_cbranch_execz .LBB84_190
; %bb.189:                              ;   in Loop: Header=BB84_147 Depth=1
	s_set_vgpr_msb 64                       ;  msbs: dst=1 src0=0 src1=0 src2=0
	v_add_nc_u64_e32 v[62:63] /*v[318:319]*/, v[216:217], v[162:163]
	v_add_nc_u64_e32 v[66:67] /*v[322:323]*/, v[218:219], v[162:163]
	s_set_vgpr_msb 1                        ;  msbs: dst=0 src0=1 src1=0 src2=0
	global_load_u16 v23, v[62:63] /*v[318:319]*/, off
	s_set_vgpr_msb 0x41                     ;  msbs: dst=1 src0=1 src1=0 src2=0
	global_load_u16 v60 /*v316*/, v[66:67] /*v[322:323]*/, off
	s_wait_loadcnt 0x1
	s_set_vgpr_msb 0                        ;  msbs: dst=0 src0=0 src1=0 src2=0
	v_cvt_f32_f16_e32 v23, v23
	s_wait_loadcnt 0x0
	s_set_vgpr_msb 0x41                     ;  msbs: dst=1 src0=1 src1=0 src2=0
	v_cvt_f32_f16_e64 v65 /*v321*/, v60 /*v316*/
.LBB84_190:                             ;   in Loop: Header=BB84_147 Depth=1
	s_or_b32 exec_lo, exec_lo, s2
	s_set_vgpr_msb 0x44                     ;  msbs: dst=1 src0=0 src1=1 src2=0
	v_add_nc_u64_e32 v[62:63] /*v[318:319]*/, 20, v[40:41] /*v[296:297]*/
	s_mov_b32 s2, exec_lo
	s_delay_alu instid0(VALU_DEP_1)
	v_cmpx_gt_i64_e64 s[4:5], v[62:63] /*v[318:319]*/
	s_set_vgpr_msb 0                        ;  msbs: dst=0 src0=0 src1=0 src2=0
	s_cbranch_execz .LBB84_192
; %bb.191:                              ;   in Loop: Header=BB84_147 Depth=1
	s_set_vgpr_msb 64                       ;  msbs: dst=1 src0=0 src1=0 src2=0
	v_add_nc_u64_e32 v[62:63] /*v[318:319]*/, v[212:213], v[162:163]
	v_add_nc_u64_e32 v[66:67] /*v[322:323]*/, v[214:215], v[162:163]
	s_set_vgpr_msb 1                        ;  msbs: dst=0 src0=1 src1=0 src2=0
	global_load_u16 v24, v[62:63] /*v[318:319]*/, off
	s_set_vgpr_msb 0x41                     ;  msbs: dst=1 src0=1 src1=0 src2=0
	global_load_u16 v60 /*v316*/, v[66:67] /*v[322:323]*/, off
	s_wait_loadcnt 0x1
	s_set_vgpr_msb 0                        ;  msbs: dst=0 src0=0 src1=0 src2=0
	v_cvt_f32_f16_e32 v24, v24
	s_wait_loadcnt 0x0
	s_set_vgpr_msb 0x41                     ;  msbs: dst=1 src0=1 src1=0 src2=0
	v_cvt_f32_f16_e64 v64 /*v320*/, v60 /*v316*/
.LBB84_192:                             ;   in Loop: Header=BB84_147 Depth=1
	s_or_b32 exec_lo, exec_lo, s2
	s_set_vgpr_msb 0x44                     ;  msbs: dst=1 src0=0 src1=1 src2=0
	v_add_nc_u64_e32 v[62:63] /*v[318:319]*/, 21, v[40:41] /*v[296:297]*/
	v_dual_mov_b32 v60 /*v316*/, 0 :: v_dual_mov_b32 v71 /*v327*/, 0
	s_mov_b32 s2, exec_lo
	s_delay_alu instid0(VALU_DEP_2)
	v_cmpx_gt_i64_e64 s[4:5], v[62:63] /*v[318:319]*/
	s_set_vgpr_msb 0                        ;  msbs: dst=0 src0=0 src1=0 src2=0
	s_cbranch_execz .LBB84_194
; %bb.193:                              ;   in Loop: Header=BB84_147 Depth=1
	s_set_vgpr_msb 64                       ;  msbs: dst=1 src0=0 src1=0 src2=0
	v_add_nc_u64_e32 v[62:63] /*v[318:319]*/, v[208:209], v[162:163]
	v_add_nc_u64_e32 v[66:67] /*v[322:323]*/, v[210:211], v[162:163]
	s_set_vgpr_msb 1                        ;  msbs: dst=0 src0=1 src1=0 src2=0
	global_load_u16 v25, v[62:63] /*v[318:319]*/, off
	s_set_vgpr_msb 0x41                     ;  msbs: dst=1 src0=1 src1=0 src2=0
	global_load_u16 v68 /*v324*/, v[66:67] /*v[322:323]*/, off
	s_wait_loadcnt 0x1
	s_set_vgpr_msb 0                        ;  msbs: dst=0 src0=0 src1=0 src2=0
	v_cvt_f32_f16_e32 v25, v25
	s_wait_loadcnt 0x0
	s_set_vgpr_msb 0x41                     ;  msbs: dst=1 src0=1 src1=0 src2=0
	v_cvt_f32_f16_e64 v71 /*v327*/, v68 /*v324*/
.LBB84_194:                             ;   in Loop: Header=BB84_147 Depth=1
	s_or_b32 exec_lo, exec_lo, s2
	s_set_vgpr_msb 0x44                     ;  msbs: dst=1 src0=0 src1=1 src2=0
	v_add_nc_u64_e32 v[62:63] /*v[318:319]*/, 22, v[40:41] /*v[296:297]*/
	s_mov_b32 s2, exec_lo
	s_delay_alu instid0(VALU_DEP_1)
	v_cmpx_gt_i64_e64 s[4:5], v[62:63] /*v[318:319]*/
	s_set_vgpr_msb 0                        ;  msbs: dst=0 src0=0 src1=0 src2=0
	s_cbranch_execz .LBB84_196
; %bb.195:                              ;   in Loop: Header=BB84_147 Depth=1
	s_set_vgpr_msb 64                       ;  msbs: dst=1 src0=0 src1=0 src2=0
	v_add_nc_u64_e32 v[62:63] /*v[318:319]*/, v[204:205], v[162:163]
	v_add_nc_u64_e32 v[66:67] /*v[322:323]*/, v[206:207], v[162:163]
	s_set_vgpr_msb 1                        ;  msbs: dst=0 src0=1 src1=0 src2=0
	global_load_u16 v26, v[62:63] /*v[318:319]*/, off
	s_set_vgpr_msb 0x41                     ;  msbs: dst=1 src0=1 src1=0 src2=0
	global_load_u16 v60 /*v316*/, v[66:67] /*v[322:323]*/, off
	s_wait_loadcnt 0x1
	s_set_vgpr_msb 0                        ;  msbs: dst=0 src0=0 src1=0 src2=0
	v_cvt_f32_f16_e32 v26, v26
	s_wait_loadcnt 0x0
	s_set_vgpr_msb 0x41                     ;  msbs: dst=1 src0=1 src1=0 src2=0
	v_cvt_f32_f16_e64 v60 /*v316*/, v60 /*v316*/
.LBB84_196:                             ;   in Loop: Header=BB84_147 Depth=1
	s_or_b32 exec_lo, exec_lo, s2
	s_set_vgpr_msb 0x44                     ;  msbs: dst=1 src0=0 src1=1 src2=0
	v_add_nc_u64_e32 v[62:63] /*v[318:319]*/, 23, v[40:41] /*v[296:297]*/
	s_delay_alu instid0(VALU_DEP_1)
	v_cmp_gt_i64_e32 vcc_lo, s[4:5], v[62:63] /*v[318:319]*/
	v_dual_mov_b32 v62 /*v318*/, 0 :: v_dual_mov_b32 v63 /*v319*/, 0
	s_and_saveexec_b32 s2, vcc_lo
	s_set_vgpr_msb 0                        ;  msbs: dst=0 src0=0 src1=0 src2=0
	s_cbranch_execz .LBB84_198
; %bb.197:                              ;   in Loop: Header=BB84_147 Depth=1
	s_set_vgpr_msb 64                       ;  msbs: dst=1 src0=0 src1=0 src2=0
	v_add_nc_u64_e32 v[66:67] /*v[322:323]*/, v[200:201], v[162:163]
	v_add_nc_u64_e32 v[68:69] /*v[324:325]*/, v[202:203], v[162:163]
	s_set_vgpr_msb 1                        ;  msbs: dst=0 src0=1 src1=0 src2=0
	global_load_u16 v27, v[66:67] /*v[322:323]*/, off
	s_set_vgpr_msb 0x41                     ;  msbs: dst=1 src0=1 src1=0 src2=0
	global_load_u16 v63 /*v319*/, v[68:69] /*v[324:325]*/, off
	s_wait_loadcnt 0x1
	s_set_vgpr_msb 0                        ;  msbs: dst=0 src0=0 src1=0 src2=0
	v_cvt_f32_f16_e32 v27, v27
	s_wait_loadcnt 0x0
	s_set_vgpr_msb 0x41                     ;  msbs: dst=1 src0=1 src1=0 src2=0
	v_cvt_f32_f16_e64 v63 /*v319*/, v63 /*v319*/
.LBB84_198:                             ;   in Loop: Header=BB84_147 Depth=1
	s_or_b32 exec_lo, exec_lo, s2
	s_set_vgpr_msb 0x44                     ;  msbs: dst=1 src0=0 src1=1 src2=0
	v_add_nc_u64_e32 v[66:67] /*v[322:323]*/, 24, v[40:41] /*v[296:297]*/
	s_mov_b32 s2, exec_lo
	s_delay_alu instid0(VALU_DEP_1)
	v_cmpx_gt_i64_e64 s[4:5], v[66:67] /*v[322:323]*/
	s_set_vgpr_msb 0                        ;  msbs: dst=0 src0=0 src1=0 src2=0
	s_cbranch_execz .LBB84_200
; %bb.199:                              ;   in Loop: Header=BB84_147 Depth=1
	s_set_vgpr_msb 64                       ;  msbs: dst=1 src0=0 src1=0 src2=0
	v_add_nc_u64_e32 v[66:67] /*v[322:323]*/, v[196:197], v[162:163]
	v_add_nc_u64_e32 v[68:69] /*v[324:325]*/, v[198:199], v[162:163]
	s_set_vgpr_msb 1                        ;  msbs: dst=0 src0=1 src1=0 src2=0
	global_load_u16 v28, v[66:67] /*v[322:323]*/, off
	s_set_vgpr_msb 0x41                     ;  msbs: dst=1 src0=1 src1=0 src2=0
	global_load_u16 v62 /*v318*/, v[68:69] /*v[324:325]*/, off
	s_wait_loadcnt 0x1
	s_set_vgpr_msb 0                        ;  msbs: dst=0 src0=0 src1=0 src2=0
	v_cvt_f32_f16_e32 v28, v28
	s_wait_loadcnt 0x0
	s_set_vgpr_msb 0x41                     ;  msbs: dst=1 src0=1 src1=0 src2=0
	v_cvt_f32_f16_e64 v62 /*v318*/, v62 /*v318*/
.LBB84_200:                             ;   in Loop: Header=BB84_147 Depth=1
	s_or_b32 exec_lo, exec_lo, s2
	s_set_vgpr_msb 0x44                     ;  msbs: dst=1 src0=0 src1=1 src2=0
	v_add_nc_u64_e32 v[66:67] /*v[322:323]*/, 25, v[40:41] /*v[296:297]*/
	s_delay_alu instid0(VALU_DEP_1)
	v_cmp_gt_i64_e32 vcc_lo, s[4:5], v[66:67] /*v[322:323]*/
	v_dual_mov_b32 v66 /*v322*/, 0 :: v_dual_mov_b32 v67 /*v323*/, 0
	s_and_saveexec_b32 s2, vcc_lo
	;; [unrolled: 47-line block ×4, first 2 shown]
	s_set_vgpr_msb 0                        ;  msbs: dst=0 src0=0 src1=0 src2=0
	s_cbranch_execz .LBB84_210
; %bb.209:                              ;   in Loop: Header=BB84_147 Depth=1
	s_set_vgpr_msb 64                       ;  msbs: dst=1 src0=0 src1=0 src2=0
	v_add_nc_u64_e32 v[74:75] /*v[330:331]*/, v[176:177], v[162:163]
	v_add_nc_u64_e32 v[76:77] /*v[332:333]*/, v[178:179], v[162:163]
	s_set_vgpr_msb 1                        ;  msbs: dst=0 src0=1 src1=0 src2=0
	global_load_u16 v33, v[74:75] /*v[330:331]*/, off
	s_set_vgpr_msb 0x41                     ;  msbs: dst=1 src0=1 src1=0 src2=0
	global_load_u16 v70 /*v326*/, v[76:77] /*v[332:333]*/, off
	s_wait_loadcnt 0x1
	s_set_vgpr_msb 0                        ;  msbs: dst=0 src0=0 src1=0 src2=0
	v_cvt_f32_f16_e32 v33, v33
	s_wait_loadcnt 0x0
	s_set_vgpr_msb 0x41                     ;  msbs: dst=1 src0=1 src1=0 src2=0
	v_cvt_f32_f16_e64 v73 /*v329*/, v70 /*v326*/
.LBB84_210:                             ;   in Loop: Header=BB84_147 Depth=1
	s_or_b32 exec_lo, exec_lo, s2
	s_set_vgpr_msb 0x44                     ;  msbs: dst=1 src0=0 src1=1 src2=0
	v_add_nc_u64_e32 v[74:75] /*v[330:331]*/, 30, v[40:41] /*v[296:297]*/
	s_mov_b32 s2, exec_lo
	s_delay_alu instid0(VALU_DEP_1)
	v_cmpx_gt_i64_e64 s[4:5], v[74:75] /*v[330:331]*/
	s_set_vgpr_msb 0                        ;  msbs: dst=0 src0=0 src1=0 src2=0
	s_cbranch_execz .LBB84_212
; %bb.211:                              ;   in Loop: Header=BB84_147 Depth=1
	s_set_vgpr_msb 64                       ;  msbs: dst=1 src0=0 src1=0 src2=0
	v_add_nc_u64_e32 v[74:75] /*v[330:331]*/, v[172:173], v[162:163]
	v_add_nc_u64_e32 v[76:77] /*v[332:333]*/, v[174:175], v[162:163]
	s_set_vgpr_msb 1                        ;  msbs: dst=0 src0=1 src1=0 src2=0
	global_load_u16 v34, v[74:75] /*v[330:331]*/, off
	s_set_vgpr_msb 0x41                     ;  msbs: dst=1 src0=1 src1=0 src2=0
	global_load_u16 v70 /*v326*/, v[76:77] /*v[332:333]*/, off
	s_wait_loadcnt 0x1
	s_set_vgpr_msb 0                        ;  msbs: dst=0 src0=0 src1=0 src2=0
	v_cvt_f32_f16_e32 v34, v34
	s_wait_loadcnt 0x0
	s_set_vgpr_msb 0x41                     ;  msbs: dst=1 src0=1 src1=0 src2=0
	v_cvt_f32_f16_e64 v72 /*v328*/, v70 /*v326*/
.LBB84_212:                             ;   in Loop: Header=BB84_147 Depth=1
	s_or_b32 exec_lo, exec_lo, s2
	s_set_vgpr_msb 0x44                     ;  msbs: dst=1 src0=0 src1=1 src2=0
	v_add_nc_u64_e32 v[74:75] /*v[330:331]*/, 31, v[40:41] /*v[296:297]*/
	v_mov_b32_e32 v70 /*v326*/, 0
	s_mov_b32 s2, exec_lo
	s_delay_alu instid0(VALU_DEP_2)
	v_cmpx_gt_i64_e64 s[4:5], v[74:75] /*v[330:331]*/
	s_set_vgpr_msb 0                        ;  msbs: dst=0 src0=0 src1=0 src2=0
	s_cbranch_execz .LBB84_214
; %bb.213:                              ;   in Loop: Header=BB84_147 Depth=1
	s_set_vgpr_msb 64                       ;  msbs: dst=1 src0=0 src1=0 src2=0
	v_add_nc_u64_e32 v[74:75] /*v[330:331]*/, v[168:169], v[162:163]
	v_add_nc_u64_e32 v[76:77] /*v[332:333]*/, v[170:171], v[162:163]
	s_set_vgpr_msb 1                        ;  msbs: dst=0 src0=1 src1=0 src2=0
	global_load_u16 v35, v[74:75] /*v[330:331]*/, off
	s_set_vgpr_msb 0x41                     ;  msbs: dst=1 src0=1 src1=0 src2=0
	global_load_u16 v70 /*v326*/, v[76:77] /*v[332:333]*/, off
	s_wait_loadcnt 0x1
	s_set_vgpr_msb 0                        ;  msbs: dst=0 src0=0 src1=0 src2=0
	v_cvt_f32_f16_e32 v35, v35
	s_wait_loadcnt 0x0
	s_set_vgpr_msb 0x41                     ;  msbs: dst=1 src0=1 src1=0 src2=0
	v_cvt_f32_f16_e64 v70 /*v326*/, v70 /*v326*/
.LBB84_214:                             ;   in Loop: Header=BB84_147 Depth=1
	s_or_b32 exec_lo, exec_lo, s2
	s_wait_loadcnt 0x1
	s_set_vgpr_msb 0x44                     ;  msbs: dst=1 src0=0 src1=1 src2=0
	ds_bpermute_b32 v75 /*v331*/, v2, v36 /*v292*/
	s_wait_loadcnt 0x0
	ds_bpermute_b32 v74 /*v330*/, v2, v37 /*v293*/
	v_dual_mov_b32 v78 /*v334*/, v6 :: v_dual_mov_b32 v84 /*v340*/, v12
	v_dual_mov_b32 v86 /*v342*/, v13 :: v_dual_mov_b32 v88 /*v344*/, v14
	s_mov_b32 s2, 0
	v_dual_mov_b32 v80 /*v336*/, v7 :: v_dual_mov_b32 v76 /*v332*/, v5
	v_mov_b32_e32 v82 /*v338*/, v9
	s_wait_dscnt 0x1
	s_set_vgpr_msb 0x45                     ;  msbs: dst=1 src0=1 src1=1 src2=0
	v_sub_f32_e32 v43 /*v299*/, v43 /*v299*/, v75 /*v331*/
	s_set_vgpr_msb 0x44                     ;  msbs: dst=1 src0=0 src1=1 src2=0
	s_delay_alu instid0(VALU_DEP_1) | instskip(SKIP_2) | instid1(VALU_DEP_1)
	v_mul_f32_e32 v43 /*v299*/, v4, v43 /*v299*/
	s_wait_dscnt 0x0
	s_set_vgpr_msb 0x45                     ;  msbs: dst=1 src0=1 src1=1 src2=0
	v_mul_f32_e32 v75 /*v331*/, v43 /*v299*/, v74 /*v330*/
	s_set_vgpr_msb 0x44                     ;  msbs: dst=1 src0=0 src1=1 src2=0
	ds_bpermute_b32 v74 /*v330*/, v2, v36 /*v292*/ offset:4
	ds_bpermute_b32 v43 /*v299*/, v2, v37 /*v293*/ offset:4
	s_wait_dscnt 0x1
	s_set_vgpr_msb 0x45                     ;  msbs: dst=1 src0=1 src1=1 src2=0
	v_sub_f32_e32 v44 /*v300*/, v44 /*v300*/, v74 /*v330*/
	s_set_vgpr_msb 0x44                     ;  msbs: dst=1 src0=0 src1=1 src2=0
	s_delay_alu instid0(VALU_DEP_1) | instskip(SKIP_2) | instid1(VALU_DEP_1)
	v_dual_mov_b32 v74 /*v330*/, v4 :: v_dual_mul_f32 v44 /*v300*/, v5, v44 /*v300*/
	s_wait_dscnt 0x0
	s_set_vgpr_msb 0x45                     ;  msbs: dst=1 src0=1 src1=1 src2=0
	v_mul_f32_e32 v77 /*v333*/, v44 /*v300*/, v43 /*v299*/
	s_set_vgpr_msb 0x44                     ;  msbs: dst=1 src0=0 src1=1 src2=0
	ds_bpermute_b32 v44 /*v300*/, v2, v36 /*v292*/ offset:8
	ds_bpermute_b32 v43 /*v299*/, v2, v37 /*v293*/ offset:8
	s_set_vgpr_msb 0x45                     ;  msbs: dst=1 src0=1 src1=1 src2=0
	v_pk_add_f32 v[74:75] /*v[330:331]*/, v[38:39] /*v[294:295]*/, v[74:75] /*v[330:331]*/
	s_set_vgpr_msb 5                        ;  msbs: dst=0 src0=1 src1=1 src2=0
	s_delay_alu instid0(VALU_DEP_1)
	v_pk_add_f32 v[4:5], v[76:77] /*v[332:333]*/, v[74:75] /*v[330:331]*/
	s_wait_dscnt 0x1
	s_set_vgpr_msb 4                        ;  msbs: dst=0 src0=0 src1=1 src2=0
	v_sub_f32_e32 v3, v3, v44 /*v300*/
	s_set_vgpr_msb 64                       ;  msbs: dst=1 src0=0 src1=0 src2=0
	v_mov_b32_e32 v44 /*v300*/, v8
	s_set_vgpr_msb 0                        ;  msbs: dst=0 src0=0 src1=0 src2=0
	s_delay_alu instid0(VALU_DEP_2)
	v_mul_f32_e32 v3, v6, v3
	s_set_vgpr_msb 4                        ;  msbs: dst=0 src0=0 src1=1 src2=0
	ds_bpermute_b32 v6, v2, v36 /*v292*/ offset:44
	s_wait_dscnt 0x0
	s_set_vgpr_msb 1                        ;  msbs: dst=0 src0=1 src1=0 src2=0
	v_sub_f32_e32 v6, v52 /*v308*/, v6
	s_set_vgpr_msb 64                       ;  msbs: dst=1 src0=0 src1=0 src2=0
	v_mov_b32_e32 v52 /*v308*/, v23
	s_set_vgpr_msb 0                        ;  msbs: dst=0 src0=0 src1=0 src2=0
	s_delay_alu instid0(VALU_DEP_2)
	v_mul_f32_e32 v6, v15, v6
	s_set_vgpr_msb 0x44                     ;  msbs: dst=1 src0=0 src1=1 src2=0
	v_mul_f32_e32 v79 /*v335*/, v3, v43 /*v299*/
	ds_bpermute_b32 v43 /*v299*/, v2, v36 /*v292*/ offset:12
	s_set_vgpr_msb 4                        ;  msbs: dst=0 src0=0 src1=1 src2=0
	ds_bpermute_b32 v3, v2, v37 /*v293*/ offset:12
	s_wait_dscnt 0x1
	s_set_vgpr_msb 0x45                     ;  msbs: dst=1 src0=1 src1=1 src2=0
	v_sub_f32_e32 v43 /*v299*/, v46 /*v302*/, v43 /*v299*/
	s_set_vgpr_msb 0x44                     ;  msbs: dst=1 src0=0 src1=1 src2=0
	s_delay_alu instid0(VALU_DEP_1) | instskip(SKIP_2) | instid1(VALU_DEP_1)
	v_dual_mov_b32 v46 /*v302*/, v10 :: v_dual_mul_f32 v43 /*v299*/, v7, v43 /*v299*/
	s_wait_dscnt 0x0
	s_set_vgpr_msb 0x41                     ;  msbs: dst=1 src0=1 src1=0 src2=0
	v_mul_f32_e32 v81 /*v337*/, v43 /*v299*/, v3
	s_set_vgpr_msb 0x44                     ;  msbs: dst=1 src0=0 src1=1 src2=0
	ds_bpermute_b32 v43 /*v299*/, v2, v36 /*v292*/ offset:16
	s_set_vgpr_msb 4                        ;  msbs: dst=0 src0=0 src1=1 src2=0
	ds_bpermute_b32 v3, v2, v37 /*v293*/ offset:16
	s_wait_dscnt 0x1
	s_set_vgpr_msb 0x45                     ;  msbs: dst=1 src0=1 src1=1 src2=0
	v_sub_f32_e32 v43 /*v299*/, v45 /*v301*/, v43 /*v299*/
	s_set_vgpr_msb 0x44                     ;  msbs: dst=1 src0=0 src1=1 src2=0
	s_delay_alu instid0(VALU_DEP_1)
	v_mul_f32_e32 v43 /*v299*/, v8, v43 /*v299*/
	s_set_vgpr_msb 1                        ;  msbs: dst=0 src0=1 src1=0 src2=0
	v_pk_add_f32 v[4:5], v[78:79] /*v[334:335]*/, v[4:5]
	s_set_vgpr_msb 0                        ;  msbs: dst=0 src0=0 src1=0 src2=0
	v_mov_b32_e32 v8, v16
	s_wait_dscnt 0x0
	s_set_vgpr_msb 0x41                     ;  msbs: dst=1 src0=1 src1=0 src2=0
	v_mul_f32_e32 v45 /*v301*/, v43 /*v299*/, v3
	s_set_vgpr_msb 0x44                     ;  msbs: dst=1 src0=0 src1=1 src2=0
	ds_bpermute_b32 v43 /*v299*/, v2, v36 /*v292*/ offset:20
	s_set_vgpr_msb 4                        ;  msbs: dst=0 src0=0 src1=1 src2=0
	ds_bpermute_b32 v3, v2, v37 /*v293*/ offset:20
	s_set_vgpr_msb 1                        ;  msbs: dst=0 src0=1 src1=0 src2=0
	v_pk_add_f32 v[4:5], v[80:81] /*v[336:337]*/, v[4:5]
	s_delay_alu instid0(VALU_DEP_1)
	v_pk_add_f32 v[4:5], v[44:45] /*v[300:301]*/, v[4:5]
	s_set_vgpr_msb 64                       ;  msbs: dst=1 src0=0 src1=0 src2=0
	v_mov_b32_e32 v44 /*v300*/, v19
	s_wait_dscnt 0x1
	s_set_vgpr_msb 0x45                     ;  msbs: dst=1 src0=1 src1=1 src2=0
	v_sub_f32_e32 v43 /*v299*/, v48 /*v304*/, v43 /*v299*/
	s_set_vgpr_msb 0x44                     ;  msbs: dst=1 src0=0 src1=1 src2=0
	v_mov_b32_e32 v48 /*v304*/, v21
	s_delay_alu instid0(VALU_DEP_2) | instskip(SKIP_2) | instid1(VALU_DEP_1)
	v_mul_f32_e32 v43 /*v299*/, v9, v43 /*v299*/
	s_wait_dscnt 0x0
	s_set_vgpr_msb 0x41                     ;  msbs: dst=1 src0=1 src1=0 src2=0
	v_mul_f32_e32 v83 /*v339*/, v43 /*v299*/, v3
	s_set_vgpr_msb 0x44                     ;  msbs: dst=1 src0=0 src1=1 src2=0
	ds_bpermute_b32 v43 /*v299*/, v2, v36 /*v292*/ offset:24
	s_set_vgpr_msb 4                        ;  msbs: dst=0 src0=0 src1=1 src2=0
	ds_bpermute_b32 v3, v2, v37 /*v293*/ offset:24
	s_wait_dscnt 0x1
	s_set_vgpr_msb 0x45                     ;  msbs: dst=1 src0=1 src1=1 src2=0
	v_sub_f32_e32 v43 /*v299*/, v47 /*v303*/, v43 /*v299*/
	s_set_vgpr_msb 0x44                     ;  msbs: dst=1 src0=0 src1=1 src2=0
	s_delay_alu instid0(VALU_DEP_1)
	v_mul_f32_e32 v43 /*v299*/, v10, v43 /*v299*/
	s_set_vgpr_msb 0                        ;  msbs: dst=0 src0=0 src1=0 src2=0
	v_mov_b32_e32 v10, v17
	s_wait_dscnt 0x0
	s_set_vgpr_msb 0x41                     ;  msbs: dst=1 src0=1 src1=0 src2=0
	v_mul_f32_e32 v47 /*v303*/, v43 /*v299*/, v3
	s_set_vgpr_msb 0x44                     ;  msbs: dst=1 src0=0 src1=1 src2=0
	ds_bpermute_b32 v43 /*v299*/, v2, v36 /*v292*/ offset:28
	s_set_vgpr_msb 4                        ;  msbs: dst=0 src0=0 src1=1 src2=0
	ds_bpermute_b32 v3, v2, v37 /*v293*/ offset:28
	s_set_vgpr_msb 1                        ;  msbs: dst=0 src0=1 src1=0 src2=0
	v_pk_add_f32 v[4:5], v[82:83] /*v[338:339]*/, v[4:5]
	s_delay_alu instid0(VALU_DEP_1)
	v_pk_add_f32 v[4:5], v[46:47] /*v[302:303]*/, v[4:5]
	s_set_vgpr_msb 64                       ;  msbs: dst=1 src0=0 src1=0 src2=0
	v_mov_b32_e32 v46 /*v302*/, v20
	s_wait_dscnt 0x1
	s_set_vgpr_msb 0x45                     ;  msbs: dst=1 src0=1 src1=1 src2=0
	v_sub_f32_e32 v43 /*v299*/, v51 /*v307*/, v43 /*v299*/
	s_set_vgpr_msb 0x44                     ;  msbs: dst=1 src0=0 src1=1 src2=0
	s_delay_alu instid0(VALU_DEP_1) | instskip(SKIP_2) | instid1(VALU_DEP_1)
	v_mul_f32_e32 v43 /*v299*/, v11, v43 /*v299*/
	s_wait_dscnt 0x0
	s_set_vgpr_msb 0x41                     ;  msbs: dst=1 src0=1 src1=0 src2=0
	v_mul_f32_e32 v51 /*v307*/, v43 /*v299*/, v3
	s_set_vgpr_msb 0x44                     ;  msbs: dst=1 src0=0 src1=1 src2=0
	ds_bpermute_b32 v43 /*v299*/, v2, v36 /*v292*/ offset:32
	s_set_vgpr_msb 4                        ;  msbs: dst=0 src0=0 src1=1 src2=0
	ds_bpermute_b32 v3, v2, v37 /*v293*/ offset:32
	s_wait_dscnt 0x1
	s_set_vgpr_msb 0x45                     ;  msbs: dst=1 src0=1 src1=1 src2=0
	v_sub_f32_e32 v43 /*v299*/, v50 /*v306*/, v43 /*v299*/
	s_set_vgpr_msb 0x44                     ;  msbs: dst=1 src0=0 src1=1 src2=0
	s_delay_alu instid0(VALU_DEP_1)
	v_dual_mov_b32 v50 /*v306*/, v11 :: v_dual_mul_f32 v43 /*v299*/, v12, v43 /*v299*/
	s_set_vgpr_msb 0                        ;  msbs: dst=0 src0=0 src1=0 src2=0
	v_mov_b32_e32 v12, v18
	s_wait_dscnt 0x0
	s_set_vgpr_msb 0x41                     ;  msbs: dst=1 src0=1 src1=0 src2=0
	v_mul_f32_e32 v85 /*v341*/, v43 /*v299*/, v3
	s_set_vgpr_msb 0x44                     ;  msbs: dst=1 src0=0 src1=1 src2=0
	ds_bpermute_b32 v43 /*v299*/, v2, v36 /*v292*/ offset:36
	s_set_vgpr_msb 4                        ;  msbs: dst=0 src0=0 src1=1 src2=0
	ds_bpermute_b32 v3, v2, v37 /*v293*/ offset:36
	s_set_vgpr_msb 1                        ;  msbs: dst=0 src0=1 src1=0 src2=0
	v_pk_add_f32 v[4:5], v[50:51] /*v[306:307]*/, v[4:5]
	s_set_vgpr_msb 64                       ;  msbs: dst=1 src0=0 src1=0 src2=0
	v_mov_b32_e32 v50 /*v306*/, v22
	s_set_vgpr_msb 1                        ;  msbs: dst=0 src0=1 src1=0 src2=0
	s_delay_alu instid0(VALU_DEP_2)
	v_pk_add_f32 v[4:5], v[84:85] /*v[340:341]*/, v[4:5]
	s_wait_dscnt 0x1
	s_set_vgpr_msb 0x45                     ;  msbs: dst=1 src0=1 src1=1 src2=0
	v_sub_f32_e32 v43 /*v299*/, v56 /*v312*/, v43 /*v299*/
	s_set_vgpr_msb 0x44                     ;  msbs: dst=1 src0=0 src1=1 src2=0
	v_mov_b32_e32 v56 /*v312*/, v25
	s_delay_alu instid0(VALU_DEP_2) | instskip(SKIP_2) | instid1(VALU_DEP_1)
	v_mul_f32_e32 v43 /*v299*/, v13, v43 /*v299*/
	s_wait_dscnt 0x0
	s_set_vgpr_msb 0x41                     ;  msbs: dst=1 src0=1 src1=0 src2=0
	v_mul_f32_e32 v87 /*v343*/, v43 /*v299*/, v3
	s_set_vgpr_msb 0x44                     ;  msbs: dst=1 src0=0 src1=1 src2=0
	ds_bpermute_b32 v43 /*v299*/, v2, v36 /*v292*/ offset:40
	s_set_vgpr_msb 4                        ;  msbs: dst=0 src0=0 src1=1 src2=0
	ds_bpermute_b32 v3, v2, v37 /*v293*/ offset:40
	s_wait_dscnt 0x1
	s_set_vgpr_msb 0x45                     ;  msbs: dst=1 src0=1 src1=1 src2=0
	v_sub_f32_e32 v43 /*v299*/, v54 /*v310*/, v43 /*v299*/
	s_set_vgpr_msb 0x44                     ;  msbs: dst=1 src0=0 src1=1 src2=0
	s_delay_alu instid0(VALU_DEP_1)
	v_dual_mov_b32 v54 /*v310*/, v24 :: v_dual_mul_f32 v43 /*v299*/, v14, v43 /*v299*/
	s_set_vgpr_msb 0                        ;  msbs: dst=0 src0=0 src1=0 src2=0
	v_mov_b32_e32 v14, v30
	s_wait_dscnt 0x0
	s_set_vgpr_msb 0x41                     ;  msbs: dst=1 src0=1 src1=0 src2=0
	v_mul_f32_e32 v89 /*v345*/, v43 /*v299*/, v3
	s_set_vgpr_msb 4                        ;  msbs: dst=0 src0=0 src1=1 src2=0
	ds_bpermute_b32 v3, v2, v37 /*v293*/ offset:44
	s_set_vgpr_msb 1                        ;  msbs: dst=0 src0=1 src1=0 src2=0
	v_pk_add_f32 v[4:5], v[86:87] /*v[342:343]*/, v[4:5]
	s_delay_alu instid0(VALU_DEP_1)
	v_pk_add_f32 v[4:5], v[88:89] /*v[344:345]*/, v[4:5]
	s_wait_dscnt 0x0
	s_set_vgpr_msb 0                        ;  msbs: dst=0 src0=0 src1=0 src2=0
	v_mul_f32_e32 v7, v6, v3
	s_set_vgpr_msb 4                        ;  msbs: dst=0 src0=0 src1=1 src2=0
	ds_bpermute_b32 v6, v2, v36 /*v292*/ offset:48
	ds_bpermute_b32 v3, v2, v37 /*v293*/ offset:48
	s_wait_dscnt 0x1
	s_set_vgpr_msb 1                        ;  msbs: dst=0 src0=1 src1=0 src2=0
	v_sub_f32_e32 v6, v49 /*v305*/, v6
	s_set_vgpr_msb 0                        ;  msbs: dst=0 src0=0 src1=0 src2=0
	s_delay_alu instid0(VALU_DEP_1) | instskip(SKIP_1) | instid1(VALU_DEP_1)
	v_dual_mul_f32 v6, v16, v6 :: v_dual_mov_b32 v16, v31
	s_wait_dscnt 0x0
	v_mul_f32_e32 v9, v6, v3
	s_set_vgpr_msb 4                        ;  msbs: dst=0 src0=0 src1=1 src2=0
	ds_bpermute_b32 v6, v2, v36 /*v292*/ offset:52
	ds_bpermute_b32 v3, v2, v37 /*v293*/ offset:52
	s_wait_dscnt 0x1
	s_set_vgpr_msb 1                        ;  msbs: dst=0 src0=1 src1=0 src2=0
	v_sub_f32_e32 v6, v55 /*v311*/, v6
	s_set_vgpr_msb 0                        ;  msbs: dst=0 src0=0 src1=0 src2=0
	s_delay_alu instid0(VALU_DEP_1) | instskip(SKIP_1) | instid1(VALU_DEP_1)
	v_mul_f32_e32 v6, v17, v6
	s_wait_dscnt 0x0
	v_mul_f32_e32 v11, v6, v3
	s_set_vgpr_msb 4                        ;  msbs: dst=0 src0=0 src1=1 src2=0
	ds_bpermute_b32 v6, v2, v36 /*v292*/ offset:56
	ds_bpermute_b32 v3, v2, v37 /*v293*/ offset:56
	s_wait_dscnt 0x1
	s_set_vgpr_msb 1                        ;  msbs: dst=0 src0=1 src1=0 src2=0
	v_sub_f32_e32 v6, v53 /*v309*/, v6
	s_set_vgpr_msb 0                        ;  msbs: dst=0 src0=0 src1=0 src2=0
	s_delay_alu instid0(VALU_DEP_1) | instskip(SKIP_1) | instid1(VALU_DEP_1)
	v_dual_mul_f32 v6, v18, v6 :: v_dual_mov_b32 v18, v32
	s_wait_dscnt 0x0
	v_mul_f32_e32 v13, v6, v3
	s_set_vgpr_msb 4                        ;  msbs: dst=0 src0=0 src1=1 src2=0
	ds_bpermute_b32 v6, v2, v36 /*v292*/ offset:60
	ds_bpermute_b32 v3, v2, v37 /*v293*/ offset:60
	s_wait_dscnt 0x1
	s_set_vgpr_msb 1                        ;  msbs: dst=0 src0=1 src1=0 src2=0
	v_sub_f32_e32 v6, v58 /*v314*/, v6
	s_set_vgpr_msb 0                        ;  msbs: dst=0 src0=0 src1=0 src2=0
	s_delay_alu instid0(VALU_DEP_1) | instskip(SKIP_2) | instid1(VALU_DEP_1)
	v_mul_f32_e32 v6, v19, v6
	s_wait_dscnt 0x0
	s_set_vgpr_msb 64                       ;  msbs: dst=1 src0=0 src1=0 src2=0
	v_mul_f32_e32 v45 /*v301*/, v6, v3
	s_set_vgpr_msb 4                        ;  msbs: dst=0 src0=0 src1=1 src2=0
	ds_bpermute_b32 v6, v2, v36 /*v292*/ offset:64
	ds_bpermute_b32 v3, v2, v37 /*v293*/ offset:64
	s_wait_dscnt 0x1
	s_set_vgpr_msb 1                        ;  msbs: dst=0 src0=1 src1=0 src2=0
	v_sub_f32_e32 v6, v57 /*v313*/, v6
	s_set_vgpr_msb 0                        ;  msbs: dst=0 src0=0 src1=0 src2=0
	s_delay_alu instid0(VALU_DEP_1) | instskip(SKIP_2) | instid1(VALU_DEP_1)
	v_dual_mul_f32 v6, v20, v6 :: v_dual_mov_b32 v20, v33
	s_wait_dscnt 0x0
	s_set_vgpr_msb 64                       ;  msbs: dst=1 src0=0 src1=0 src2=0
	v_mul_f32_e32 v47 /*v303*/, v6, v3
	s_set_vgpr_msb 4                        ;  msbs: dst=0 src0=0 src1=1 src2=0
	ds_bpermute_b32 v6, v2, v36 /*v292*/ offset:68
	ds_bpermute_b32 v3, v2, v37 /*v293*/ offset:68
	s_wait_dscnt 0x1
	s_set_vgpr_msb 1                        ;  msbs: dst=0 src0=1 src1=0 src2=0
	v_sub_f32_e32 v6, v61 /*v317*/, v6
	s_set_vgpr_msb 0                        ;  msbs: dst=0 src0=0 src1=0 src2=0
	s_delay_alu instid0(VALU_DEP_1) | instskip(SKIP_2) | instid1(VALU_DEP_1)
	v_mul_f32_e32 v6, v21, v6
	s_wait_dscnt 0x0
	s_set_vgpr_msb 64                       ;  msbs: dst=1 src0=0 src1=0 src2=0
	v_mul_f32_e32 v49 /*v305*/, v6, v3
	s_set_vgpr_msb 4                        ;  msbs: dst=0 src0=0 src1=1 src2=0
	ds_bpermute_b32 v6, v2, v36 /*v292*/ offset:72
	ds_bpermute_b32 v3, v2, v37 /*v293*/ offset:72
	s_wait_dscnt 0x1
	s_set_vgpr_msb 1                        ;  msbs: dst=0 src0=1 src1=0 src2=0
	v_sub_f32_e32 v6, v59 /*v315*/, v6
	s_set_vgpr_msb 0                        ;  msbs: dst=0 src0=0 src1=0 src2=0
	s_delay_alu instid0(VALU_DEP_1) | instskip(SKIP_3) | instid1(VALU_DEP_2)
	v_mul_f32_e32 v6, v22, v6
	v_mov_b32_e32 v22, v34
	s_wait_dscnt 0x0
	s_set_vgpr_msb 64                       ;  msbs: dst=1 src0=0 src1=0 src2=0
	v_mul_f32_e32 v51 /*v307*/, v6, v3
	s_set_vgpr_msb 4                        ;  msbs: dst=0 src0=0 src1=1 src2=0
	ds_bpermute_b32 v6, v2, v36 /*v292*/ offset:76
	ds_bpermute_b32 v3, v2, v37 /*v293*/ offset:76
	s_wait_dscnt 0x1
	s_set_vgpr_msb 1                        ;  msbs: dst=0 src0=1 src1=0 src2=0
	v_sub_f32_e32 v6, v65 /*v321*/, v6
	s_set_vgpr_msb 0                        ;  msbs: dst=0 src0=0 src1=0 src2=0
	s_delay_alu instid0(VALU_DEP_1) | instskip(SKIP_2) | instid1(VALU_DEP_1)
	v_mul_f32_e32 v6, v23, v6
	s_wait_dscnt 0x0
	s_set_vgpr_msb 64                       ;  msbs: dst=1 src0=0 src1=0 src2=0
	v_mul_f32_e32 v53 /*v309*/, v6, v3
	s_set_vgpr_msb 4                        ;  msbs: dst=0 src0=0 src1=1 src2=0
	ds_bpermute_b32 v6, v2, v36 /*v292*/ offset:80
	ds_bpermute_b32 v3, v2, v37 /*v293*/ offset:80
	s_wait_dscnt 0x1
	s_set_vgpr_msb 1                        ;  msbs: dst=0 src0=1 src1=0 src2=0
	v_sub_f32_e32 v6, v64 /*v320*/, v6
	s_set_vgpr_msb 0                        ;  msbs: dst=0 src0=0 src1=0 src2=0
	s_delay_alu instid0(VALU_DEP_1) | instskip(SKIP_2) | instid1(VALU_DEP_1)
	v_mul_f32_e32 v6, v24, v6
	s_wait_dscnt 0x0
	s_set_vgpr_msb 64                       ;  msbs: dst=1 src0=0 src1=0 src2=0
	v_mul_f32_e32 v55 /*v311*/, v6, v3
	s_set_vgpr_msb 4                        ;  msbs: dst=0 src0=0 src1=1 src2=0
	ds_bpermute_b32 v6, v2, v36 /*v292*/ offset:84
	ds_bpermute_b32 v3, v2, v37 /*v293*/ offset:84
	s_wait_dscnt 0x1
	s_set_vgpr_msb 1                        ;  msbs: dst=0 src0=1 src1=0 src2=0
	v_sub_f32_e32 v6, v71 /*v327*/, v6
	s_set_vgpr_msb 0                        ;  msbs: dst=0 src0=0 src1=0 src2=0
	s_delay_alu instid0(VALU_DEP_1) | instskip(SKIP_2) | instid1(VALU_DEP_1)
	v_mul_f32_e32 v6, v25, v6
	s_wait_dscnt 0x0
	s_set_vgpr_msb 64                       ;  msbs: dst=1 src0=0 src1=0 src2=0
	v_mul_f32_e32 v57 /*v313*/, v6, v3
	s_set_vgpr_msb 4                        ;  msbs: dst=0 src0=0 src1=1 src2=0
	v_mov_b32_e32 v6, v15
	ds_bpermute_b32 v3, v2, v37 /*v293*/ offset:88
	s_set_vgpr_msb 0                        ;  msbs: dst=0 src0=0 src1=0 src2=0
	v_pk_add_f32 v[4:5], v[6:7], v[4:5]
	s_set_vgpr_msb 4                        ;  msbs: dst=0 src0=0 src1=1 src2=0
	ds_bpermute_b32 v6, v2, v36 /*v292*/ offset:88
	s_set_vgpr_msb 0                        ;  msbs: dst=0 src0=0 src1=0 src2=0
	v_pk_add_f32 v[4:5], v[8:9], v[4:5]
	v_mov_b32_e32 v8, v27
	s_delay_alu instid0(VALU_DEP_2) | instskip(SKIP_1) | instid1(VALU_DEP_2)
	v_pk_add_f32 v[4:5], v[10:11], v[4:5]
	v_mov_b32_e32 v10, v28
	v_pk_add_f32 v[4:5], v[12:13], v[4:5]
	v_mov_b32_e32 v12, v29
	s_set_vgpr_msb 1                        ;  msbs: dst=0 src0=1 src1=0 src2=0
	s_delay_alu instid0(VALU_DEP_2) | instskip(SKIP_2) | instid1(VALU_DEP_2)
	v_pk_add_f32 v[4:5], v[44:45] /*v[300:301]*/, v[4:5]
	s_wait_dscnt 0x0
	v_sub_f32_e32 v6, v60 /*v316*/, v6
	v_pk_add_f32 v[4:5], v[46:47] /*v[302:303]*/, v[4:5]
	s_set_vgpr_msb 0                        ;  msbs: dst=0 src0=0 src1=0 src2=0
	s_delay_alu instid0(VALU_DEP_2) | instskip(SKIP_1) | instid1(VALU_DEP_2)
	v_mul_f32_e32 v6, v26, v6
	s_set_vgpr_msb 1                        ;  msbs: dst=0 src0=1 src1=0 src2=0
	v_pk_add_f32 v[4:5], v[48:49] /*v[304:305]*/, v[4:5]
	s_set_vgpr_msb 0                        ;  msbs: dst=0 src0=0 src1=0 src2=0
	s_delay_alu instid0(VALU_DEP_2)
	v_mul_f32_e32 v7, v6, v3
	s_set_vgpr_msb 4                        ;  msbs: dst=0 src0=0 src1=1 src2=0
	ds_bpermute_b32 v6, v2, v36 /*v292*/ offset:92
	ds_bpermute_b32 v3, v2, v37 /*v293*/ offset:92
	s_set_vgpr_msb 1                        ;  msbs: dst=0 src0=1 src1=0 src2=0
	v_pk_add_f32 v[4:5], v[50:51] /*v[306:307]*/, v[4:5]
	s_delay_alu instid0(VALU_DEP_1) | instskip(NEXT) | instid1(VALU_DEP_1)
	v_pk_add_f32 v[4:5], v[52:53] /*v[308:309]*/, v[4:5]
	v_pk_add_f32 v[4:5], v[54:55] /*v[310:311]*/, v[4:5]
	s_delay_alu instid0(VALU_DEP_1) | instskip(SKIP_3) | instid1(VALU_DEP_1)
	v_pk_add_f32 v[4:5], v[56:57] /*v[312:313]*/, v[4:5]
	s_wait_dscnt 0x1
	v_sub_f32_e32 v6, v63 /*v319*/, v6
	s_set_vgpr_msb 0                        ;  msbs: dst=0 src0=0 src1=0 src2=0
	v_mul_f32_e32 v6, v27, v6
	s_wait_dscnt 0x0
	s_delay_alu instid0(VALU_DEP_1)
	v_mul_f32_e32 v9, v6, v3
	s_set_vgpr_msb 4                        ;  msbs: dst=0 src0=0 src1=1 src2=0
	ds_bpermute_b32 v6, v2, v36 /*v292*/ offset:96
	ds_bpermute_b32 v3, v2, v37 /*v293*/ offset:96
	s_wait_dscnt 0x1
	s_set_vgpr_msb 1                        ;  msbs: dst=0 src0=1 src1=0 src2=0
	v_sub_f32_e32 v6, v62 /*v318*/, v6
	s_set_vgpr_msb 0                        ;  msbs: dst=0 src0=0 src1=0 src2=0
	s_delay_alu instid0(VALU_DEP_1) | instskip(SKIP_1) | instid1(VALU_DEP_1)
	v_mul_f32_e32 v6, v28, v6
	s_wait_dscnt 0x0
	v_mul_f32_e32 v11, v6, v3
	s_set_vgpr_msb 4                        ;  msbs: dst=0 src0=0 src1=1 src2=0
	ds_bpermute_b32 v6, v2, v36 /*v292*/ offset:100
	ds_bpermute_b32 v3, v2, v37 /*v293*/ offset:100
	s_wait_dscnt 0x1
	s_set_vgpr_msb 1                        ;  msbs: dst=0 src0=1 src1=0 src2=0
	v_sub_f32_e32 v6, v67 /*v323*/, v6
	s_set_vgpr_msb 0                        ;  msbs: dst=0 src0=0 src1=0 src2=0
	s_delay_alu instid0(VALU_DEP_1) | instskip(SKIP_1) | instid1(VALU_DEP_1)
	v_mul_f32_e32 v6, v29, v6
	s_wait_dscnt 0x0
	;; [unrolled: 11-line block ×7, first 2 shown]
	v_mul_f32_e32 v23, v6, v3
	v_mov_b32_e32 v6, v26
	s_set_vgpr_msb 4                        ;  msbs: dst=0 src0=0 src1=1 src2=0
	ds_bpermute_b32 v3, v2, v37 /*v293*/ offset:124
	s_set_vgpr_msb 0                        ;  msbs: dst=0 src0=0 src1=0 src2=0
	v_pk_add_f32 v[4:5], v[6:7], v[4:5]
	s_set_vgpr_msb 4                        ;  msbs: dst=0 src0=0 src1=1 src2=0
	ds_bpermute_b32 v6, v2, v36 /*v292*/ offset:124
	s_set_vgpr_msb 0                        ;  msbs: dst=0 src0=0 src1=0 src2=0
	v_pk_add_f32 v[4:5], v[8:9], v[4:5]
	s_delay_alu instid0(VALU_DEP_1) | instskip(NEXT) | instid1(VALU_DEP_1)
	v_pk_add_f32 v[4:5], v[10:11], v[4:5]
	v_pk_add_f32 v[4:5], v[12:13], v[4:5]
	s_delay_alu instid0(VALU_DEP_1)
	v_pk_add_f32 v[4:5], v[14:15], v[4:5]
	s_wait_dscnt 0x0
	s_set_vgpr_msb 1                        ;  msbs: dst=0 src0=1 src1=0 src2=0
	v_sub_f32_e32 v6, v70 /*v326*/, v6
	s_set_vgpr_msb 0                        ;  msbs: dst=0 src0=0 src1=0 src2=0
	v_pk_add_f32 v[4:5], v[16:17], v[4:5]
	s_delay_alu instid0(VALU_DEP_2) | instskip(NEXT) | instid1(VALU_DEP_2)
	v_mul_f32_e32 v6, v35, v6
	v_pk_add_f32 v[4:5], v[18:19], v[4:5]
	s_delay_alu instid0(VALU_DEP_2) | instskip(NEXT) | instid1(VALU_DEP_2)
	v_dual_mul_f32 v7, v6, v3 :: v_dual_mov_b32 v6, v35
	v_pk_add_f32 v[4:5], v[20:21], v[4:5]
	s_delay_alu instid0(VALU_DEP_1) | instskip(SKIP_1) | instid1(VALU_DEP_1)
	v_pk_add_f32 v[4:5], v[22:23], v[4:5]
	s_set_vgpr_msb 64                       ;  msbs: dst=1 src0=0 src1=0 src2=0
	v_pk_add_f32 v[36:37] /*v[292:293]*/, v[6:7], v[4:5]
.LBB84_215:                             ;   in Loop: Header=BB84_147 Depth=1
	s_and_b32 vcc_lo, exec_lo, s2
	s_set_vgpr_msb 0                        ;  msbs: dst=0 src0=0 src1=0 src2=0
	s_cbranch_vccz .LBB84_146
; %bb.216:                              ;   in Loop: Header=BB84_147 Depth=1
	s_load_b32 s2, s[20:21], 0x0
	v_dual_mov_b32 v5, v2 :: v_dual_mov_b32 v6, 0
	s_wait_kmcnt 0x0
	s_cmp_lt_u32 s16, s2
	s_cselect_b32 s2, 12, 18
	s_delay_alu instid0(SALU_CYCLE_1)
	s_add_nc_u64 s[26:27], s[20:21], s[2:3]
	s_load_u16 s2, s[26:27], 0x0
	s_wait_kmcnt 0x0
	s_set_vgpr_msb 16                       ;  msbs: dst=0 src0=0 src1=0 src2=1
	v_mad_u32_u24 v3, v1, s2, v42 /*v298*/
	s_mov_b32 s2, exec_lo
	s_delay_alu instid0(VALU_DEP_1) | instskip(SKIP_1) | instid1(VALU_DEP_1)
	v_dual_mov_b32 v3, 0 :: v_dual_bitop2_b32 v4, 31, v3 bitop3:0x40
	s_set_vgpr_msb 1                        ;  msbs: dst=0 src0=1 src1=0 src2=0
	v_add_nc_u64_e32 v[4:5], v[40:41] /*v[296:297]*/, v[4:5]
	s_delay_alu instid0(VALU_DEP_1)
	v_cmpx_gt_i64_e64 s[4:5], v[4:5]
	s_set_vgpr_msb 0                        ;  msbs: dst=0 src0=0 src1=0 src2=0
	s_cbranch_execz .LBB84_145
; %bb.217:                              ;   in Loop: Header=BB84_147 Depth=1
	v_lshlrev_b64_e32 v[4:5], 2, v[4:5]
	s_delay_alu instid0(VALU_DEP_1)
	v_add_nc_u64_e32 v[8:9], s[12:13], v[4:5]
	v_add_nc_u64_e32 v[4:5], s[14:15], v[4:5]
	global_load_b32 v6, v[8:9], off
	global_load_b32 v3, v[4:5], off
	s_branch .LBB84_145
.LBB84_218:
	s_set_vgpr_msb 64                       ;  msbs: dst=1 src0=0 src1=0 src2=0
	v_mov_b64_e32 v[36:37] /*v[292:293]*/, 0
.LBB84_219:
	s_mov_b32 s17, 0
	s_delay_alu instid0(SALU_CYCLE_1) | instskip(SKIP_4) | instid1(VALU_DEP_1)
	s_lshl_b64 s[2:3], s[16:17], 5
	s_set_vgpr_msb 0                        ;  msbs: dst=0 src0=0 src1=0 src2=0
	v_and_or_b32 v2, 0x3ff, v0, s2
	v_mov_b32_e32 v3, s3
	s_mov_b32 s2, exec_lo
	v_cmpx_gt_i64_e64 s[6:7], v[2:3]
	s_cbranch_execz .LBB84_224
; %bb.220:
	s_load_u16 s2, s[0:1], 0x4e
	v_bfe_u32 v0, v0, 10, 10
	v_mov_b32_e32 v1, 0
	s_wait_kmcnt 0x0
	s_delay_alu instid0(VALU_DEP_1) | instskip(SKIP_1) | instid1(VALU_DEP_1)
	v_mad_nc_u64_u32 v[0:1], s2, s33, v[0:1]
	s_load_b128 s[0:3], s[0:1], 0x30
	v_mul_u64_e32 v[0:1], s[6:7], v[0:1]
	s_wait_kmcnt 0x0
	s_cmp_eq_u64 s[0:1], 0
	s_cbranch_scc1 .LBB84_222
; %bb.221:
	s_delay_alu instid0(VALU_DEP_1) | instskip(SKIP_3) | instid1(VALU_DEP_2)
	v_lshl_add_u64 v[4:5], v[0:1], 1, s[0:1]
	s_set_vgpr_msb 1                        ;  msbs: dst=0 src0=1 src1=0 src2=0
	v_cvt_f16_f32_e64 v6, v37 /*v293*/
	s_set_vgpr_msb 0                        ;  msbs: dst=0 src0=0 src1=0 src2=0
	v_lshl_add_u64 v[4:5], v[2:3], 1, v[4:5]
	global_store_b16 v[4:5], v6, off
.LBB84_222:
	s_cmp_eq_u64 s[2:3], 0
	s_cbranch_scc1 .LBB84_224
; %bb.223:
	s_delay_alu instid0(VALU_DEP_1)
	v_lshl_add_u64 v[0:1], v[0:1], 1, s[2:3]
	s_wait_xcnt 0x0
	s_set_vgpr_msb 1                        ;  msbs: dst=0 src0=1 src1=0 src2=0
	v_cvt_f16_f32_e64 v4, v36 /*v292*/
	s_set_vgpr_msb 0                        ;  msbs: dst=0 src0=0 src1=0 src2=0
	v_lshl_add_u64 v[0:1], v[2:3], 1, v[0:1]
	global_store_b16 v[0:1], v4, off
.LBB84_224:
	s_sendmsg sendmsg(MSG_DEALLOC_VGPRS)
	s_endpgm
	.section	.rodata,"a",@progbits
	.p2align	6, 0x0
	.amdhsa_kernel _ZN2at6native12_GLOBAL__N_135GammaBetaBackwardCUDAKernelTemplateIN3c104HalfEfLj32ELj1ELj32ELb1ELb0ELb0EEEvllPKT_S7_PKT0_SA_PS5_SB_
		.amdhsa_group_segment_fixed_size 0
		.amdhsa_private_segment_fixed_size 0
		.amdhsa_kernarg_size 320
		.amdhsa_user_sgpr_count 2
		.amdhsa_user_sgpr_dispatch_ptr 0
		.amdhsa_user_sgpr_queue_ptr 0
		.amdhsa_user_sgpr_kernarg_segment_ptr 1
		.amdhsa_user_sgpr_dispatch_id 0
		.amdhsa_user_sgpr_kernarg_preload_length 0
		.amdhsa_user_sgpr_kernarg_preload_offset 0
		.amdhsa_user_sgpr_private_segment_size 0
		.amdhsa_wavefront_size32 1
		.amdhsa_uses_dynamic_stack 0
		.amdhsa_enable_private_segment 0
		.amdhsa_system_sgpr_workgroup_id_x 1
		.amdhsa_system_sgpr_workgroup_id_y 1
		.amdhsa_system_sgpr_workgroup_id_z 0
		.amdhsa_system_sgpr_workgroup_info 0
		.amdhsa_system_vgpr_workitem_id 1
		.amdhsa_next_free_vgpr 346
		.amdhsa_next_free_sgpr 36
		.amdhsa_named_barrier_count 0
		.amdhsa_reserve_vcc 1
		.amdhsa_float_round_mode_32 0
		.amdhsa_float_round_mode_16_64 0
		.amdhsa_float_denorm_mode_32 3
		.amdhsa_float_denorm_mode_16_64 3
		.amdhsa_fp16_overflow 0
		.amdhsa_memory_ordered 1
		.amdhsa_forward_progress 1
		.amdhsa_inst_pref_size 189
		.amdhsa_round_robin_scheduling 0
		.amdhsa_exception_fp_ieee_invalid_op 0
		.amdhsa_exception_fp_denorm_src 0
		.amdhsa_exception_fp_ieee_div_zero 0
		.amdhsa_exception_fp_ieee_overflow 0
		.amdhsa_exception_fp_ieee_underflow 0
		.amdhsa_exception_fp_ieee_inexact 0
		.amdhsa_exception_int_div_zero 0
	.end_amdhsa_kernel
	.section	.text._ZN2at6native12_GLOBAL__N_135GammaBetaBackwardCUDAKernelTemplateIN3c104HalfEfLj32ELj1ELj32ELb1ELb0ELb0EEEvllPKT_S7_PKT0_SA_PS5_SB_,"axG",@progbits,_ZN2at6native12_GLOBAL__N_135GammaBetaBackwardCUDAKernelTemplateIN3c104HalfEfLj32ELj1ELj32ELb1ELb0ELb0EEEvllPKT_S7_PKT0_SA_PS5_SB_,comdat
.Lfunc_end84:
	.size	_ZN2at6native12_GLOBAL__N_135GammaBetaBackwardCUDAKernelTemplateIN3c104HalfEfLj32ELj1ELj32ELb1ELb0ELb0EEEvllPKT_S7_PKT0_SA_PS5_SB_, .Lfunc_end84-_ZN2at6native12_GLOBAL__N_135GammaBetaBackwardCUDAKernelTemplateIN3c104HalfEfLj32ELj1ELj32ELb1ELb0ELb0EEEvllPKT_S7_PKT0_SA_PS5_SB_
                                        ; -- End function
	.set _ZN2at6native12_GLOBAL__N_135GammaBetaBackwardCUDAKernelTemplateIN3c104HalfEfLj32ELj1ELj32ELb1ELb0ELb0EEEvllPKT_S7_PKT0_SA_PS5_SB_.num_vgpr, 346
	.set _ZN2at6native12_GLOBAL__N_135GammaBetaBackwardCUDAKernelTemplateIN3c104HalfEfLj32ELj1ELj32ELb1ELb0ELb0EEEvllPKT_S7_PKT0_SA_PS5_SB_.num_agpr, 0
	.set _ZN2at6native12_GLOBAL__N_135GammaBetaBackwardCUDAKernelTemplateIN3c104HalfEfLj32ELj1ELj32ELb1ELb0ELb0EEEvllPKT_S7_PKT0_SA_PS5_SB_.numbered_sgpr, 36
	.set _ZN2at6native12_GLOBAL__N_135GammaBetaBackwardCUDAKernelTemplateIN3c104HalfEfLj32ELj1ELj32ELb1ELb0ELb0EEEvllPKT_S7_PKT0_SA_PS5_SB_.num_named_barrier, 0
	.set _ZN2at6native12_GLOBAL__N_135GammaBetaBackwardCUDAKernelTemplateIN3c104HalfEfLj32ELj1ELj32ELb1ELb0ELb0EEEvllPKT_S7_PKT0_SA_PS5_SB_.private_seg_size, 0
	.set _ZN2at6native12_GLOBAL__N_135GammaBetaBackwardCUDAKernelTemplateIN3c104HalfEfLj32ELj1ELj32ELb1ELb0ELb0EEEvllPKT_S7_PKT0_SA_PS5_SB_.uses_vcc, 1
	.set _ZN2at6native12_GLOBAL__N_135GammaBetaBackwardCUDAKernelTemplateIN3c104HalfEfLj32ELj1ELj32ELb1ELb0ELb0EEEvllPKT_S7_PKT0_SA_PS5_SB_.uses_flat_scratch, 0
	.set _ZN2at6native12_GLOBAL__N_135GammaBetaBackwardCUDAKernelTemplateIN3c104HalfEfLj32ELj1ELj32ELb1ELb0ELb0EEEvllPKT_S7_PKT0_SA_PS5_SB_.has_dyn_sized_stack, 0
	.set _ZN2at6native12_GLOBAL__N_135GammaBetaBackwardCUDAKernelTemplateIN3c104HalfEfLj32ELj1ELj32ELb1ELb0ELb0EEEvllPKT_S7_PKT0_SA_PS5_SB_.has_recursion, 0
	.set _ZN2at6native12_GLOBAL__N_135GammaBetaBackwardCUDAKernelTemplateIN3c104HalfEfLj32ELj1ELj32ELb1ELb0ELb0EEEvllPKT_S7_PKT0_SA_PS5_SB_.has_indirect_call, 0
	.section	.AMDGPU.csdata,"",@progbits
; Kernel info:
; codeLenInByte = 24096
; TotalNumSgprs: 38
; NumVgprs: 346
; ScratchSize: 0
; MemoryBound: 0
; FloatMode: 240
; IeeeMode: 1
; LDSByteSize: 0 bytes/workgroup (compile time only)
; SGPRBlocks: 0
; VGPRBlocks: 21
; NumSGPRsForWavesPerEU: 38
; NumVGPRsForWavesPerEU: 346
; NamedBarCnt: 0
; Occupancy: 2
; WaveLimiterHint : 0
; COMPUTE_PGM_RSRC2:SCRATCH_EN: 0
; COMPUTE_PGM_RSRC2:USER_SGPR: 2
; COMPUTE_PGM_RSRC2:TRAP_HANDLER: 0
; COMPUTE_PGM_RSRC2:TGID_X_EN: 1
; COMPUTE_PGM_RSRC2:TGID_Y_EN: 1
; COMPUTE_PGM_RSRC2:TGID_Z_EN: 0
; COMPUTE_PGM_RSRC2:TIDIG_COMP_CNT: 1
	.section	.text._ZN2at6native12_GLOBAL__N_135GammaBetaBackwardCUDAKernelTemplateIN3c104HalfEfLj32ELj1ELj8ELb1ELb1ELb0EEEvllPKT_S7_PKT0_SA_PS5_SB_,"axG",@progbits,_ZN2at6native12_GLOBAL__N_135GammaBetaBackwardCUDAKernelTemplateIN3c104HalfEfLj32ELj1ELj8ELb1ELb1ELb0EEEvllPKT_S7_PKT0_SA_PS5_SB_,comdat
	.globl	_ZN2at6native12_GLOBAL__N_135GammaBetaBackwardCUDAKernelTemplateIN3c104HalfEfLj32ELj1ELj8ELb1ELb1ELb0EEEvllPKT_S7_PKT0_SA_PS5_SB_ ; -- Begin function _ZN2at6native12_GLOBAL__N_135GammaBetaBackwardCUDAKernelTemplateIN3c104HalfEfLj32ELj1ELj8ELb1ELb1ELb0EEEvllPKT_S7_PKT0_SA_PS5_SB_
	.p2align	8
	.type	_ZN2at6native12_GLOBAL__N_135GammaBetaBackwardCUDAKernelTemplateIN3c104HalfEfLj32ELj1ELj8ELb1ELb1ELb0EEEvllPKT_S7_PKT0_SA_PS5_SB_,@function
_ZN2at6native12_GLOBAL__N_135GammaBetaBackwardCUDAKernelTemplateIN3c104HalfEfLj32ELj1ELj8ELb1ELb1ELb0EEEvllPKT_S7_PKT0_SA_PS5_SB_: ; @_ZN2at6native12_GLOBAL__N_135GammaBetaBackwardCUDAKernelTemplateIN3c104HalfEfLj32ELj1ELj8ELb1ELb1ELb0EEEvllPKT_S7_PKT0_SA_PS5_SB_
; %bb.0:
	s_load_b128 s[12:15], s[0:1], 0x0
	s_bfe_u32 s3, ttmp6, 0x4000c
	s_bfe_u32 s4, ttmp6, 0x40010
	s_add_co_i32 s3, s3, 1
	s_add_co_i32 s4, s4, 1
	s_and_b32 s2, ttmp6, 15
	s_bfe_u32 s5, ttmp6, 0x40004
	s_mul_i32 s3, ttmp9, s3
	s_mul_i32 s4, ttmp7, s4
	s_getreg_b32 s6, hwreg(HW_REG_IB_STS2, 6, 4)
	s_add_co_i32 s2, s2, s3
	s_add_co_i32 s5, s5, s4
	s_cmp_eq_u32 s6, 0
	s_mov_b32 s19, 0
	s_cselect_b32 s17, ttmp7, s5
	s_cselect_b32 s16, ttmp9, s2
	s_lshl_b32 s18, s17, 3
	v_bfe_u32 v1, v0, 10, 10
	s_add_nc_u64 s[20:21], s[0:1], 64
	s_wait_kmcnt 0x0
	v_cmp_gt_i64_e64 s2, s[12:13], s[18:19]
	s_and_b32 vcc_lo, exec_lo, s2
	s_cbranch_vccnz .LBB85_2
; %bb.1:
	v_bfe_u32 v2, v0, 10, 10
	s_add_nc_u64 s[4:5], s[0:1], 64
	s_mov_b32 s2, s19
	s_branch .LBB85_3
.LBB85_2:
	s_mov_b32 s2, -1
                                        ; implicit-def: $sgpr4_sgpr5
                                        ; implicit-def: $vgpr2
.LBB85_3:
	v_and_b32_e32 v0, 0x3ff, v0
	v_mov_b32_e32 v4, 0
	s_and_not1_b32 vcc_lo, exec_lo, s2
	s_mov_b32 s23, 0
	s_cbranch_vccnz .LBB85_11
; %bb.4:
	v_dual_mov_b32 v3, 0 :: v_dual_lshlrev_b32 v2, 3, v1
	s_clause 0x2
	s_load_b32 s2, s[0:1], 0x4c
	s_load_b32 s3, s[0:1], 0x44
	s_load_b256 s[4:11], s[0:1], 0x10
	v_mov_b32_e32 v13, 12
	v_lshl_add_u32 v6, s16, 5, v0
	v_add_nc_u64_e32 v[4:5], s[18:19], v[2:3]
	v_dual_mov_b32 v19, v3 :: v_dual_mov_b32 v2, 8
	v_dual_mov_b32 v12, 4 :: v_dual_mov_b32 v14, 16
	;; [unrolled: 1-line block ×3, first 2 shown]
	v_mov_b32_e32 v17, 28
	v_mul_u64_e32 v[8:9], s[14:15], v[4:5]
	v_dual_mov_b32 v10, 0 :: v_dual_mov_b32 v11, v3
	s_lshl_b64 s[28:29], s[14:15], 1
	s_wait_kmcnt 0x0
	s_lshl_b32 s22, s3, 3
	s_and_b32 s2, s2, 0xffff
	s_mul_u64 s[26:27], s[14:15], s[22:23]
	v_mad_u32_u24 v7, v1, s2, v0
	s_lshl_b64 s[24:25], s[22:23], 2
	s_lshl_b64 s[26:27], s[26:27], 1
	s_delay_alu instid0(VALU_DEP_1) | instskip(NEXT) | instid1(VALU_DEP_1)
	v_dual_mov_b32 v7, v3 :: v_dual_bitop2_b32 v18, 31, v7 bitop3:0x40
	v_add_nc_u64_e32 v[4:5], v[4:5], v[18:19]
	s_delay_alu instid0(VALU_DEP_2) | instskip(SKIP_1) | instid1(VALU_DEP_3)
	v_lshlrev_b64_e32 v[20:21], 1, v[6:7]
	v_cmp_gt_u32_e64 s2, 8, v18
	v_lshlrev_b64_e32 v[6:7], 2, v[4:5]
	s_delay_alu instid0(VALU_DEP_3)
	v_lshl_add_u64 v[8:9], v[8:9], 1, v[20:21]
	s_branch .LBB85_7
.LBB85_5:                               ;   in Loop: Header=BB85_7 Depth=1
	s_wait_xcnt 0x0
	s_or_b32 exec_lo, exec_lo, s30
.LBB85_6:                               ;   in Loop: Header=BB85_7 Depth=1
	s_delay_alu instid0(SALU_CYCLE_1)
	s_or_b32 exec_lo, exec_lo, s3
	v_add_nc_u64_e32 v[20:21], s[6:7], v[8:9]
	v_add_nc_u64_e32 v[22:23], s[4:5], v[8:9]
	s_wait_loadcnt 0x1
	ds_bpermute_b32 v43, v2, v19
	ds_bpermute_b32 v45, v13, v19
	s_wait_loadcnt 0x0
	ds_bpermute_b32 v42, v2, v18
	ds_bpermute_b32 v46, v14, v19
	;; [unrolled: 1-line block ×3, first 2 shown]
	v_add_nc_u64_e32 v[24:25], s[28:29], v[20:21]
	v_add_nc_u64_e32 v[26:27], s[28:29], v[22:23]
	global_load_u16 v28, v[20:21], off
	global_load_u16 v29, v[22:23], off
	ds_bpermute_b32 v47, v15, v18
	ds_bpermute_b32 v48, v16, v18
	s_add_nc_u64 s[18:19], s[18:19], s[22:23]
	s_wait_xcnt 0x1
	v_add_nc_u64_e32 v[20:21], s[28:29], v[24:25]
	s_wait_xcnt 0x0
	v_add_nc_u64_e32 v[22:23], s[28:29], v[26:27]
	global_load_u16 v30, v[24:25], off
	global_load_u16 v31, v[26:27], off
	v_cmp_lt_i64_e64 s3, s[18:19], s[12:13]
	v_add_nc_u64_e32 v[6:7], s[24:25], v[6:7]
	v_add_nc_u64_e32 v[4:5], s[22:23], v[4:5]
	;; [unrolled: 1-line block ×3, first 2 shown]
	s_wait_xcnt 0x1
	v_add_nc_u64_e32 v[24:25], s[28:29], v[20:21]
	s_wait_xcnt 0x0
	v_add_nc_u64_e32 v[26:27], s[28:29], v[22:23]
	global_load_u16 v32, v[20:21], off
	global_load_u16 v33, v[22:23], off
	s_and_b32 vcc_lo, exec_lo, s3
	global_load_u16 v34, v[24:25], off
	global_load_u16 v35, v[26:27], off
	s_wait_xcnt 0x3
	v_add_nc_u64_e32 v[20:21], s[28:29], v[24:25]
	s_wait_xcnt 0x2
	v_add_nc_u64_e32 v[22:23], s[28:29], v[26:27]
	s_wait_xcnt 0x1
	s_delay_alu instid0(VALU_DEP_2)
	v_add_nc_u64_e32 v[24:25], s[28:29], v[20:21]
	global_load_u16 v26, v[20:21], off
	s_wait_xcnt 0x0
	v_add_nc_u64_e32 v[20:21], s[28:29], v[22:23]
	global_load_u16 v27, v[22:23], off
	global_load_u16 v36, v[24:25], off
	;; [unrolled: 1-line block ×3, first 2 shown]
	s_wait_xcnt 0x2
	v_add_nc_u64_e32 v[22:23], s[28:29], v[24:25]
	global_load_u16 v38, v[22:23], off
	s_wait_xcnt 0x2
	v_add_nc_u64_e32 v[24:25], s[28:29], v[20:21]
	s_wait_xcnt 0x1
	v_add_nc_u64_e32 v[20:21], s[28:29], v[22:23]
	s_wait_xcnt 0x0
	s_delay_alu instid0(VALU_DEP_2)
	v_add_nc_u64_e32 v[22:23], s[28:29], v[24:25]
	global_load_u16 v39, v[24:25], off
	global_load_u16 v40, v[20:21], off
	;; [unrolled: 1-line block ×3, first 2 shown]
	s_wait_xcnt 0x1
	ds_bpermute_b32 v21, v3, v19
	s_wait_xcnt 0x0
	ds_bpermute_b32 v23, v12, v19
	ds_bpermute_b32 v24, v3, v18
	;; [unrolled: 1-line block ×3, first 2 shown]
	s_wait_loadcnt 0xf
	v_cvt_f32_f16_e32 v22, v28
	s_wait_loadcnt 0xe
	v_cvt_f32_f16_e32 v20, v29
	ds_bpermute_b32 v28, v14, v18
	s_wait_loadcnt 0xd
	v_cvt_f32_f16_e32 v29, v30
	s_wait_dscnt 0x4
	v_sub_f32_e32 v21, v22, v21
	ds_bpermute_b32 v30, v15, v19
	s_wait_loadcnt 0xc
	v_cvt_f32_f16_e32 v22, v31
	s_wait_dscnt 0x4
	v_sub_f32_e32 v23, v29, v23
	v_mul_f32_e32 v21, v21, v20
	ds_bpermute_b32 v29, v16, v19
	s_wait_loadcnt 0xb
	v_cvt_f32_f16_e32 v31, v32
	ds_bpermute_b32 v32, v17, v19
	s_wait_dscnt 0x5
	v_dual_mul_f32 v19, v23, v22 :: v_dual_mul_f32 v21, v21, v24
	s_wait_loadcnt 0xa
	v_cvt_f32_f16_e32 v24, v33
	v_sub_f32_e32 v31, v31, v43
	s_wait_loadcnt 0x9
	v_cvt_f32_f16_e32 v33, v34
	s_wait_dscnt 0x4
	v_mul_f32_e32 v23, v19, v25
	v_pk_add_f32 v[10:11], v[10:11], v[20:21]
	s_wait_loadcnt 0x8
	v_cvt_f32_f16_e32 v20, v35
	v_dual_mul_f32 v19, v31, v24 :: v_dual_sub_f32 v21, v33, v45
	s_wait_loadcnt 0x7
	v_cvt_f32_f16_e32 v26, v26
	s_delay_alu instid0(VALU_DEP_2)
	v_mul_f32_e32 v25, v19, v42
	v_pk_add_f32 v[10:11], v[10:11], v[22:23]
	s_wait_loadcnt 0x6
	v_cvt_f32_f16_e32 v22, v27
	v_dual_mul_f32 v19, v21, v20 :: v_dual_sub_f32 v23, v26, v46
	s_wait_loadcnt 0x5
	v_cvt_f32_f16_e32 v27, v36
	ds_bpermute_b32 v26, v17, v18
	v_pk_add_f32 v[10:11], v[10:11], v[24:25]
	s_wait_loadcnt 0x4
	v_cvt_f32_f16_e32 v18, v37
	s_wait_dscnt 0x3
	v_sub_f32_e32 v24, v27, v30
	v_mul_f32_e32 v21, v19, v44
	s_wait_loadcnt 0x3
	v_cvt_f32_f16_e32 v25, v38
	v_mul_f32_e32 v19, v23, v22
	s_delay_alu instid0(VALU_DEP_1)
	v_dual_mul_f32 v23, v19, v28 :: v_dual_mul_f32 v19, v24, v18
	v_pk_add_f32 v[10:11], v[10:11], v[20:21]
	s_wait_dscnt 0x2
	v_sub_f32_e32 v21, v25, v29
	s_wait_loadcnt 0x2
	v_cvt_f32_f16_e32 v20, v39
	s_wait_loadcnt 0x1
	v_cvt_f32_f16_e32 v24, v40
	v_mul_f32_e32 v19, v19, v47
	v_pk_add_f32 v[10:11], v[10:11], v[22:23]
	s_wait_loadcnt 0x0
	v_cvt_f32_f16_e32 v22, v41
	v_mul_f32_e32 v21, v21, v20
	s_wait_dscnt 0x1
	v_sub_f32_e32 v23, v24, v32
	v_pk_add_f32 v[10:11], v[10:11], v[18:19]
	s_delay_alu instid0(VALU_DEP_2) | instskip(NEXT) | instid1(VALU_DEP_1)
	v_dual_mul_f32 v21, v21, v48 :: v_dual_mul_f32 v18, v23, v22
	v_pk_add_f32 v[10:11], v[10:11], v[20:21]
	s_wait_dscnt 0x0
	s_delay_alu instid0(VALU_DEP_2) | instskip(NEXT) | instid1(VALU_DEP_1)
	v_mul_f32_e32 v23, v18, v26
	v_pk_add_f32 v[10:11], v[10:11], v[22:23]
	s_cbranch_vccz .LBB85_10
.LBB85_7:                               ; =>This Inner Loop Header: Depth=1
	v_dual_mov_b32 v18, 0 :: v_dual_mov_b32 v19, 0
	s_and_saveexec_b32 s3, s2
	s_cbranch_execz .LBB85_6
; %bb.8:                                ;   in Loop: Header=BB85_7 Depth=1
	v_dual_mov_b32 v19, 0 :: v_dual_mov_b32 v18, 0
	s_mov_b32 s30, exec_lo
	v_cmpx_gt_i64_e64 s[12:13], v[4:5]
	s_cbranch_execz .LBB85_5
; %bb.9:                                ;   in Loop: Header=BB85_7 Depth=1
	v_add_nc_u64_e32 v[20:21], s[8:9], v[6:7]
	v_add_nc_u64_e32 v[22:23], s[10:11], v[6:7]
	global_load_b32 v19, v[20:21], off
	global_load_b32 v18, v[22:23], off
	s_branch .LBB85_5
.LBB85_10:
	s_delay_alu instid0(VALU_DEP_1)
	v_cvt_pk_f16_f32 v4, v10, v11
	v_mov_b32_e32 v2, v1
	s_mov_b64 s[4:5], s[20:21]
.LBB85_11:
	s_load_b128 s[0:3], s[0:1], 0x30
	s_nop 0
	s_load_u16 s4, s[4:5], 0xe
	v_mov_b32_e32 v1, 0
	s_delay_alu instid0(VALU_DEP_1) | instskip(SKIP_1) | instid1(VALU_DEP_1)
	v_mov_b32_e32 v3, v1
	s_wait_kmcnt 0x0
	v_mad_nc_u64_u32 v[2:3], s4, s17, v[2:3]
	s_mov_b32 s17, 0
	s_delay_alu instid0(SALU_CYCLE_1) | instskip(SKIP_2) | instid1(VALU_DEP_2)
	s_lshl_b64 s[4:5], s[16:17], 5
	s_cmp_eq_u64 s[0:1], 0
	v_add_nc_u64_e32 v[0:1], s[4:5], v[0:1]
	v_mul_u64_e32 v[2:3], s[14:15], v[2:3]
	s_cbranch_scc1 .LBB85_13
; %bb.12:
	s_delay_alu instid0(VALU_DEP_1) | instskip(NEXT) | instid1(VALU_DEP_1)
	v_lshl_add_u64 v[6:7], v[2:3], 1, s[0:1]
	v_lshl_add_u64 v[6:7], v[0:1], 1, v[6:7]
	global_store_d16_hi_b16 v[6:7], v4, off
.LBB85_13:
	s_cmp_eq_u64 s[2:3], 0
	s_cbranch_scc1 .LBB85_15
; %bb.14:
	s_delay_alu instid0(VALU_DEP_1) | instskip(NEXT) | instid1(VALU_DEP_1)
	v_lshl_add_u64 v[2:3], v[2:3], 1, s[2:3]
	v_lshl_add_u64 v[0:1], v[0:1], 1, v[2:3]
	global_store_b16 v[0:1], v4, off
.LBB85_15:
	s_endpgm
	.section	.rodata,"a",@progbits
	.p2align	6, 0x0
	.amdhsa_kernel _ZN2at6native12_GLOBAL__N_135GammaBetaBackwardCUDAKernelTemplateIN3c104HalfEfLj32ELj1ELj8ELb1ELb1ELb0EEEvllPKT_S7_PKT0_SA_PS5_SB_
		.amdhsa_group_segment_fixed_size 0
		.amdhsa_private_segment_fixed_size 0
		.amdhsa_kernarg_size 320
		.amdhsa_user_sgpr_count 2
		.amdhsa_user_sgpr_dispatch_ptr 0
		.amdhsa_user_sgpr_queue_ptr 0
		.amdhsa_user_sgpr_kernarg_segment_ptr 1
		.amdhsa_user_sgpr_dispatch_id 0
		.amdhsa_user_sgpr_kernarg_preload_length 0
		.amdhsa_user_sgpr_kernarg_preload_offset 0
		.amdhsa_user_sgpr_private_segment_size 0
		.amdhsa_wavefront_size32 1
		.amdhsa_uses_dynamic_stack 0
		.amdhsa_enable_private_segment 0
		.amdhsa_system_sgpr_workgroup_id_x 1
		.amdhsa_system_sgpr_workgroup_id_y 1
		.amdhsa_system_sgpr_workgroup_id_z 0
		.amdhsa_system_sgpr_workgroup_info 0
		.amdhsa_system_vgpr_workitem_id 1
		.amdhsa_next_free_vgpr 49
		.amdhsa_next_free_sgpr 31
		.amdhsa_named_barrier_count 0
		.amdhsa_reserve_vcc 1
		.amdhsa_float_round_mode_32 0
		.amdhsa_float_round_mode_16_64 0
		.amdhsa_float_denorm_mode_32 3
		.amdhsa_float_denorm_mode_16_64 3
		.amdhsa_fp16_overflow 0
		.amdhsa_memory_ordered 1
		.amdhsa_forward_progress 1
		.amdhsa_inst_pref_size 12
		.amdhsa_round_robin_scheduling 0
		.amdhsa_exception_fp_ieee_invalid_op 0
		.amdhsa_exception_fp_denorm_src 0
		.amdhsa_exception_fp_ieee_div_zero 0
		.amdhsa_exception_fp_ieee_overflow 0
		.amdhsa_exception_fp_ieee_underflow 0
		.amdhsa_exception_fp_ieee_inexact 0
		.amdhsa_exception_int_div_zero 0
	.end_amdhsa_kernel
	.section	.text._ZN2at6native12_GLOBAL__N_135GammaBetaBackwardCUDAKernelTemplateIN3c104HalfEfLj32ELj1ELj8ELb1ELb1ELb0EEEvllPKT_S7_PKT0_SA_PS5_SB_,"axG",@progbits,_ZN2at6native12_GLOBAL__N_135GammaBetaBackwardCUDAKernelTemplateIN3c104HalfEfLj32ELj1ELj8ELb1ELb1ELb0EEEvllPKT_S7_PKT0_SA_PS5_SB_,comdat
.Lfunc_end85:
	.size	_ZN2at6native12_GLOBAL__N_135GammaBetaBackwardCUDAKernelTemplateIN3c104HalfEfLj32ELj1ELj8ELb1ELb1ELb0EEEvllPKT_S7_PKT0_SA_PS5_SB_, .Lfunc_end85-_ZN2at6native12_GLOBAL__N_135GammaBetaBackwardCUDAKernelTemplateIN3c104HalfEfLj32ELj1ELj8ELb1ELb1ELb0EEEvllPKT_S7_PKT0_SA_PS5_SB_
                                        ; -- End function
	.set _ZN2at6native12_GLOBAL__N_135GammaBetaBackwardCUDAKernelTemplateIN3c104HalfEfLj32ELj1ELj8ELb1ELb1ELb0EEEvllPKT_S7_PKT0_SA_PS5_SB_.num_vgpr, 49
	.set _ZN2at6native12_GLOBAL__N_135GammaBetaBackwardCUDAKernelTemplateIN3c104HalfEfLj32ELj1ELj8ELb1ELb1ELb0EEEvllPKT_S7_PKT0_SA_PS5_SB_.num_agpr, 0
	.set _ZN2at6native12_GLOBAL__N_135GammaBetaBackwardCUDAKernelTemplateIN3c104HalfEfLj32ELj1ELj8ELb1ELb1ELb0EEEvllPKT_S7_PKT0_SA_PS5_SB_.numbered_sgpr, 31
	.set _ZN2at6native12_GLOBAL__N_135GammaBetaBackwardCUDAKernelTemplateIN3c104HalfEfLj32ELj1ELj8ELb1ELb1ELb0EEEvllPKT_S7_PKT0_SA_PS5_SB_.num_named_barrier, 0
	.set _ZN2at6native12_GLOBAL__N_135GammaBetaBackwardCUDAKernelTemplateIN3c104HalfEfLj32ELj1ELj8ELb1ELb1ELb0EEEvllPKT_S7_PKT0_SA_PS5_SB_.private_seg_size, 0
	.set _ZN2at6native12_GLOBAL__N_135GammaBetaBackwardCUDAKernelTemplateIN3c104HalfEfLj32ELj1ELj8ELb1ELb1ELb0EEEvllPKT_S7_PKT0_SA_PS5_SB_.uses_vcc, 1
	.set _ZN2at6native12_GLOBAL__N_135GammaBetaBackwardCUDAKernelTemplateIN3c104HalfEfLj32ELj1ELj8ELb1ELb1ELb0EEEvllPKT_S7_PKT0_SA_PS5_SB_.uses_flat_scratch, 0
	.set _ZN2at6native12_GLOBAL__N_135GammaBetaBackwardCUDAKernelTemplateIN3c104HalfEfLj32ELj1ELj8ELb1ELb1ELb0EEEvllPKT_S7_PKT0_SA_PS5_SB_.has_dyn_sized_stack, 0
	.set _ZN2at6native12_GLOBAL__N_135GammaBetaBackwardCUDAKernelTemplateIN3c104HalfEfLj32ELj1ELj8ELb1ELb1ELb0EEEvllPKT_S7_PKT0_SA_PS5_SB_.has_recursion, 0
	.set _ZN2at6native12_GLOBAL__N_135GammaBetaBackwardCUDAKernelTemplateIN3c104HalfEfLj32ELj1ELj8ELb1ELb1ELb0EEEvllPKT_S7_PKT0_SA_PS5_SB_.has_indirect_call, 0
	.section	.AMDGPU.csdata,"",@progbits
; Kernel info:
; codeLenInByte = 1456
; TotalNumSgprs: 33
; NumVgprs: 49
; ScratchSize: 0
; MemoryBound: 0
; FloatMode: 240
; IeeeMode: 1
; LDSByteSize: 0 bytes/workgroup (compile time only)
; SGPRBlocks: 0
; VGPRBlocks: 3
; NumSGPRsForWavesPerEU: 33
; NumVGPRsForWavesPerEU: 49
; NamedBarCnt: 0
; Occupancy: 16
; WaveLimiterHint : 0
; COMPUTE_PGM_RSRC2:SCRATCH_EN: 0
; COMPUTE_PGM_RSRC2:USER_SGPR: 2
; COMPUTE_PGM_RSRC2:TRAP_HANDLER: 0
; COMPUTE_PGM_RSRC2:TGID_X_EN: 1
; COMPUTE_PGM_RSRC2:TGID_Y_EN: 1
; COMPUTE_PGM_RSRC2:TGID_Z_EN: 0
; COMPUTE_PGM_RSRC2:TIDIG_COMP_CNT: 1
	.section	.text._ZN2at6native12_GLOBAL__N_135GammaBetaBackwardCUDAKernelTemplateIN3c104HalfEfLj32ELj1ELj8ELb1ELb0ELb0EEEvllPKT_S7_PKT0_SA_PS5_SB_,"axG",@progbits,_ZN2at6native12_GLOBAL__N_135GammaBetaBackwardCUDAKernelTemplateIN3c104HalfEfLj32ELj1ELj8ELb1ELb0ELb0EEEvllPKT_S7_PKT0_SA_PS5_SB_,comdat
	.globl	_ZN2at6native12_GLOBAL__N_135GammaBetaBackwardCUDAKernelTemplateIN3c104HalfEfLj32ELj1ELj8ELb1ELb0ELb0EEEvllPKT_S7_PKT0_SA_PS5_SB_ ; -- Begin function _ZN2at6native12_GLOBAL__N_135GammaBetaBackwardCUDAKernelTemplateIN3c104HalfEfLj32ELj1ELj8ELb1ELb0ELb0EEEvllPKT_S7_PKT0_SA_PS5_SB_
	.p2align	8
	.type	_ZN2at6native12_GLOBAL__N_135GammaBetaBackwardCUDAKernelTemplateIN3c104HalfEfLj32ELj1ELj8ELb1ELb0ELb0EEEvllPKT_S7_PKT0_SA_PS5_SB_,@function
_ZN2at6native12_GLOBAL__N_135GammaBetaBackwardCUDAKernelTemplateIN3c104HalfEfLj32ELj1ELj8ELb1ELb0ELb0EEEvllPKT_S7_PKT0_SA_PS5_SB_: ; @_ZN2at6native12_GLOBAL__N_135GammaBetaBackwardCUDAKernelTemplateIN3c104HalfEfLj32ELj1ELj8ELb1ELb0ELb0EEEvllPKT_S7_PKT0_SA_PS5_SB_
; %bb.0:
	s_load_b256 s[4:11], s[0:1], 0x0
	s_bfe_u32 s3, ttmp6, 0x4000c
	s_bfe_u32 s12, ttmp6, 0x40010
	s_add_co_i32 s3, s3, 1
	s_add_co_i32 s12, s12, 1
	s_and_b32 s2, ttmp6, 15
	s_bfe_u32 s13, ttmp6, 0x40004
	s_mul_i32 s3, ttmp9, s3
	s_mul_i32 s12, ttmp7, s12
	s_getreg_b32 s14, hwreg(HW_REG_IB_STS2, 6, 4)
	s_add_co_i32 s2, s2, s3
	s_add_co_i32 s3, s13, s12
	s_cmp_eq_u32 s14, 0
	s_mov_b32 s19, 0
	s_cselect_b32 s16, ttmp9, s2
	s_cselect_b32 s33, ttmp7, s3
	s_lshl_b32 s3, s16, 5
	s_load_b128 s[12:15], s[0:1], 0x20
	s_or_b32 s18, s3, 31
	s_wait_kmcnt 0x0
	v_cmp_le_i64_e64 s2, s[6:7], s[18:19]
	s_lshl_b32 s18, s33, 3
	s_delay_alu instid0(SALU_CYCLE_1) | instskip(SKIP_2) | instid1(VALU_DEP_1)
	v_cmp_gt_i64_e64 s17, s[4:5], s[18:19]
	s_and_b32 vcc_lo, exec_lo, s2
	v_cndmask_b32_e64 v1, 0, 1, s17
	v_cmp_ne_u32_e64 s2, 1, v1
	s_cbranch_vccz .LBB86_48
; %bb.1:
	v_mov_b32_e32 v29, 0
	s_and_b32 vcc_lo, exec_lo, s2
	s_delay_alu instid0(VALU_DEP_1)
	v_mov_b32_e32 v28, v29
	s_cbranch_vccnz .LBB86_49
; %bb.2:
	v_bfe_u32 v1, v0, 10, 10
	v_mov_b32_e32 v2, 0
	v_and_b32_e32 v62, 0x3ff, v0
	s_load_b32 s20, s[0:1], 0x44
	s_mov_b32 s21, 0
	s_delay_alu instid0(VALU_DEP_2) | instskip(NEXT) | instid1(VALU_DEP_2)
	v_dual_mov_b32 v21, v2 :: v_dual_lshlrev_b32 v20, 3, v1
	v_dual_mov_b32 v19, v2 :: v_dual_add_nc_u32 v18, s3, v62
	v_mov_b32_e32 v28, 0
	s_mov_b32 s25, s21
	s_delay_alu instid0(VALU_DEP_3)
	v_add_nc_u64_e32 v[4:5], s[18:19], v[20:21]
	v_mov_b32_e32 v29, v2
	v_cmp_gt_i64_e64 s2, s[6:7], v[18:19]
	v_lshlrev_b64_e32 v[22:23], 1, v[18:19]
	s_add_nc_u64 s[22:23], s[0:1], 64
	s_mov_b64 s[28:29], 7
	s_mov_b64 s[30:31], s[18:19]
	v_mul_u64_e32 v[6:7], s[6:7], v[4:5]
	v_add_nc_u64_e32 v[8:9], 7, v[4:5]
	v_add_nc_u64_e32 v[10:11], 6, v[4:5]
	;; [unrolled: 1-line block ×6, first 2 shown]
	s_wait_kmcnt 0x0
	s_lshl_b32 s24, s20, 3
	v_mul_u64_e32 v[8:9], s[6:7], v[8:9]
	v_mul_u64_e32 v[10:11], s[6:7], v[10:11]
	;; [unrolled: 1-line block ×6, first 2 shown]
	s_mul_u64 s[26:27], s[6:7], s[24:25]
	s_delay_alu instid0(SALU_CYCLE_1) | instskip(SKIP_2) | instid1(VALU_DEP_2)
	s_lshl_b64 s[26:27], s[26:27], 1
	v_lshlrev_b64_e32 v[26:27], 1, v[6:7]
	v_add_nc_u64_e32 v[6:7], s[6:7], v[6:7]
	v_add_nc_u64_e32 v[24:25], s[8:9], v[26:27]
	v_lshlrev_b64_e32 v[8:9], 1, v[8:9]
	v_lshlrev_b64_e32 v[10:11], 1, v[10:11]
	;; [unrolled: 1-line block ×7, first 2 shown]
	v_add_nc_u64_e32 v[26:27], s[10:11], v[26:27]
	v_add_nc_u64_e32 v[30:31], s[8:9], v[8:9]
	v_add_nc_u64_e32 v[32:33], s[10:11], v[8:9]
	v_add_nc_u64_e32 v[34:35], s[8:9], v[10:11]
	v_add_nc_u64_e32 v[36:37], s[10:11], v[10:11]
	v_add_nc_u64_e32 v[38:39], s[8:9], v[12:13]
	v_add_nc_u64_e32 v[40:41], s[10:11], v[12:13]
	v_add_nc_u64_e32 v[42:43], s[8:9], v[14:15]
	v_add_nc_u64_e32 v[44:45], s[10:11], v[14:15]
	v_add_nc_u64_e32 v[46:47], s[8:9], v[16:17]
	v_add_nc_u64_e32 v[48:49], s[10:11], v[16:17]
	v_add_nc_u64_e32 v[50:51], s[8:9], v[4:5]
	v_add_nc_u64_e32 v[52:53], s[10:11], v[4:5]
	v_add_nc_u64_e32 v[54:55], s[8:9], v[6:7]
	v_add_nc_u64_e32 v[56:57], s[10:11], v[6:7]
	s_branch .LBB86_5
.LBB86_3:                               ;   in Loop: Header=BB86_5 Depth=1
	s_or_b32 exec_lo, exec_lo, s20
	s_wait_loadcnt 0x1
	ds_bpermute_b32 v3, v2, v60
	ds_bpermute_b32 v59, v2, v60 offset:4
	ds_bpermute_b32 v63, v2, v60 offset:8
	s_wait_loadcnt 0x0
	ds_bpermute_b32 v64, v2, v61
	ds_bpermute_b32 v65, v2, v60 offset:12
	ds_bpermute_b32 v66, v2, v61 offset:4
	;; [unrolled: 1-line block ×9, first 2 shown]
	s_wait_dscnt 0xc
	v_dual_mov_b32 v58, v5 :: v_dual_sub_f32 v3, v12, v3
	s_wait_dscnt 0xb
	v_dual_mov_b32 v12, v4 :: v_dual_sub_f32 v13, v13, v59
	s_wait_dscnt 0xa
	v_sub_f32_e32 v59, v14, v63
	v_dual_mul_f32 v3, v4, v3 :: v_dual_mov_b32 v4, v6
	s_delay_alu instid0(VALU_DEP_3) | instskip(SKIP_1) | instid1(VALU_DEP_2)
	v_dual_mul_f32 v5, v5, v13 :: v_dual_mov_b32 v14, v7
	s_wait_dscnt 0x9
	v_dual_mul_f32 v6, v6, v59 :: v_dual_mul_f32 v13, v3, v64
	s_wait_dscnt 0x7
	s_delay_alu instid0(VALU_DEP_2) | instskip(SKIP_1) | instid1(VALU_DEP_2)
	v_dual_sub_f32 v3, v15, v65 :: v_dual_mul_f32 v59, v5, v66
	s_wait_dscnt 0x6
	v_mul_f32_e32 v5, v6, v67
	v_pk_add_f32 v[12:13], v[28:29], v[12:13]
	ds_bpermute_b32 v28, v2, v61 offset:24
	s_wait_dscnt 0x6
	v_dual_sub_f32 v15, v16, v69 :: v_dual_mul_f32 v3, v7, v3
	v_pk_add_f32 v[6:7], v[58:59], v[12:13]
	s_wait_dscnt 0x4
	v_dual_mov_b32 v12, v8 :: v_dual_sub_f32 v13, v17, v72
	s_delay_alu instid0(VALU_DEP_3) | instskip(NEXT) | instid1(VALU_DEP_3)
	v_dual_mul_f32 v8, v8, v15 :: v_dual_mul_f32 v15, v3, v68
	v_pk_add_f32 v[4:5], v[4:5], v[6:7]
	ds_bpermute_b32 v3, v2, v61 offset:28
	s_wait_dscnt 0x3
	v_sub_f32_e32 v16, v18, v73
	v_dual_mul_f32 v17, v9, v13 :: v_dual_mul_f32 v13, v8, v70
	v_pk_add_f32 v[6:7], v[14:15], v[4:5]
	ds_bpermute_b32 v4, v2, v60 offset:28
	v_dual_mov_b32 v8, v9 :: v_dual_mul_f32 v5, v10, v16
	s_wait_dscnt 0x3
	v_mul_f32_e32 v9, v17, v71
	v_pk_add_f32 v[6:7], v[12:13], v[6:7]
	s_wait_dscnt 0x2
	v_dual_mov_b32 v12, v10 :: v_dual_mul_f32 v13, v5, v28
	s_delay_alu instid0(VALU_DEP_2) | instskip(NEXT) | instid1(VALU_DEP_1)
	v_pk_add_f32 v[6:7], v[8:9], v[6:7]
	v_pk_add_f32 v[60:61], v[12:13], v[6:7]
.LBB86_4:                               ;   in Loop: Header=BB86_5 Depth=1
	s_wait_dscnt 0x0
	v_sub_f32_e32 v5, v19, v4
	v_mov_b32_e32 v4, v11
	s_add_nc_u64 s[30:31], s[30:31], s[24:25]
	v_add_nc_u64_e32 v[24:25], s[26:27], v[24:25]
	v_cmp_lt_i64_e64 s20, s[30:31], s[4:5]
	v_mul_f32_e32 v5, v11, v5
	v_add_nc_u64_e32 v[26:27], s[26:27], v[26:27]
	v_add_nc_u64_e32 v[30:31], s[26:27], v[30:31]
	;; [unrolled: 1-line block ×4, first 2 shown]
	v_mul_f32_e32 v5, v5, v3
	v_add_nc_u64_e32 v[36:37], s[26:27], v[36:37]
	v_add_nc_u64_e32 v[38:39], s[26:27], v[38:39]
	;; [unrolled: 1-line block ×12, first 2 shown]
	v_pk_add_f32 v[28:29], v[60:61], v[4:5]
	s_and_b32 vcc_lo, exec_lo, s20
	s_add_nc_u64 s[28:29], s[28:29], s[24:25]
	s_cbranch_vccz .LBB86_49
.LBB86_5:                               ; =>This Inner Loop Header: Depth=1
	s_add_nc_u64 s[34:35], s[18:19], s[28:29]
	s_delay_alu instid0(VALU_DEP_2)
	v_add_nc_u64_e32 v[58:59], s[18:19], v[20:21]
	v_cmp_ge_i64_e64 s20, s[34:35], s[4:5]
                                        ; implicit-def: $vgpr4_vgpr5_vgpr6_vgpr7_vgpr8_vgpr9_vgpr10_vgpr11
                                        ; implicit-def: $vgpr60_vgpr61
                                        ; implicit-def: $vgpr3
                                        ; implicit-def: $vgpr12_vgpr13_vgpr14_vgpr15_vgpr16_vgpr17_vgpr18_vgpr19
                                        ; implicit-def: $vgpr4
	s_and_b32 vcc_lo, exec_lo, s20
	s_mov_b32 s20, -1
	s_cbranch_vccz .LBB86_27
; %bb.6:                                ;   in Loop: Header=BB86_5 Depth=1
	s_load_b32 s20, s[22:23], 0xc
	v_dual_mov_b32 v60, 0 :: v_dual_mov_b32 v61, 0
	s_wait_kmcnt 0x0
	s_and_b32 s20, s20, 0xffff
	s_delay_alu instid0(SALU_CYCLE_1) | instskip(SKIP_1) | instid1(VALU_DEP_1)
	v_mad_u32_u24 v3, v1, s20, v62
	s_mov_b32 s20, exec_lo
	v_and_b32_e32 v4, 31, v3
	s_delay_alu instid0(VALU_DEP_1)
	v_cmpx_gt_u32_e32 8, v4
	s_cbranch_execz .LBB86_10
; %bb.7:                                ;   in Loop: Header=BB86_5 Depth=1
	v_dual_mov_b32 v5, v2 :: v_dual_mov_b32 v60, 0
	v_mov_b32_e32 v61, 0
	s_mov_b32 s34, exec_lo
	s_delay_alu instid0(VALU_DEP_2) | instskip(NEXT) | instid1(VALU_DEP_1)
	v_add_nc_u64_e32 v[4:5], v[58:59], v[4:5]
	v_cmpx_gt_i64_e64 s[4:5], v[4:5]
	s_cbranch_execz .LBB86_9
; %bb.8:                                ;   in Loop: Header=BB86_5 Depth=1
	v_lshlrev_b64_e32 v[4:5], 2, v[4:5]
	s_delay_alu instid0(VALU_DEP_1)
	v_add_nc_u64_e32 v[6:7], s[12:13], v[4:5]
	v_add_nc_u64_e32 v[4:5], s[14:15], v[4:5]
	global_load_b32 v60, v[6:7], off
	global_load_b32 v61, v[4:5], off
.LBB86_9:                               ;   in Loop: Header=BB86_5 Depth=1
	s_wait_xcnt 0x0
	s_or_b32 exec_lo, exec_lo, s34
.LBB86_10:                              ;   in Loop: Header=BB86_5 Depth=1
	s_delay_alu instid0(SALU_CYCLE_1)
	s_or_b32 exec_lo, exec_lo, s20
	v_dual_mov_b32 v7, v2 :: v_dual_mov_b32 v8, v2
	v_dual_mov_b32 v9, v2 :: v_dual_mov_b32 v3, v2
	;; [unrolled: 1-line block ×3, first 2 shown]
	v_mov_b32_e32 v6, v2
	v_cmp_gt_i64_e32 vcc_lo, s[4:5], v[58:59]
	s_delay_alu instid0(VALU_DEP_4)
	v_mov_b64_e32 v[18:19], v[8:9]
	v_mov_b64_e32 v[12:13], v[2:3]
	;; [unrolled: 1-line block ×8, first 2 shown]
	s_and_b32 s34, s2, vcc_lo
	s_delay_alu instid0(SALU_CYCLE_1)
	s_and_saveexec_b32 s20, s34
	s_cbranch_execz .LBB86_12
; %bb.11:                               ;   in Loop: Header=BB86_5 Depth=1
	v_add_nc_u64_e32 v[4:5], v[24:25], v[22:23]
	v_add_nc_u64_e32 v[6:7], v[26:27], v[22:23]
	v_dual_mov_b32 v9, v2 :: v_dual_mov_b32 v10, v2
	v_dual_mov_b32 v11, v2 :: v_dual_mov_b32 v13, v2
	;; [unrolled: 1-line block ×3, first 2 shown]
	global_load_u16 v3, v[4:5], off
	global_load_u16 v12, v[6:7], off
	s_wait_xcnt 0x0
	v_dual_mov_b32 v5, v2 :: v_dual_mov_b32 v6, v2
	v_dual_mov_b32 v7, v2 :: v_dual_mov_b32 v8, v2
	;; [unrolled: 1-line block ×4, first 2 shown]
	s_wait_loadcnt 0x1
	v_cvt_f32_f16_e32 v4, v3
	s_wait_loadcnt 0x0
	v_cvt_f32_f16_e32 v12, v12
.LBB86_12:                              ;   in Loop: Header=BB86_5 Depth=1
	s_or_b32 exec_lo, exec_lo, s20
	v_add_nc_u64_e32 v[64:65], 1, v[58:59]
	s_delay_alu instid0(VALU_DEP_1) | instskip(SKIP_1) | instid1(SALU_CYCLE_1)
	v_cmp_gt_i64_e32 vcc_lo, s[4:5], v[64:65]
	s_and_b32 s34, s2, vcc_lo
	s_and_saveexec_b32 s20, s34
	s_cbranch_execz .LBB86_14
; %bb.13:                               ;   in Loop: Header=BB86_5 Depth=1
	v_add_nc_u64_e32 v[64:65], v[54:55], v[22:23]
	v_add_nc_u64_e32 v[66:67], v[56:57], v[22:23]
	global_load_u16 v3, v[64:65], off
	global_load_u16 v13, v[66:67], off
	s_wait_loadcnt 0x1
	v_cvt_f32_f16_e32 v5, v3
	s_wait_loadcnt 0x0
	v_cvt_f32_f16_e32 v13, v13
.LBB86_14:                              ;   in Loop: Header=BB86_5 Depth=1
	s_or_b32 exec_lo, exec_lo, s20
	v_add_nc_u64_e32 v[64:65], 2, v[58:59]
	s_delay_alu instid0(VALU_DEP_1) | instskip(SKIP_1) | instid1(SALU_CYCLE_1)
	v_cmp_gt_i64_e32 vcc_lo, s[4:5], v[64:65]
	s_and_b32 s34, s2, vcc_lo
	s_and_saveexec_b32 s20, s34
	s_cbranch_execz .LBB86_16
; %bb.15:                               ;   in Loop: Header=BB86_5 Depth=1
	v_add_nc_u64_e32 v[64:65], v[50:51], v[22:23]
	v_add_nc_u64_e32 v[66:67], v[52:53], v[22:23]
	global_load_u16 v3, v[64:65], off
	global_load_u16 v14, v[66:67], off
	s_wait_loadcnt 0x1
	v_cvt_f32_f16_e32 v6, v3
	s_wait_loadcnt 0x0
	v_cvt_f32_f16_e32 v14, v14
.LBB86_16:                              ;   in Loop: Header=BB86_5 Depth=1
	;; [unrolled: 17-line block ×7, first 2 shown]
	s_or_b32 exec_lo, exec_lo, s20
	s_wait_loadcnt 0x1
	ds_bpermute_b32 v3, v2, v60
	ds_bpermute_b32 v63, v2, v60 offset:4
	ds_bpermute_b32 v65, v2, v60 offset:8
	s_wait_loadcnt 0x0
	ds_bpermute_b32 v66, v2, v61
	ds_bpermute_b32 v67, v2, v60 offset:12
	ds_bpermute_b32 v68, v2, v61 offset:4
	;; [unrolled: 1-line block ×8, first 2 shown]
	s_mov_b32 s20, 0
	s_wait_dscnt 0xb
	v_dual_mov_b32 v64, v5 :: v_dual_sub_f32 v3, v12, v3
	s_wait_dscnt 0xa
	v_dual_mov_b32 v12, v4 :: v_dual_sub_f32 v13, v13, v63
	ds_bpermute_b32 v63, v2, v60 offset:24
	v_dual_mul_f32 v3, v4, v3 :: v_dual_mov_b32 v4, v6
	s_wait_dscnt 0xa
	v_sub_f32_e32 v65, v14, v65
	v_dual_mul_f32 v5, v5, v13 :: v_dual_mov_b32 v14, v7
	s_wait_dscnt 0x9
	v_mul_f32_e32 v13, v3, v66
	s_wait_dscnt 0x8
	v_dual_sub_f32 v3, v15, v67 :: v_dual_mul_f32 v6, v6, v65
	s_wait_dscnt 0x5
	v_dual_mul_f32 v65, v5, v68 :: v_dual_sub_f32 v15, v16, v71
	v_pk_add_f32 v[12:13], v[28:29], v[12:13]
	ds_bpermute_b32 v66, v2, v61 offset:24
	v_dual_mul_f32 v3, v7, v3 :: v_dual_mul_f32 v5, v6, v69
	v_pk_add_f32 v[6:7], v[64:65], v[12:13]
	s_wait_dscnt 0x4
	v_dual_mov_b32 v12, v8 :: v_dual_sub_f32 v13, v17, v74
	s_delay_alu instid0(VALU_DEP_3) | instskip(NEXT) | instid1(VALU_DEP_3)
	v_dual_mul_f32 v8, v8, v15 :: v_dual_mul_f32 v15, v3, v70
	v_pk_add_f32 v[4:5], v[4:5], v[6:7]
	ds_bpermute_b32 v3, v2, v61 offset:28
	s_wait_dscnt 0x2
	v_dual_sub_f32 v16, v18, v63 :: v_dual_mul_f32 v17, v9, v13
	v_dual_mul_f32 v13, v8, v72 :: v_dual_mov_b32 v8, v9
	v_pk_add_f32 v[6:7], v[14:15], v[4:5]
	ds_bpermute_b32 v4, v2, v60 offset:28
	v_dual_mul_f32 v5, v10, v16 :: v_dual_mul_f32 v9, v17, v73
	v_pk_add_f32 v[6:7], v[12:13], v[6:7]
	s_wait_dscnt 0x2
	s_delay_alu instid0(VALU_DEP_2) | instskip(NEXT) | instid1(VALU_DEP_2)
	v_dual_mov_b32 v12, v10 :: v_dual_mul_f32 v13, v5, v66
	v_pk_add_f32 v[6:7], v[8:9], v[6:7]
	s_delay_alu instid0(VALU_DEP_1)
	v_pk_add_f32 v[60:61], v[12:13], v[6:7]
.LBB86_27:                              ;   in Loop: Header=BB86_5 Depth=1
	s_and_b32 vcc_lo, exec_lo, s20
	s_cbranch_vccz .LBB86_4
; %bb.28:                               ;   in Loop: Header=BB86_5 Depth=1
	s_load_b32 s20, s[22:23], 0x0
	v_dual_mov_b32 v60, 0 :: v_dual_mov_b32 v61, 0
	s_wait_kmcnt 0x0
	s_cmp_lt_u32 s16, s20
	s_cselect_b32 s20, 12, 18
	s_delay_alu instid0(SALU_CYCLE_1)
	s_add_nc_u64 s[34:35], s[22:23], s[20:21]
	s_load_u16 s20, s[34:35], 0x0
	s_wait_dscnt 0x1
	s_wait_kmcnt 0x0
	v_mad_u32_u24 v3, v1, s20, v62
	s_mov_b32 s20, exec_lo
	s_wait_dscnt 0x0
	s_delay_alu instid0(VALU_DEP_1) | instskip(NEXT) | instid1(VALU_DEP_1)
	v_and_b32_e32 v4, 31, v3
	v_cmpx_gt_u32_e32 8, v4
	s_cbranch_execz .LBB86_32
; %bb.29:                               ;   in Loop: Header=BB86_5 Depth=1
	v_dual_mov_b32 v5, v2 :: v_dual_mov_b32 v60, 0
	v_mov_b32_e32 v61, 0
	s_mov_b32 s34, exec_lo
	s_delay_alu instid0(VALU_DEP_2) | instskip(NEXT) | instid1(VALU_DEP_1)
	v_add_nc_u64_e32 v[4:5], v[58:59], v[4:5]
	v_cmpx_gt_i64_e64 s[4:5], v[4:5]
	s_cbranch_execz .LBB86_31
; %bb.30:                               ;   in Loop: Header=BB86_5 Depth=1
	v_lshlrev_b64_e32 v[4:5], 2, v[4:5]
	s_delay_alu instid0(VALU_DEP_1)
	v_add_nc_u64_e32 v[6:7], s[12:13], v[4:5]
	v_add_nc_u64_e32 v[4:5], s[14:15], v[4:5]
	global_load_b32 v60, v[6:7], off
	global_load_b32 v61, v[4:5], off
.LBB86_31:                              ;   in Loop: Header=BB86_5 Depth=1
	s_wait_xcnt 0x0
	s_or_b32 exec_lo, exec_lo, s34
.LBB86_32:                              ;   in Loop: Header=BB86_5 Depth=1
	s_delay_alu instid0(SALU_CYCLE_1) | instskip(SKIP_4) | instid1(VALU_DEP_3)
	s_or_b32 exec_lo, exec_lo, s20
	v_dual_mov_b32 v7, v2 :: v_dual_mov_b32 v8, v2
	v_dual_mov_b32 v9, v2 :: v_dual_mov_b32 v3, v2
	;; [unrolled: 1-line block ×3, first 2 shown]
	v_mov_b32_e32 v6, v2
	v_mov_b64_e32 v[18:19], v[8:9]
	s_delay_alu instid0(VALU_DEP_4) | instskip(NEXT) | instid1(VALU_DEP_4)
	v_mov_b64_e32 v[12:13], v[2:3]
	v_mov_b64_e32 v[14:15], v[4:5]
	s_delay_alu instid0(VALU_DEP_4)
	v_mov_b64_e32 v[16:17], v[6:7]
	v_mov_b64_e32 v[10:11], v[8:9]
	;; [unrolled: 1-line block ×5, first 2 shown]
	s_and_saveexec_b32 s20, s2
	s_cbranch_execnz .LBB86_40
; %bb.33:                               ;   in Loop: Header=BB86_5 Depth=1
	s_or_b32 exec_lo, exec_lo, s20
	s_and_saveexec_b32 s20, s2
	s_cbranch_execnz .LBB86_41
.LBB86_34:                              ;   in Loop: Header=BB86_5 Depth=1
	s_or_b32 exec_lo, exec_lo, s20
	s_and_saveexec_b32 s20, s2
	s_cbranch_execnz .LBB86_42
.LBB86_35:                              ;   in Loop: Header=BB86_5 Depth=1
	s_or_b32 exec_lo, exec_lo, s20
	s_and_saveexec_b32 s20, s2
	s_cbranch_execnz .LBB86_43
.LBB86_36:                              ;   in Loop: Header=BB86_5 Depth=1
	s_or_b32 exec_lo, exec_lo, s20
	s_and_saveexec_b32 s20, s2
	s_cbranch_execnz .LBB86_44
.LBB86_37:                              ;   in Loop: Header=BB86_5 Depth=1
	s_or_b32 exec_lo, exec_lo, s20
	s_and_saveexec_b32 s20, s2
	s_cbranch_execnz .LBB86_45
.LBB86_38:                              ;   in Loop: Header=BB86_5 Depth=1
	s_or_b32 exec_lo, exec_lo, s20
	s_and_saveexec_b32 s20, s2
	s_cbranch_execnz .LBB86_46
.LBB86_39:                              ;   in Loop: Header=BB86_5 Depth=1
	s_or_b32 exec_lo, exec_lo, s20
	s_and_saveexec_b32 s20, s2
	s_cbranch_execz .LBB86_3
	s_branch .LBB86_47
.LBB86_40:                              ;   in Loop: Header=BB86_5 Depth=1
	v_add_nc_u64_e32 v[4:5], v[24:25], v[22:23]
	v_add_nc_u64_e32 v[6:7], v[26:27], v[22:23]
	v_dual_mov_b32 v9, v2 :: v_dual_mov_b32 v10, v2
	v_dual_mov_b32 v11, v2 :: v_dual_mov_b32 v13, v2
	;; [unrolled: 1-line block ×3, first 2 shown]
	global_load_u16 v3, v[4:5], off
	global_load_u16 v12, v[6:7], off
	s_wait_xcnt 0x0
	v_dual_mov_b32 v5, v2 :: v_dual_mov_b32 v6, v2
	v_dual_mov_b32 v7, v2 :: v_dual_mov_b32 v8, v2
	v_dual_mov_b32 v16, v2 :: v_dual_mov_b32 v17, v2
	v_dual_mov_b32 v18, v2 :: v_dual_mov_b32 v19, v2
	s_wait_loadcnt 0x1
	v_cvt_f32_f16_e32 v4, v3
	s_wait_loadcnt 0x0
	v_cvt_f32_f16_e32 v12, v12
	s_or_b32 exec_lo, exec_lo, s20
	s_and_saveexec_b32 s20, s2
	s_cbranch_execz .LBB86_34
.LBB86_41:                              ;   in Loop: Header=BB86_5 Depth=1
	v_add_nc_u64_e32 v[58:59], v[54:55], v[22:23]
	v_add_nc_u64_e32 v[64:65], v[56:57], v[22:23]
	global_load_u16 v3, v[58:59], off
	global_load_u16 v13, v[64:65], off
	s_wait_loadcnt 0x1
	v_cvt_f32_f16_e32 v5, v3
	s_wait_loadcnt 0x0
	v_cvt_f32_f16_e32 v13, v13
	s_or_b32 exec_lo, exec_lo, s20
	s_and_saveexec_b32 s20, s2
	s_cbranch_execz .LBB86_35
.LBB86_42:                              ;   in Loop: Header=BB86_5 Depth=1
	v_add_nc_u64_e32 v[58:59], v[50:51], v[22:23]
	v_add_nc_u64_e32 v[64:65], v[52:53], v[22:23]
	global_load_u16 v3, v[58:59], off
	global_load_u16 v14, v[64:65], off
	s_wait_loadcnt 0x1
	v_cvt_f32_f16_e32 v6, v3
	s_wait_loadcnt 0x0
	v_cvt_f32_f16_e32 v14, v14
	s_or_b32 exec_lo, exec_lo, s20
	s_and_saveexec_b32 s20, s2
	s_cbranch_execz .LBB86_36
.LBB86_43:                              ;   in Loop: Header=BB86_5 Depth=1
	v_add_nc_u64_e32 v[58:59], v[46:47], v[22:23]
	v_add_nc_u64_e32 v[64:65], v[48:49], v[22:23]
	global_load_u16 v3, v[58:59], off
	global_load_u16 v15, v[64:65], off
	s_wait_loadcnt 0x1
	v_cvt_f32_f16_e32 v7, v3
	s_wait_loadcnt 0x0
	v_cvt_f32_f16_e32 v15, v15
	s_or_b32 exec_lo, exec_lo, s20
	s_and_saveexec_b32 s20, s2
	s_cbranch_execz .LBB86_37
.LBB86_44:                              ;   in Loop: Header=BB86_5 Depth=1
	v_add_nc_u64_e32 v[58:59], v[42:43], v[22:23]
	v_add_nc_u64_e32 v[64:65], v[44:45], v[22:23]
	global_load_u16 v3, v[58:59], off
	global_load_u16 v16, v[64:65], off
	s_wait_loadcnt 0x1
	v_cvt_f32_f16_e32 v8, v3
	s_wait_loadcnt 0x0
	v_cvt_f32_f16_e32 v16, v16
	s_or_b32 exec_lo, exec_lo, s20
	s_and_saveexec_b32 s20, s2
	s_cbranch_execz .LBB86_38
.LBB86_45:                              ;   in Loop: Header=BB86_5 Depth=1
	v_add_nc_u64_e32 v[58:59], v[38:39], v[22:23]
	v_add_nc_u64_e32 v[64:65], v[40:41], v[22:23]
	global_load_u16 v3, v[58:59], off
	global_load_u16 v17, v[64:65], off
	s_wait_loadcnt 0x1
	v_cvt_f32_f16_e32 v9, v3
	s_wait_loadcnt 0x0
	v_cvt_f32_f16_e32 v17, v17
	s_or_b32 exec_lo, exec_lo, s20
	s_and_saveexec_b32 s20, s2
	s_cbranch_execz .LBB86_39
.LBB86_46:                              ;   in Loop: Header=BB86_5 Depth=1
	v_add_nc_u64_e32 v[58:59], v[34:35], v[22:23]
	v_add_nc_u64_e32 v[64:65], v[36:37], v[22:23]
	global_load_u16 v3, v[58:59], off
	global_load_u16 v18, v[64:65], off
	s_wait_loadcnt 0x1
	v_cvt_f32_f16_e32 v10, v3
	s_wait_loadcnt 0x0
	v_cvt_f32_f16_e32 v18, v18
	s_or_b32 exec_lo, exec_lo, s20
	s_and_saveexec_b32 s20, s2
	s_cbranch_execz .LBB86_3
.LBB86_47:                              ;   in Loop: Header=BB86_5 Depth=1
	v_add_nc_u64_e32 v[58:59], v[30:31], v[22:23]
	v_add_nc_u64_e32 v[64:65], v[32:33], v[22:23]
	global_load_u16 v3, v[58:59], off
	global_load_u16 v19, v[64:65], off
	s_wait_loadcnt 0x1
	v_cvt_f32_f16_e32 v11, v3
	s_wait_loadcnt 0x0
	v_cvt_f32_f16_e32 v19, v19
	s_branch .LBB86_3
.LBB86_48:
                                        ; implicit-def: $vgpr29
	s_branch .LBB86_50
.LBB86_49:
	s_cbranch_execnz .LBB86_81
.LBB86_50:
	v_mov_b32_e32 v29, 0
	s_and_not1_b32 vcc_lo, exec_lo, s17
	s_delay_alu instid0(VALU_DEP_1)
	v_mov_b32_e32 v28, v29
	s_cbranch_vccnz .LBB86_81
; %bb.51:
	v_bfe_u32 v1, v0, 10, 10
	v_mov_b32_e32 v2, 0
	v_and_b32_e32 v90, 0x3ff, v0
	s_load_b32 s2, s[0:1], 0x44
	s_add_nc_u64 s[20:21], s[0:1], 64
	s_delay_alu instid0(VALU_DEP_2) | instskip(SKIP_1) | instid1(VALU_DEP_2)
	v_dual_mov_b32 v5, v2 :: v_dual_lshlrev_b32 v4, 4, v1
	v_dual_mov_b32 v21, v2 :: v_dual_lshlrev_b32 v20, 3, v1
	v_lshl_add_u64 v[4:5], s[18:19], 1, v[4:5]
	s_delay_alu instid0(VALU_DEP_2) | instskip(NEXT) | instid1(VALU_DEP_2)
	v_add_nc_u64_e32 v[8:9], s[18:19], v[20:21]
	v_add_nc_u64_e32 v[6:7], 2, v[4:5]
	;; [unrolled: 1-line block ×6, first 2 shown]
	v_mul_u64_e32 v[28:29], s[6:7], v[8:9]
	v_add_nc_u64_e32 v[48:49], 4, v[8:9]
	v_mad_nc_u64_u32 v[22:23], s6, v6, s[8:9]
	v_mul_lo_u32 v3, s6, v7
	v_mul_lo_u32 v44, s7, v6
	v_mad_nc_u64_u32 v[34:35], s6, v6, s[10:11]
	v_add_nc_u64_e32 v[6:7], 7, v[8:9]
	v_mad_nc_u64_u32 v[24:25], s6, v10, s[8:9]
	v_mul_lo_u32 v50, s6, v11
	v_mul_lo_u32 v51, s7, v10
	v_mad_nc_u64_u32 v[26:27], s6, v12, s[8:9]
	v_mul_lo_u32 v52, s6, v13
	v_mul_lo_u32 v53, s7, v12
	v_mad_nc_u64_u32 v[36:37], s6, v10, s[10:11]
	v_mad_nc_u64_u32 v[40:41], s6, v12, s[10:11]
	v_add_nc_u64_e32 v[10:11], 6, v[8:9]
	v_mul_u64_e32 v[6:7], s[6:7], v[6:7]
	v_add_nc_u64_e32 v[12:13], 5, v[8:9]
	v_mad_nc_u64_u32 v[30:31], s6, v14, s[8:9]
	v_mul_lo_u32 v54, s6, v15
	v_mul_lo_u32 v55, s7, v14
	v_add3_u32 v23, v44, v23, v3
	v_add3_u32 v35, v44, v35, v3
	v_mul_u64_e32 v[10:11], s[6:7], v[10:11]
	v_mad_nc_u64_u32 v[44:45], s6, v14, s[10:11]
	v_add_nc_u64_e32 v[14:15], 3, v[8:9]
	v_add_nc_u64_e32 v[8:9], 2, v[8:9]
	v_mul_u64_e32 v[12:13], s[6:7], v[12:13]
	v_mad_nc_u64_u32 v[32:33], s6, v16, s[8:9]
	v_mul_lo_u32 v56, s6, v17
	v_mul_lo_u32 v57, s7, v16
	v_mad_nc_u64_u32 v[46:47], s6, v16, s[10:11]
	v_mul_u64_e32 v[16:17], s[6:7], v[48:49]
	v_mul_u64_e32 v[14:15], s[6:7], v[14:15]
	;; [unrolled: 1-line block ×3, first 2 shown]
	v_add_nc_u64_e32 v[18:19], 12, v[4:5]
	v_add_nc_u64_e32 v[4:5], 14, v[4:5]
	v_add3_u32 v25, v51, v25, v50
	v_add3_u32 v37, v51, v37, v50
	;; [unrolled: 1-line block ×5, first 2 shown]
	v_mad_nc_u64_u32 v[38:39], s6, v18, s[8:9]
	v_mul_lo_u32 v19, s6, v19
	v_mul_lo_u32 v58, s7, v18
	v_mad_nc_u64_u32 v[42:43], s6, v4, s[8:9]
	v_mad_nc_u64_u32 v[48:49], s6, v18, s[10:11]
	v_mul_lo_u32 v3, s6, v5
	v_mul_lo_u32 v18, s7, v4
	v_mad_nc_u64_u32 v[50:51], s6, v4, s[10:11]
	v_lshlrev_b64_e32 v[6:7], 1, v[6:7]
	v_dual_mov_b32 v5, v2 :: v_dual_add_nc_u32 v4, s3, v90
	s_mov_b32 s3, 0
	v_add3_u32 v33, v57, v33, v56
	v_add3_u32 v39, v58, v39, v19
	;; [unrolled: 1-line block ×4, first 2 shown]
	v_add_nc_u64_e32 v[58:59], s[8:9], v[6:7]
	v_add3_u32 v43, v18, v43, v3
	v_add3_u32 v51, v18, v51, v3
	v_lshlrev_b64_e32 v[18:19], 1, v[28:29]
	v_add_nc_u64_e32 v[60:61], s[10:11], v[6:7]
	v_lshlrev_b64_e32 v[6:7], 1, v[12:13]
	v_add_nc_u64_e32 v[12:13], s[6:7], v[28:29]
	v_mov_b32_e32 v28, 0
	v_lshlrev_b64_e32 v[52:53], 1, v[4:5]
	v_lshlrev_b64_e32 v[4:5], 1, v[10:11]
	;; [unrolled: 1-line block ×4, first 2 shown]
	v_add_nc_u64_e32 v[66:67], s[8:9], v[6:7]
	v_add_nc_u64_e32 v[68:69], s[10:11], v[6:7]
	v_lshlrev_b64_e32 v[6:7], 1, v[12:13]
	v_add3_u32 v47, v57, v47, v56
	v_add_nc_u64_e32 v[62:63], s[8:9], v[4:5]
	v_add_nc_u64_e32 v[64:65], s[10:11], v[4:5]
	v_lshlrev_b64_e32 v[4:5], 1, v[14:15]
	v_add_nc_u64_e32 v[54:55], s[8:9], v[18:19]
	v_add_nc_u64_e32 v[56:57], s[10:11], v[18:19]
	;; [unrolled: 1-line block ×10, first 2 shown]
	s_wait_kmcnt 0x0
	s_lshl_b32 s22, s2, 3
	s_mov_b32 s23, s3
	v_mov_b32_e32 v29, v2
	s_mul_u64 s[24:25], s[6:7], s[22:23]
	s_mov_b64 s[10:11], 7
	s_lshl_b64 s[8:9], s[24:25], 1
	s_mov_b64 s[24:25], s[18:19]
	s_branch .LBB86_55
.LBB86_52:                              ;   in Loop: Header=BB86_55 Depth=1
	s_wait_xcnt 0x0
	s_or_b32 exec_lo, exec_lo, s17
.LBB86_53:                              ;   in Loop: Header=BB86_55 Depth=1
	s_delay_alu instid0(SALU_CYCLE_1)
	s_or_b32 exec_lo, exec_lo, s2
	v_add_nc_u64_e32 v[4:5], v[54:55], v[52:53]
	v_add_nc_u64_e32 v[8:9], v[56:57], v[52:53]
	;; [unrolled: 1-line block ×5, first 2 shown]
	s_wait_loadcnt 0x1
	ds_bpermute_b32 v98, v2, v3 offset:12
	s_wait_loadcnt 0x0
	ds_bpermute_b32 v96, v2, v6 offset:8
	global_load_u16 v7, v[4:5], off
	global_load_u16 v16, v[8:9], off
	;; [unrolled: 1-line block ×3, first 2 shown]
	s_wait_xcnt 0x2
	v_add_nc_u64_e32 v[4:5], v[36:37], v[52:53]
	s_wait_xcnt 0x1
	v_add_nc_u64_e32 v[8:9], v[26:27], v[52:53]
	global_load_u16 v18, v[12:13], off
	global_load_u16 v19, v[14:15], off
	s_wait_xcnt 0x2
	v_add_nc_u64_e32 v[10:11], v[40:41], v[52:53]
	s_wait_xcnt 0x1
	v_add_nc_u64_e32 v[12:13], v[30:31], v[52:53]
	;; [unrolled: 2-line block ×3, first 2 shown]
	global_load_u16 v28, v[4:5], off
	global_load_u16 v29, v[8:9], off
	;; [unrolled: 1-line block ×3, first 2 shown]
	s_wait_xcnt 0x2
	v_add_nc_u64_e32 v[4:5], v[32:33], v[52:53]
	s_wait_xcnt 0x1
	v_add_nc_u64_e32 v[8:9], v[46:47], v[52:53]
	global_load_u16 v89, v[12:13], off
	global_load_u16 v91, v[14:15], off
	s_wait_xcnt 0x2
	v_add_nc_u64_e32 v[10:11], v[42:43], v[52:53]
	s_wait_xcnt 0x1
	ds_bpermute_b32 v12, v2, v3 offset:4
	s_wait_xcnt 0x0
	ds_bpermute_b32 v14, v2, v3 offset:8
	ds_bpermute_b32 v100, v2, v3 offset:16
	global_load_u16 v13, v[4:5], off
	s_wait_xcnt 0x0
	v_add_nc_u64_e32 v[4:5], v[48:49], v[52:53]
	global_load_u16 v15, v[8:9], off
	s_wait_xcnt 0x0
	v_add_nc_u64_e32 v[8:9], v[38:39], v[52:53]
	ds_bpermute_b32 v97, v2, v6 offset:12
	ds_bpermute_b32 v99, v2, v6 offset:16
	;; [unrolled: 1-line block ×4, first 2 shown]
	global_load_u16 v92, v[4:5], off
	s_wait_xcnt 0x0
	v_add_nc_u64_e32 v[4:5], v[50:51], v[52:53]
	global_load_u16 v93, v[8:9], off
	global_load_u16 v94, v[4:5], off
	;; [unrolled: 1-line block ×3, first 2 shown]
	s_wait_xcnt 0x2
	ds_bpermute_b32 v9, v2, v3
	s_wait_xcnt 0x1
	ds_bpermute_b32 v5, v2, v6
	s_wait_xcnt 0x0
	ds_bpermute_b32 v11, v2, v6 offset:4
	ds_bpermute_b32 v103, v2, v6 offset:24
	;; [unrolled: 1-line block ×5, first 2 shown]
	s_wait_loadcnt 0xf
	v_cvt_f32_f16_e32 v4, v7
	s_wait_loadcnt 0xe
	v_cvt_f32_f16_e32 v10, v16
	;; [unrolled: 2-line block ×5, first 2 shown]
	s_wait_dscnt 0x6
	s_delay_alu instid0(VALU_DEP_2) | instskip(SKIP_2) | instid1(VALU_DEP_2)
	v_dual_sub_f32 v9, v10, v9 :: v_dual_sub_f32 v7, v7, v12
	s_wait_loadcnt 0xa
	v_cvt_f32_f16_e32 v16, v28
	v_mul_f32_e32 v9, v9, v4
	s_wait_loadcnt 0x8
	v_cvt_f32_f16_e32 v17, v88
	v_cvt_f32_f16_e32 v10, v29
	s_wait_loadcnt 0x6
	v_cvt_f32_f16_e32 v18, v91
	v_sub_f32_e32 v16, v16, v14
	s_wait_dscnt 0x5
	v_dual_mul_f32 v7, v7, v6 :: v_dual_mul_f32 v5, v9, v5
	v_sub_f32_e32 v9, v17, v98
	s_wait_loadcnt 0x5
	v_cvt_f32_f16_e32 v14, v13
	s_wait_dscnt 0x4
	v_dual_mul_f32 v13, v16, v8 :: v_dual_mul_f32 v7, v7, v11
	v_pk_add_f32 v[4:5], v[86:87], v[4:5]
	v_cvt_f32_f16_e32 v12, v89
	s_wait_loadcnt 0x4
	v_cvt_f32_f16_e32 v11, v15
	v_dual_sub_f32 v15, v18, v100 :: v_dual_mul_f32 v16, v9, v10
	v_mul_f32_e32 v9, v13, v96
	v_pk_add_f32 v[4:5], v[4:5], v[6:7]
	s_wait_loadcnt 0x3
	v_cvt_f32_f16_e32 v7, v92
	v_sub_f32_e32 v13, v11, v102
	v_dual_mul_f32 v15, v15, v12 :: v_dual_mul_f32 v11, v16, v97
	v_pk_add_f32 v[4:5], v[4:5], v[8:9]
	s_wait_loadcnt 0x2
	v_cvt_f32_f16_e32 v6, v93
	s_wait_dscnt 0x1
	v_dual_sub_f32 v7, v7, v104 :: v_dual_mul_f32 v9, v13, v14
	v_mul_f32_e32 v13, v15, v99
	v_pk_add_f32 v[4:5], v[4:5], v[10:11]
	s_wait_loadcnt 0x1
	v_cvt_f32_f16_e32 v10, v94
	s_wait_loadcnt 0x0
	v_cvt_f32_f16_e32 v8, v95
	v_dual_mul_f32 v7, v7, v6 :: v_dual_mul_f32 v15, v9, v101
	v_pk_add_f32 v[4:5], v[4:5], v[12:13]
	s_wait_dscnt 0x0
	v_sub_f32_e32 v3, v10, v3
	s_delay_alu instid0(VALU_DEP_3) | instskip(NEXT) | instid1(VALU_DEP_3)
	v_mul_f32_e32 v7, v7, v103
	v_pk_add_f32 v[4:5], v[4:5], v[14:15]
	s_delay_alu instid0(VALU_DEP_3) | instskip(NEXT) | instid1(VALU_DEP_2)
	v_mul_f32_e32 v3, v3, v8
	v_pk_add_f32 v[4:5], v[4:5], v[6:7]
	s_delay_alu instid0(VALU_DEP_2) | instskip(NEXT) | instid1(VALU_DEP_1)
	v_mul_f32_e32 v9, v3, v105
	v_pk_add_f32 v[28:29], v[4:5], v[8:9]
.LBB86_54:                              ;   in Loop: Header=BB86_55 Depth=1
	s_add_nc_u64 s[24:25], s[24:25], s[22:23]
	v_add_nc_u64_e32 v[54:55], s[8:9], v[54:55]
	v_cmp_ge_i64_e64 s2, s[24:25], s[4:5]
	v_add_nc_u64_e32 v[56:57], s[8:9], v[56:57]
	v_add_nc_u64_e32 v[20:21], s[22:23], v[20:21]
	;; [unrolled: 1-line block ×30, first 2 shown]
	s_and_b32 vcc_lo, exec_lo, s2
	s_add_nc_u64 s[10:11], s[10:11], s[22:23]
	s_cbranch_vccnz .LBB86_81
.LBB86_55:                              ; =>This Inner Loop Header: Depth=1
	s_add_nc_u64 s[26:27], s[18:19], s[10:11]
	v_add_nc_u64_e32 v[88:89], s[18:19], v[20:21]
	v_cmp_ge_i64_e64 s2, s[26:27], s[4:5]
	v_dual_mov_b32 v86, v28 :: v_dual_mov_b32 v87, v29
                                        ; implicit-def: $vgpr29
	s_and_b32 vcc_lo, exec_lo, s2
	s_mov_b32 s2, -1
	s_cbranch_vccz .LBB86_77
; %bb.56:                               ;   in Loop: Header=BB86_55 Depth=1
	s_load_b32 s2, s[20:21], 0xc
	v_dual_mov_b32 v29, 0 :: v_dual_mov_b32 v28, 0
	s_wait_kmcnt 0x0
	s_and_b32 s2, s2, 0xffff
	s_delay_alu instid0(SALU_CYCLE_1) | instskip(SKIP_1) | instid1(VALU_DEP_1)
	v_mad_u32_u24 v3, v1, s2, v90
	s_mov_b32 s2, exec_lo
	v_and_b32_e32 v4, 31, v3
	s_delay_alu instid0(VALU_DEP_1)
	v_cmpx_gt_u32_e32 8, v4
	s_cbranch_execz .LBB86_60
; %bb.57:                               ;   in Loop: Header=BB86_55 Depth=1
	v_dual_mov_b32 v5, v2 :: v_dual_mov_b32 v29, 0
	v_mov_b32_e32 v28, 0
	s_mov_b32 s17, exec_lo
	s_delay_alu instid0(VALU_DEP_2) | instskip(NEXT) | instid1(VALU_DEP_1)
	v_add_nc_u64_e32 v[4:5], v[88:89], v[4:5]
	v_cmpx_gt_i64_e64 s[4:5], v[4:5]
	s_cbranch_execz .LBB86_59
; %bb.58:                               ;   in Loop: Header=BB86_55 Depth=1
	v_lshlrev_b64_e32 v[4:5], 2, v[4:5]
	s_delay_alu instid0(VALU_DEP_1)
	v_add_nc_u64_e32 v[6:7], s[12:13], v[4:5]
	v_add_nc_u64_e32 v[4:5], s[14:15], v[4:5]
	global_load_b32 v29, v[6:7], off
	global_load_b32 v28, v[4:5], off
.LBB86_59:                              ;   in Loop: Header=BB86_55 Depth=1
	s_wait_xcnt 0x0
	s_or_b32 exec_lo, exec_lo, s17
.LBB86_60:                              ;   in Loop: Header=BB86_55 Depth=1
	s_delay_alu instid0(SALU_CYCLE_1) | instskip(SKIP_4) | instid1(VALU_DEP_3)
	s_or_b32 exec_lo, exec_lo, s2
	v_dual_mov_b32 v7, v2 :: v_dual_mov_b32 v8, v2
	v_dual_mov_b32 v9, v2 :: v_dual_mov_b32 v3, v2
	;; [unrolled: 1-line block ×3, first 2 shown]
	v_mov_b32_e32 v6, v2
	v_mov_b64_e32 v[18:19], v[8:9]
	s_delay_alu instid0(VALU_DEP_4)
	v_mov_b64_e32 v[12:13], v[2:3]
	s_mov_b32 s2, exec_lo
	v_mov_b64_e32 v[14:15], v[4:5]
	v_mov_b64_e32 v[16:17], v[6:7]
	;; [unrolled: 1-line block ×6, first 2 shown]
	v_cmpx_gt_i64_e64 s[4:5], v[88:89]
	s_cbranch_execz .LBB86_62
; %bb.61:                               ;   in Loop: Header=BB86_55 Depth=1
	v_add_nc_u64_e32 v[4:5], v[54:55], v[52:53]
	v_add_nc_u64_e32 v[6:7], v[56:57], v[52:53]
	v_dual_mov_b32 v9, v2 :: v_dual_mov_b32 v10, v2
	v_dual_mov_b32 v11, v2 :: v_dual_mov_b32 v13, v2
	;; [unrolled: 1-line block ×3, first 2 shown]
	global_load_u16 v3, v[4:5], off
	global_load_u16 v12, v[6:7], off
	s_wait_xcnt 0x0
	v_dual_mov_b32 v5, v2 :: v_dual_mov_b32 v6, v2
	v_dual_mov_b32 v7, v2 :: v_dual_mov_b32 v8, v2
	;; [unrolled: 1-line block ×4, first 2 shown]
	s_wait_loadcnt 0x1
	v_cvt_f32_f16_e32 v4, v3
	s_wait_loadcnt 0x0
	v_cvt_f32_f16_e32 v12, v12
.LBB86_62:                              ;   in Loop: Header=BB86_55 Depth=1
	s_or_b32 exec_lo, exec_lo, s2
	v_add_nc_u64_e32 v[92:93], 1, v[88:89]
	s_mov_b32 s2, exec_lo
	s_delay_alu instid0(VALU_DEP_1)
	v_cmpx_gt_i64_e64 s[4:5], v[92:93]
	s_cbranch_execz .LBB86_64
; %bb.63:                               ;   in Loop: Header=BB86_55 Depth=1
	v_add_nc_u64_e32 v[92:93], v[82:83], v[52:53]
	v_add_nc_u64_e32 v[94:95], v[84:85], v[52:53]
	global_load_u16 v3, v[92:93], off
	global_load_u16 v13, v[94:95], off
	s_wait_loadcnt 0x1
	v_cvt_f32_f16_e32 v5, v3
	s_wait_loadcnt 0x0
	v_cvt_f32_f16_e32 v13, v13
.LBB86_64:                              ;   in Loop: Header=BB86_55 Depth=1
	s_or_b32 exec_lo, exec_lo, s2
	v_add_nc_u64_e32 v[92:93], 2, v[88:89]
	s_mov_b32 s2, exec_lo
	s_delay_alu instid0(VALU_DEP_1)
	v_cmpx_gt_i64_e64 s[4:5], v[92:93]
	s_cbranch_execz .LBB86_66
; %bb.65:                               ;   in Loop: Header=BB86_55 Depth=1
	v_add_nc_u64_e32 v[92:93], v[78:79], v[52:53]
	v_add_nc_u64_e32 v[94:95], v[80:81], v[52:53]
	global_load_u16 v3, v[92:93], off
	global_load_u16 v14, v[94:95], off
	s_wait_loadcnt 0x1
	v_cvt_f32_f16_e32 v6, v3
	s_wait_loadcnt 0x0
	v_cvt_f32_f16_e32 v14, v14
.LBB86_66:                              ;   in Loop: Header=BB86_55 Depth=1
	;; [unrolled: 16-line block ×7, first 2 shown]
	s_or_b32 exec_lo, exec_lo, s2
	s_wait_loadcnt 0x1
	ds_bpermute_b32 v3, v2, v29
	ds_bpermute_b32 v91, v2, v29 offset:4
	ds_bpermute_b32 v93, v2, v29 offset:8
	s_wait_loadcnt 0x0
	ds_bpermute_b32 v94, v2, v28
	ds_bpermute_b32 v95, v2, v29 offset:12
	ds_bpermute_b32 v96, v2, v28 offset:4
	;; [unrolled: 1-line block ×10, first 2 shown]
	s_mov_b32 s2, 0
	s_wait_dscnt 0xd
	v_dual_mov_b32 v92, v6 :: v_dual_sub_f32 v3, v12, v3
	s_wait_dscnt 0xc
	v_dual_mov_b32 v12, v4 :: v_dual_sub_f32 v13, v13, v91
	s_wait_dscnt 0x9
	v_sub_f32_e32 v15, v15, v95
	v_dual_mul_f32 v3, v4, v3 :: v_dual_mov_b32 v4, v5
	v_sub_f32_e32 v14, v14, v93
	s_wait_dscnt 0x6
	v_dual_mul_f32 v5, v5, v13 :: v_dual_sub_f32 v16, v16, v100
	s_delay_alu instid0(VALU_DEP_3) | instskip(SKIP_4) | instid1(VALU_DEP_3)
	v_mul_f32_e32 v13, v3, v94
	ds_bpermute_b32 v3, v2, v29 offset:28
	v_dual_mul_f32 v14, v6, v14 :: v_dual_mul_f32 v5, v5, v96
	v_mov_b32_e32 v6, v7
	v_pk_add_f32 v[12:13], v[86:87], v[12:13]
	v_dual_mul_f32 v7, v7, v15 :: v_dual_mul_f32 v93, v14, v97
	ds_bpermute_b32 v14, v2, v28 offset:28
	v_mul_f32_e32 v15, v8, v16
	v_pk_add_f32 v[4:5], v[4:5], v[12:13]
	s_wait_dscnt 0x6
	v_sub_f32_e32 v13, v17, v102
	v_dual_mul_f32 v7, v7, v98 :: v_dual_mov_b32 v12, v8
	s_wait_dscnt 0x4
	v_sub_f32_e32 v8, v18, v104
	v_pk_add_f32 v[4:5], v[92:93], v[4:5]
	v_dual_mul_f32 v16, v9, v13 :: v_dual_mul_f32 v13, v15, v99
	s_delay_alu instid0(VALU_DEP_2) | instskip(SKIP_2) | instid1(VALU_DEP_3)
	v_pk_add_f32 v[4:5], v[6:7], v[4:5]
	s_wait_dscnt 0x1
	v_dual_mov_b32 v6, v9 :: v_dual_sub_f32 v3, v19, v3
	v_dual_mul_f32 v9, v10, v8 :: v_dual_mul_f32 v7, v16, v101
	v_mov_b32_e32 v8, v10
	v_pk_add_f32 v[4:5], v[12:13], v[4:5]
	s_delay_alu instid0(VALU_DEP_4) | instskip(NEXT) | instid1(VALU_DEP_2)
	v_mul_f32_e32 v3, v11, v3
	v_pk_add_f32 v[4:5], v[6:7], v[4:5]
	v_dual_mov_b32 v6, v11 :: v_dual_mul_f32 v9, v9, v103
	s_wait_dscnt 0x0
	s_delay_alu instid0(VALU_DEP_3) | instskip(NEXT) | instid1(VALU_DEP_2)
	v_mul_f32_e32 v7, v3, v14
	v_pk_add_f32 v[4:5], v[8:9], v[4:5]
	s_delay_alu instid0(VALU_DEP_1)
	v_pk_add_f32 v[28:29], v[6:7], v[4:5]
.LBB86_77:                              ;   in Loop: Header=BB86_55 Depth=1
	s_and_b32 vcc_lo, exec_lo, s2
	s_cbranch_vccz .LBB86_54
; %bb.78:                               ;   in Loop: Header=BB86_55 Depth=1
	s_load_b32 s2, s[20:21], 0x0
	v_mov_b32_e32 v6, 0
	s_wait_kmcnt 0x0
	s_cmp_lt_u32 s16, s2
	s_cselect_b32 s2, 12, 18
	s_delay_alu instid0(SALU_CYCLE_1) | instskip(SKIP_4) | instid1(VALU_DEP_1)
	s_add_nc_u64 s[26:27], s[20:21], s[2:3]
	s_load_u16 s2, s[26:27], 0x0
	s_wait_kmcnt 0x0
	v_mad_u32_u24 v3, v1, s2, v90
	s_mov_b32 s2, exec_lo
	v_dual_mov_b32 v3, 0 :: v_dual_bitop2_b32 v4, 31, v3 bitop3:0x40
	s_delay_alu instid0(VALU_DEP_1)
	v_cmpx_gt_u32_e32 8, v4
	s_cbranch_execz .LBB86_53
; %bb.79:                               ;   in Loop: Header=BB86_55 Depth=1
	v_dual_mov_b32 v5, v2 :: v_dual_mov_b32 v3, 0
	v_mov_b32_e32 v6, 0
	s_mov_b32 s17, exec_lo
	s_delay_alu instid0(VALU_DEP_2) | instskip(NEXT) | instid1(VALU_DEP_1)
	v_add_nc_u64_e32 v[4:5], v[88:89], v[4:5]
	v_cmpx_gt_i64_e64 s[4:5], v[4:5]
	s_cbranch_execz .LBB86_52
; %bb.80:                               ;   in Loop: Header=BB86_55 Depth=1
	v_lshlrev_b64_e32 v[4:5], 2, v[4:5]
	s_delay_alu instid0(VALU_DEP_1)
	v_add_nc_u64_e32 v[8:9], s[12:13], v[4:5]
	v_add_nc_u64_e32 v[4:5], s[14:15], v[4:5]
	global_load_b32 v3, v[8:9], off
	global_load_b32 v6, v[4:5], off
	s_branch .LBB86_52
.LBB86_81:
	s_mov_b32 s17, 0
	s_delay_alu instid0(SALU_CYCLE_1) | instskip(NEXT) | instid1(SALU_CYCLE_1)
	s_lshl_b64 s[2:3], s[16:17], 5
	v_and_or_b32 v2, 0x3ff, v0, s2
	v_mov_b32_e32 v3, s3
	s_mov_b32 s2, exec_lo
	s_delay_alu instid0(VALU_DEP_1)
	v_cmpx_gt_i64_e64 s[6:7], v[2:3]
	s_cbranch_execz .LBB86_86
; %bb.82:
	s_load_u16 s2, s[0:1], 0x4e
	v_bfe_u32 v0, v0, 10, 10
	v_mov_b32_e32 v1, 0
	s_wait_kmcnt 0x0
	s_delay_alu instid0(VALU_DEP_1) | instskip(SKIP_1) | instid1(VALU_DEP_1)
	v_mad_nc_u64_u32 v[0:1], s2, s33, v[0:1]
	s_load_b128 s[0:3], s[0:1], 0x30
	v_mul_u64_e32 v[0:1], s[6:7], v[0:1]
	s_wait_kmcnt 0x0
	s_cmp_eq_u64 s[0:1], 0
	s_cbranch_scc1 .LBB86_84
; %bb.83:
	s_delay_alu instid0(VALU_DEP_1) | instskip(SKIP_1) | instid1(VALU_DEP_2)
	v_lshl_add_u64 v[4:5], v[0:1], 1, s[0:1]
	v_cvt_f16_f32_e32 v6, v29
	v_lshl_add_u64 v[4:5], v[2:3], 1, v[4:5]
	global_store_b16 v[4:5], v6, off
.LBB86_84:
	s_cmp_eq_u64 s[2:3], 0
	s_cbranch_scc1 .LBB86_86
; %bb.85:
	s_delay_alu instid0(VALU_DEP_1) | instskip(SKIP_2) | instid1(VALU_DEP_2)
	v_lshl_add_u64 v[0:1], v[0:1], 1, s[2:3]
	s_wait_xcnt 0x0
	v_cvt_f16_f32_e32 v4, v28
	v_lshl_add_u64 v[0:1], v[2:3], 1, v[0:1]
	global_store_b16 v[0:1], v4, off
.LBB86_86:
	s_sendmsg sendmsg(MSG_DEALLOC_VGPRS)
	s_endpgm
	.section	.rodata,"a",@progbits
	.p2align	6, 0x0
	.amdhsa_kernel _ZN2at6native12_GLOBAL__N_135GammaBetaBackwardCUDAKernelTemplateIN3c104HalfEfLj32ELj1ELj8ELb1ELb0ELb0EEEvllPKT_S7_PKT0_SA_PS5_SB_
		.amdhsa_group_segment_fixed_size 0
		.amdhsa_private_segment_fixed_size 0
		.amdhsa_kernarg_size 320
		.amdhsa_user_sgpr_count 2
		.amdhsa_user_sgpr_dispatch_ptr 0
		.amdhsa_user_sgpr_queue_ptr 0
		.amdhsa_user_sgpr_kernarg_segment_ptr 1
		.amdhsa_user_sgpr_dispatch_id 0
		.amdhsa_user_sgpr_kernarg_preload_length 0
		.amdhsa_user_sgpr_kernarg_preload_offset 0
		.amdhsa_user_sgpr_private_segment_size 0
		.amdhsa_wavefront_size32 1
		.amdhsa_uses_dynamic_stack 0
		.amdhsa_enable_private_segment 0
		.amdhsa_system_sgpr_workgroup_id_x 1
		.amdhsa_system_sgpr_workgroup_id_y 1
		.amdhsa_system_sgpr_workgroup_id_z 0
		.amdhsa_system_sgpr_workgroup_info 0
		.amdhsa_system_vgpr_workitem_id 1
		.amdhsa_next_free_vgpr 106
		.amdhsa_next_free_sgpr 36
		.amdhsa_named_barrier_count 0
		.amdhsa_reserve_vcc 1
		.amdhsa_float_round_mode_32 0
		.amdhsa_float_round_mode_16_64 0
		.amdhsa_float_denorm_mode_32 3
		.amdhsa_float_denorm_mode_16_64 3
		.amdhsa_fp16_overflow 0
		.amdhsa_memory_ordered 1
		.amdhsa_forward_progress 1
		.amdhsa_inst_pref_size 51
		.amdhsa_round_robin_scheduling 0
		.amdhsa_exception_fp_ieee_invalid_op 0
		.amdhsa_exception_fp_denorm_src 0
		.amdhsa_exception_fp_ieee_div_zero 0
		.amdhsa_exception_fp_ieee_overflow 0
		.amdhsa_exception_fp_ieee_underflow 0
		.amdhsa_exception_fp_ieee_inexact 0
		.amdhsa_exception_int_div_zero 0
	.end_amdhsa_kernel
	.section	.text._ZN2at6native12_GLOBAL__N_135GammaBetaBackwardCUDAKernelTemplateIN3c104HalfEfLj32ELj1ELj8ELb1ELb0ELb0EEEvllPKT_S7_PKT0_SA_PS5_SB_,"axG",@progbits,_ZN2at6native12_GLOBAL__N_135GammaBetaBackwardCUDAKernelTemplateIN3c104HalfEfLj32ELj1ELj8ELb1ELb0ELb0EEEvllPKT_S7_PKT0_SA_PS5_SB_,comdat
.Lfunc_end86:
	.size	_ZN2at6native12_GLOBAL__N_135GammaBetaBackwardCUDAKernelTemplateIN3c104HalfEfLj32ELj1ELj8ELb1ELb0ELb0EEEvllPKT_S7_PKT0_SA_PS5_SB_, .Lfunc_end86-_ZN2at6native12_GLOBAL__N_135GammaBetaBackwardCUDAKernelTemplateIN3c104HalfEfLj32ELj1ELj8ELb1ELb0ELb0EEEvllPKT_S7_PKT0_SA_PS5_SB_
                                        ; -- End function
	.set _ZN2at6native12_GLOBAL__N_135GammaBetaBackwardCUDAKernelTemplateIN3c104HalfEfLj32ELj1ELj8ELb1ELb0ELb0EEEvllPKT_S7_PKT0_SA_PS5_SB_.num_vgpr, 106
	.set _ZN2at6native12_GLOBAL__N_135GammaBetaBackwardCUDAKernelTemplateIN3c104HalfEfLj32ELj1ELj8ELb1ELb0ELb0EEEvllPKT_S7_PKT0_SA_PS5_SB_.num_agpr, 0
	.set _ZN2at6native12_GLOBAL__N_135GammaBetaBackwardCUDAKernelTemplateIN3c104HalfEfLj32ELj1ELj8ELb1ELb0ELb0EEEvllPKT_S7_PKT0_SA_PS5_SB_.numbered_sgpr, 36
	.set _ZN2at6native12_GLOBAL__N_135GammaBetaBackwardCUDAKernelTemplateIN3c104HalfEfLj32ELj1ELj8ELb1ELb0ELb0EEEvllPKT_S7_PKT0_SA_PS5_SB_.num_named_barrier, 0
	.set _ZN2at6native12_GLOBAL__N_135GammaBetaBackwardCUDAKernelTemplateIN3c104HalfEfLj32ELj1ELj8ELb1ELb0ELb0EEEvllPKT_S7_PKT0_SA_PS5_SB_.private_seg_size, 0
	.set _ZN2at6native12_GLOBAL__N_135GammaBetaBackwardCUDAKernelTemplateIN3c104HalfEfLj32ELj1ELj8ELb1ELb0ELb0EEEvllPKT_S7_PKT0_SA_PS5_SB_.uses_vcc, 1
	.set _ZN2at6native12_GLOBAL__N_135GammaBetaBackwardCUDAKernelTemplateIN3c104HalfEfLj32ELj1ELj8ELb1ELb0ELb0EEEvllPKT_S7_PKT0_SA_PS5_SB_.uses_flat_scratch, 0
	.set _ZN2at6native12_GLOBAL__N_135GammaBetaBackwardCUDAKernelTemplateIN3c104HalfEfLj32ELj1ELj8ELb1ELb0ELb0EEEvllPKT_S7_PKT0_SA_PS5_SB_.has_dyn_sized_stack, 0
	.set _ZN2at6native12_GLOBAL__N_135GammaBetaBackwardCUDAKernelTemplateIN3c104HalfEfLj32ELj1ELj8ELb1ELb0ELb0EEEvllPKT_S7_PKT0_SA_PS5_SB_.has_recursion, 0
	.set _ZN2at6native12_GLOBAL__N_135GammaBetaBackwardCUDAKernelTemplateIN3c104HalfEfLj32ELj1ELj8ELb1ELb0ELb0EEEvllPKT_S7_PKT0_SA_PS5_SB_.has_indirect_call, 0
	.section	.AMDGPU.csdata,"",@progbits
; Kernel info:
; codeLenInByte = 6432
; TotalNumSgprs: 38
; NumVgprs: 106
; ScratchSize: 0
; MemoryBound: 0
; FloatMode: 240
; IeeeMode: 1
; LDSByteSize: 0 bytes/workgroup (compile time only)
; SGPRBlocks: 0
; VGPRBlocks: 6
; NumSGPRsForWavesPerEU: 38
; NumVGPRsForWavesPerEU: 106
; NamedBarCnt: 0
; Occupancy: 9
; WaveLimiterHint : 0
; COMPUTE_PGM_RSRC2:SCRATCH_EN: 0
; COMPUTE_PGM_RSRC2:USER_SGPR: 2
; COMPUTE_PGM_RSRC2:TRAP_HANDLER: 0
; COMPUTE_PGM_RSRC2:TGID_X_EN: 1
; COMPUTE_PGM_RSRC2:TGID_Y_EN: 1
; COMPUTE_PGM_RSRC2:TGID_Z_EN: 0
; COMPUTE_PGM_RSRC2:TIDIG_COMP_CNT: 1
	.section	.text._ZN2at6native12_GLOBAL__N_135GammaBetaBackwardCUDAKernelTemplateIN3c104HalfEfLj32ELj8ELj64ELb0ELb1ELb0EEEvllPKT_S7_PKT0_SA_PS5_SB_,"axG",@progbits,_ZN2at6native12_GLOBAL__N_135GammaBetaBackwardCUDAKernelTemplateIN3c104HalfEfLj32ELj8ELj64ELb0ELb1ELb0EEEvllPKT_S7_PKT0_SA_PS5_SB_,comdat
	.globl	_ZN2at6native12_GLOBAL__N_135GammaBetaBackwardCUDAKernelTemplateIN3c104HalfEfLj32ELj8ELj64ELb0ELb1ELb0EEEvllPKT_S7_PKT0_SA_PS5_SB_ ; -- Begin function _ZN2at6native12_GLOBAL__N_135GammaBetaBackwardCUDAKernelTemplateIN3c104HalfEfLj32ELj8ELj64ELb0ELb1ELb0EEEvllPKT_S7_PKT0_SA_PS5_SB_
	.p2align	8
	.type	_ZN2at6native12_GLOBAL__N_135GammaBetaBackwardCUDAKernelTemplateIN3c104HalfEfLj32ELj8ELj64ELb0ELb1ELb0EEEvllPKT_S7_PKT0_SA_PS5_SB_,@function
_ZN2at6native12_GLOBAL__N_135GammaBetaBackwardCUDAKernelTemplateIN3c104HalfEfLj32ELj8ELj64ELb0ELb1ELb0EEEvllPKT_S7_PKT0_SA_PS5_SB_: ; @_ZN2at6native12_GLOBAL__N_135GammaBetaBackwardCUDAKernelTemplateIN3c104HalfEfLj32ELj8ELj64ELb0ELb1ELb0EEEvllPKT_S7_PKT0_SA_PS5_SB_
; %bb.0:
	s_load_b128 s[12:15], s[0:1], 0x0
	s_bfe_u32 s2, ttmp6, 0x40010
	s_bfe_u32 s4, ttmp6, 0x40004
	s_add_co_i32 s2, s2, 1
	s_getreg_b32 s3, hwreg(HW_REG_IB_STS2, 6, 4)
	s_mul_i32 s2, ttmp7, s2
	s_mov_b32 s17, 0
	s_add_co_i32 s4, s4, s2
	s_cmp_eq_u32 s3, 0
	v_bfe_u32 v11, v0, 10, 10
	s_cselect_b32 s2, ttmp7, s4
	s_delay_alu instid0(SALU_CYCLE_1)
	s_lshl_b32 s16, s2, 6
	s_wait_kmcnt 0x0
	v_cmp_gt_i64_e64 s2, s[12:13], s[16:17]
	s_and_b32 vcc_lo, exec_lo, s2
	s_cbranch_vccnz .LBB87_2
; %bb.1:
	v_bfe_u32 v1, v0, 10, 10
	s_mov_b32 s2, s17
	s_branch .LBB87_3
.LBB87_2:
	s_mov_b32 s2, -1
                                        ; implicit-def: $vgpr1
.LBB87_3:
	v_mov_b32_e32 v9, 0
	v_and_b32_e32 v10, 0x3ff, v0
	s_and_not1_b32 vcc_lo, exec_lo, s2
	s_delay_alu instid0(VALU_DEP_2)
	v_mov_b32_e32 v8, v9
	s_cbranch_vccnz .LBB87_11
; %bb.4:
	v_dual_mov_b32 v1, 0 :: v_dual_lshlrev_b32 v0, 3, v11
	s_load_b32 s2, s[0:1], 0x4c
	s_bfe_u32 s21, ttmp6, 0x4000c
	s_clause 0x1
	s_load_b32 s18, s[0:1], 0x44
	s_load_b256 s[4:11], s[0:1], 0x10
	s_add_co_i32 s21, s21, 1
	v_add_nc_u64_e32 v[2:3], s[16:17], v[0:1]
	s_and_b32 s20, ttmp6, 15
	s_mul_i32 s21, ttmp9, s21
	v_dual_mov_b32 v13, 12 :: v_dual_mov_b32 v5, v1
	s_add_co_i32 s20, s20, s21
	s_mov_b32 s19, 0
	s_delay_alu instid0(VALU_DEP_2)
	v_mul_u64_e32 v[6:7], s[14:15], v[2:3]
	v_dual_mov_b32 v0, 8 :: v_dual_mov_b32 v12, 4
	v_dual_mov_b32 v14, 16 :: v_dual_mov_b32 v15, 20
	v_dual_mov_b32 v16, 24 :: v_dual_mov_b32 v17, 28
	s_wait_kmcnt 0x0
	s_and_b32 s2, s2, 0xffff
	s_cmp_eq_u32 s3, 0
	v_mad_u32_u24 v4, v11, s2, v10
	v_mov_b32_e32 v9, v1
	s_cselect_b32 s2, ttmp9, s20
	s_lshl_b32 s18, s18, 6
	v_lshl_add_u32 v8, s2, 5, v10
	v_and_b32_e32 v4, 31, v4
	s_mul_u64 s[22:23], s[14:15], s[18:19]
	s_lshl_b64 s[20:21], s[18:19], 2
	s_lshl_b64 s[22:23], s[22:23], 1
	v_lshlrev_b64_e32 v[18:19], 1, v[8:9]
	v_add_nc_u64_e32 v[2:3], v[2:3], v[4:5]
	v_cmp_gt_u32_e64 s2, 8, v4
	v_mov_b32_e32 v8, 0
	s_lshl_b64 s[14:15], s[14:15], 1
	v_lshlrev_b64_e32 v[4:5], 2, v[2:3]
	v_lshl_add_u64 v[6:7], v[6:7], 1, v[18:19]
	s_branch .LBB87_7
.LBB87_5:                               ;   in Loop: Header=BB87_7 Depth=1
	s_wait_xcnt 0x0
	s_or_b32 exec_lo, exec_lo, s25
.LBB87_6:                               ;   in Loop: Header=BB87_7 Depth=1
	s_delay_alu instid0(SALU_CYCLE_1)
	s_or_b32 exec_lo, exec_lo, s24
	v_add_nc_u64_e32 v[20:21], s[6:7], v[6:7]
	v_add_nc_u64_e32 v[22:23], s[4:5], v[6:7]
	s_wait_loadcnt 0x1
	ds_bpermute_b32 v43, v0, v19
	ds_bpermute_b32 v45, v13, v19
	s_wait_loadcnt 0x0
	ds_bpermute_b32 v42, v0, v18
	ds_bpermute_b32 v46, v14, v19
	;; [unrolled: 1-line block ×3, first 2 shown]
	v_add_nc_u64_e32 v[24:25], s[14:15], v[20:21]
	v_add_nc_u64_e32 v[26:27], s[14:15], v[22:23]
	global_load_u16 v28, v[20:21], off
	global_load_u16 v29, v[22:23], off
	ds_bpermute_b32 v47, v15, v18
	ds_bpermute_b32 v48, v16, v18
	s_add_nc_u64 s[16:17], s[16:17], s[18:19]
	s_wait_xcnt 0x1
	v_add_nc_u64_e32 v[20:21], s[14:15], v[24:25]
	s_wait_xcnt 0x0
	v_add_nc_u64_e32 v[22:23], s[14:15], v[26:27]
	global_load_u16 v30, v[24:25], off
	global_load_u16 v31, v[26:27], off
	v_cmp_lt_i64_e64 s24, s[16:17], s[12:13]
	v_add_nc_u64_e32 v[4:5], s[20:21], v[4:5]
	v_add_nc_u64_e32 v[2:3], s[18:19], v[2:3]
	;; [unrolled: 1-line block ×3, first 2 shown]
	s_wait_xcnt 0x1
	v_add_nc_u64_e32 v[24:25], s[14:15], v[20:21]
	s_wait_xcnt 0x0
	v_add_nc_u64_e32 v[26:27], s[14:15], v[22:23]
	global_load_u16 v32, v[20:21], off
	global_load_u16 v33, v[22:23], off
	s_and_b32 vcc_lo, exec_lo, s24
	global_load_u16 v34, v[24:25], off
	global_load_u16 v35, v[26:27], off
	s_wait_xcnt 0x3
	v_add_nc_u64_e32 v[20:21], s[14:15], v[24:25]
	s_wait_xcnt 0x2
	v_add_nc_u64_e32 v[22:23], s[14:15], v[26:27]
	s_wait_xcnt 0x1
	s_delay_alu instid0(VALU_DEP_2)
	v_add_nc_u64_e32 v[24:25], s[14:15], v[20:21]
	global_load_u16 v26, v[20:21], off
	s_wait_xcnt 0x0
	v_add_nc_u64_e32 v[20:21], s[14:15], v[22:23]
	global_load_u16 v27, v[22:23], off
	global_load_u16 v36, v[24:25], off
	;; [unrolled: 1-line block ×3, first 2 shown]
	s_wait_xcnt 0x2
	v_add_nc_u64_e32 v[22:23], s[14:15], v[24:25]
	global_load_u16 v38, v[22:23], off
	s_wait_xcnt 0x2
	v_add_nc_u64_e32 v[24:25], s[14:15], v[20:21]
	s_wait_xcnt 0x1
	v_add_nc_u64_e32 v[20:21], s[14:15], v[22:23]
	s_wait_xcnt 0x0
	s_delay_alu instid0(VALU_DEP_2)
	v_add_nc_u64_e32 v[22:23], s[14:15], v[24:25]
	global_load_u16 v39, v[24:25], off
	global_load_u16 v40, v[20:21], off
	;; [unrolled: 1-line block ×3, first 2 shown]
	s_wait_xcnt 0x1
	ds_bpermute_b32 v21, v1, v19
	s_wait_xcnt 0x0
	ds_bpermute_b32 v23, v12, v19
	ds_bpermute_b32 v24, v1, v18
	;; [unrolled: 1-line block ×3, first 2 shown]
	s_wait_loadcnt 0xf
	v_cvt_f32_f16_e32 v22, v28
	s_wait_loadcnt 0xe
	v_cvt_f32_f16_e32 v20, v29
	ds_bpermute_b32 v28, v14, v18
	s_wait_loadcnt 0xd
	v_cvt_f32_f16_e32 v29, v30
	s_wait_dscnt 0x4
	v_sub_f32_e32 v21, v22, v21
	ds_bpermute_b32 v30, v15, v19
	s_wait_loadcnt 0xc
	v_cvt_f32_f16_e32 v22, v31
	s_wait_dscnt 0x4
	v_sub_f32_e32 v23, v29, v23
	v_mul_f32_e32 v21, v21, v20
	ds_bpermute_b32 v29, v16, v19
	s_wait_loadcnt 0xb
	v_cvt_f32_f16_e32 v31, v32
	ds_bpermute_b32 v32, v17, v19
	s_wait_dscnt 0x5
	v_dual_mul_f32 v19, v23, v22 :: v_dual_mul_f32 v21, v21, v24
	s_wait_loadcnt 0xa
	v_cvt_f32_f16_e32 v24, v33
	v_sub_f32_e32 v31, v31, v43
	s_wait_loadcnt 0x9
	v_cvt_f32_f16_e32 v33, v34
	s_wait_dscnt 0x4
	v_mul_f32_e32 v23, v19, v25
	v_pk_add_f32 v[8:9], v[8:9], v[20:21]
	s_wait_loadcnt 0x8
	v_cvt_f32_f16_e32 v20, v35
	v_dual_mul_f32 v19, v31, v24 :: v_dual_sub_f32 v21, v33, v45
	s_wait_loadcnt 0x7
	v_cvt_f32_f16_e32 v26, v26
	s_delay_alu instid0(VALU_DEP_2)
	v_mul_f32_e32 v25, v19, v42
	v_pk_add_f32 v[8:9], v[8:9], v[22:23]
	s_wait_loadcnt 0x6
	v_cvt_f32_f16_e32 v22, v27
	v_dual_mul_f32 v19, v21, v20 :: v_dual_sub_f32 v23, v26, v46
	s_wait_loadcnt 0x5
	v_cvt_f32_f16_e32 v27, v36
	ds_bpermute_b32 v26, v17, v18
	v_pk_add_f32 v[8:9], v[8:9], v[24:25]
	s_wait_loadcnt 0x4
	v_cvt_f32_f16_e32 v18, v37
	s_wait_dscnt 0x3
	v_sub_f32_e32 v24, v27, v30
	v_mul_f32_e32 v21, v19, v44
	s_wait_loadcnt 0x3
	v_cvt_f32_f16_e32 v25, v38
	v_mul_f32_e32 v19, v23, v22
	s_delay_alu instid0(VALU_DEP_1)
	v_dual_mul_f32 v23, v19, v28 :: v_dual_mul_f32 v19, v24, v18
	v_pk_add_f32 v[8:9], v[8:9], v[20:21]
	s_wait_dscnt 0x2
	v_sub_f32_e32 v21, v25, v29
	s_wait_loadcnt 0x2
	v_cvt_f32_f16_e32 v20, v39
	s_wait_loadcnt 0x1
	v_cvt_f32_f16_e32 v24, v40
	v_mul_f32_e32 v19, v19, v47
	v_pk_add_f32 v[8:9], v[8:9], v[22:23]
	s_wait_loadcnt 0x0
	v_cvt_f32_f16_e32 v22, v41
	v_mul_f32_e32 v21, v21, v20
	s_wait_dscnt 0x1
	v_sub_f32_e32 v23, v24, v32
	v_pk_add_f32 v[8:9], v[8:9], v[18:19]
	s_delay_alu instid0(VALU_DEP_2) | instskip(NEXT) | instid1(VALU_DEP_1)
	v_dual_mul_f32 v21, v21, v48 :: v_dual_mul_f32 v18, v23, v22
	v_pk_add_f32 v[8:9], v[8:9], v[20:21]
	s_wait_dscnt 0x0
	s_delay_alu instid0(VALU_DEP_2) | instskip(NEXT) | instid1(VALU_DEP_1)
	v_mul_f32_e32 v23, v18, v26
	v_pk_add_f32 v[8:9], v[8:9], v[22:23]
	s_cbranch_vccz .LBB87_10
.LBB87_7:                               ; =>This Inner Loop Header: Depth=1
	v_dual_mov_b32 v18, 0 :: v_dual_mov_b32 v19, 0
	s_and_saveexec_b32 s24, s2
	s_cbranch_execz .LBB87_6
; %bb.8:                                ;   in Loop: Header=BB87_7 Depth=1
	v_dual_mov_b32 v19, 0 :: v_dual_mov_b32 v18, 0
	s_mov_b32 s25, exec_lo
	v_cmpx_gt_i64_e64 s[12:13], v[2:3]
	s_cbranch_execz .LBB87_5
; %bb.9:                                ;   in Loop: Header=BB87_7 Depth=1
	v_add_nc_u64_e32 v[20:21], s[8:9], v[4:5]
	v_add_nc_u64_e32 v[22:23], s[10:11], v[4:5]
	global_load_b32 v19, v[20:21], off
	global_load_b32 v18, v[22:23], off
	s_branch .LBB87_5
.LBB87_10:
	v_mov_b32_e32 v1, v11
.LBB87_11:
	s_load_b128 s[4:7], s[0:1], 0x30
	s_delay_alu instid0(VALU_DEP_1) | instskip(SKIP_3) | instid1(VALU_DEP_2)
	v_mad_u32_u24 v0, v1, 33, v10
	v_lshrrev_b32_e32 v2, 5, v10
	s_wait_xcnt 0x0
	s_mov_b32 s0, exec_lo
	v_lshl_add_u32 v3, v0, 2, 0
	s_delay_alu instid0(VALU_DEP_2)
	v_add_nc_u32_e32 v0, v2, v1
	ds_store_b32 v3, v9
	ds_store_b32 v3, v8 offset:1056
	s_wait_dscnt 0x0
	s_barrier_signal -1
	s_barrier_wait -1
	v_cmpx_gt_u32_e32 32, v0
	s_cbranch_execz .LBB87_43
; %bb.12:
	v_and_b32_e32 v1, 31, v10
                                        ; implicit-def: $vgpr2
	s_delay_alu instid0(VALU_DEP_1)
	v_cmp_lt_u32_e64 s2, 7, v1
	v_cmp_gt_u32_e64 s0, 8, v1
	v_mul_u32_u24_e32 v6, 33, v1
	s_and_saveexec_b32 s1, s0
	s_cbranch_execz .LBB87_14
; %bb.13:
	s_delay_alu instid0(VALU_DEP_1) | instskip(NEXT) | instid1(VALU_DEP_1)
	v_add_nc_u32_e32 v1, v0, v6
	v_lshl_add_u32 v1, v1, 2, 0
	ds_load_b32 v3, v1
	ds_load_b32 v2, v1 offset:1056
.LBB87_14:
	s_or_b32 exec_lo, exec_lo, s1
	v_mbcnt_lo_u32_b32 v1, -1, 0
	s_bfe_u32 s1, ttmp6, 0x4000c
	s_and_b32 s8, ttmp6, 15
	s_add_co_i32 s1, s1, 1
	s_mov_b32 s9, 0
	v_xor_b32_e32 v8, 2, v1
	v_xor_b32_e32 v4, 4, v1
	s_mul_i32 s1, ttmp9, s1
	v_xor_b32_e32 v9, 1, v1
	s_add_co_i32 s8, s8, s1
	s_cmp_eq_u32 s3, 0
	v_cmp_gt_i32_e32 vcc_lo, 32, v4
	s_cselect_b32 s8, ttmp9, s8
	v_cmp_eq_u32_e64 s1, 0, v10
	s_lshl_b64 s[8:9], s[8:9], 5
	s_wait_kmcnt 0x0
	s_cmp_lg_u64 s[4:5], 0
	v_cndmask_b32_e32 v4, v1, v4, vcc_lo
	v_cmp_gt_i32_e32 vcc_lo, 32, v8
	s_cselect_b32 s10, -1, 0
	s_cmp_lg_u64 s[6:7], 0
	s_cselect_b32 s3, -1, 0
	v_cndmask_b32_e32 v8, v1, v8, vcc_lo
	v_cmp_gt_i32_e32 vcc_lo, 32, v9
	v_lshlrev_b32_e32 v7, 2, v4
	s_delay_alu instid0(VALU_DEP_3)
	v_dual_cndmask_b32 v1, v1, v9 :: v_dual_lshlrev_b32 v8, 2, v8
	s_wait_dscnt 0x1
	ds_bpermute_b32 v5, v7, v3
	s_wait_dscnt 0x1
	ds_bpermute_b32 v4, v7, v2
	v_dual_lshlrev_b32 v9, 2, v1 :: v_dual_mov_b32 v1, 0
	s_wait_dscnt 0x0
	v_pk_add_f32 v[2:3], v[2:3], v[4:5]
	ds_bpermute_b32 v5, v8, v3
	ds_bpermute_b32 v4, v8, v2
	s_wait_dscnt 0x0
	v_pk_add_f32 v[2:3], v[2:3], v[4:5]
	ds_bpermute_b32 v5, v9, v3
	ds_bpermute_b32 v4, v9, v2
	s_wait_dscnt 0x0
	v_pk_add_f32 v[2:3], v[2:3], v[4:5]
	s_and_saveexec_b32 s11, s1
	s_cbranch_execz .LBB87_19
; %bb.15:
	v_dual_mov_b32 v5, s9 :: v_dual_bitop2_b32 v4, s8, v0 bitop3:0x54
	s_and_not1_b32 vcc_lo, exec_lo, s10
	s_cbranch_vccnz .LBB87_17
; %bb.16:
	s_delay_alu instid0(VALU_DEP_1)
	v_lshl_add_u64 v[10:11], v[4:5], 1, s[4:5]
	v_cvt_f16_f32_e32 v12, v3
	global_store_b16 v[10:11], v12, off
.LBB87_17:
	s_and_not1_b32 vcc_lo, exec_lo, s3
	s_cbranch_vccnz .LBB87_19
; %bb.18:
	v_lshl_add_u64 v[4:5], v[4:5], 1, s[6:7]
	s_wait_xcnt 0x0
	v_cvt_f16_f32_e32 v10, v2
	global_store_b16 v[4:5], v10, off
.LBB87_19:
	s_wait_xcnt 0x0
	s_or_b32 exec_lo, exec_lo, s11
	v_cmp_gt_u32_e32 vcc_lo, 24, v0
	s_and_b32 exec_lo, exec_lo, vcc_lo
	s_cbranch_execz .LBB87_43
; %bb.20:
	s_and_saveexec_b32 s11, s2
	s_delay_alu instid0(SALU_CYCLE_1) | instskip(NEXT) | instid1(SALU_CYCLE_1)
	s_xor_b32 s11, exec_lo, s11
	s_and_not1_saveexec_b32 s11, s11
	s_cbranch_execz .LBB87_22
; %bb.21:
	v_add_nc_u32_e32 v2, v0, v6
	s_delay_alu instid0(VALU_DEP_1)
	v_lshl_add_u32 v2, v2, 2, 0
	ds_load_b32 v3, v2 offset:32
	ds_load_b32 v2, v2 offset:1088
.LBB87_22:
	s_or_b32 exec_lo, exec_lo, s11
	s_wait_dscnt 0x1
	ds_bpermute_b32 v5, v7, v3
	s_wait_dscnt 0x1
	ds_bpermute_b32 v4, v7, v2
	s_wait_dscnt 0x0
	v_pk_add_f32 v[2:3], v[2:3], v[4:5]
	ds_bpermute_b32 v5, v8, v3
	ds_bpermute_b32 v4, v8, v2
	s_wait_dscnt 0x0
	v_pk_add_f32 v[2:3], v[2:3], v[4:5]
	ds_bpermute_b32 v5, v9, v3
	ds_bpermute_b32 v4, v9, v2
	s_wait_dscnt 0x0
	v_pk_add_f32 v[2:3], v[2:3], v[4:5]
	s_and_saveexec_b32 s11, s1
	s_cbranch_execz .LBB87_27
; %bb.23:
	s_and_not1_b32 vcc_lo, exec_lo, s10
	s_cbranch_vccnz .LBB87_25
; %bb.24:
	v_add_nc_u64_e32 v[4:5], s[8:9], v[0:1]
	v_cvt_f16_f32_e32 v10, v3
	s_delay_alu instid0(VALU_DEP_2)
	v_lshl_add_u64 v[4:5], v[4:5], 1, s[4:5]
	global_store_b16 v[4:5], v10, off offset:16
.LBB87_25:
	s_and_not1_b32 vcc_lo, exec_lo, s3
	s_cbranch_vccnz .LBB87_27
; %bb.26:
	s_wait_xcnt 0x0
	v_add_nc_u64_e32 v[4:5], s[8:9], v[0:1]
	v_cvt_f16_f32_e32 v10, v2
	s_delay_alu instid0(VALU_DEP_2)
	v_lshl_add_u64 v[4:5], v[4:5], 1, s[6:7]
	global_store_b16 v[4:5], v10, off offset:16
.LBB87_27:
	s_wait_xcnt 0x0
	s_or_b32 exec_lo, exec_lo, s11
	v_cmp_gt_u32_e32 vcc_lo, 16, v0
	s_and_b32 exec_lo, exec_lo, vcc_lo
	s_cbranch_execz .LBB87_43
; %bb.28:
	s_and_saveexec_b32 s11, s2
	s_delay_alu instid0(SALU_CYCLE_1) | instskip(NEXT) | instid1(SALU_CYCLE_1)
	s_xor_b32 s2, exec_lo, s11
	s_and_not1_saveexec_b32 s2, s2
	s_cbranch_execz .LBB87_30
; %bb.29:
	v_add_nc_u32_e32 v2, v0, v6
	s_delay_alu instid0(VALU_DEP_1)
	v_lshl_add_u32 v2, v2, 2, 0
	ds_load_b32 v3, v2 offset:64
	ds_load_b32 v2, v2 offset:1120
.LBB87_30:
	s_or_b32 exec_lo, exec_lo, s2
	s_wait_dscnt 0x1
	ds_bpermute_b32 v5, v7, v3
	s_wait_dscnt 0x1
	ds_bpermute_b32 v4, v7, v2
	s_wait_dscnt 0x0
	v_pk_add_f32 v[2:3], v[2:3], v[4:5]
	ds_bpermute_b32 v5, v8, v3
	ds_bpermute_b32 v4, v8, v2
	s_wait_dscnt 0x0
	v_pk_add_f32 v[2:3], v[2:3], v[4:5]
	ds_bpermute_b32 v5, v9, v3
	ds_bpermute_b32 v4, v9, v2
	s_wait_dscnt 0x0
	v_pk_add_f32 v[2:3], v[2:3], v[4:5]
	s_and_saveexec_b32 s2, s1
	s_cbranch_execz .LBB87_35
; %bb.31:
	s_and_not1_b32 vcc_lo, exec_lo, s10
	s_cbranch_vccnz .LBB87_33
; %bb.32:
	v_add_nc_u64_e32 v[4:5], s[8:9], v[0:1]
	v_cvt_f16_f32_e32 v10, v3
	s_delay_alu instid0(VALU_DEP_2)
	v_lshl_add_u64 v[4:5], v[4:5], 1, s[4:5]
	global_store_b16 v[4:5], v10, off offset:32
.LBB87_33:
	s_and_not1_b32 vcc_lo, exec_lo, s3
	s_cbranch_vccnz .LBB87_35
; %bb.34:
	s_wait_xcnt 0x0
	v_add_nc_u64_e32 v[4:5], s[8:9], v[0:1]
	v_cvt_f16_f32_e32 v10, v2
	s_delay_alu instid0(VALU_DEP_2)
	v_lshl_add_u64 v[4:5], v[4:5], 1, s[6:7]
	global_store_b16 v[4:5], v10, off offset:32
.LBB87_35:
	s_wait_xcnt 0x0
	s_or_b32 exec_lo, exec_lo, s2
	v_cmp_gt_u32_e32 vcc_lo, 8, v0
	s_and_b32 exec_lo, exec_lo, vcc_lo
	s_cbranch_execz .LBB87_43
; %bb.36:
	s_and_saveexec_b32 s2, s0
	s_cbranch_execz .LBB87_38
; %bb.37:
	v_add_nc_u32_e32 v2, v0, v6
	s_delay_alu instid0(VALU_DEP_1)
	v_lshl_add_u32 v2, v2, 2, 0
	ds_load_b32 v3, v2 offset:96
	ds_load_b32 v2, v2 offset:1152
.LBB87_38:
	s_or_b32 exec_lo, exec_lo, s2
	s_wait_dscnt 0x1
	ds_bpermute_b32 v4, v7, v3
	s_wait_dscnt 0x1
	ds_bpermute_b32 v5, v7, v2
	s_wait_dscnt 0x0
	v_dual_add_f32 v3, v3, v4 :: v_dual_add_f32 v2, v2, v5
	ds_bpermute_b32 v4, v8, v3
	ds_bpermute_b32 v5, v8, v2
	s_wait_dscnt 0x0
	v_dual_add_f32 v4, v3, v4 :: v_dual_add_f32 v2, v2, v5
	ds_bpermute_b32 v5, v9, v4
	ds_bpermute_b32 v3, v9, v2
	s_and_b32 exec_lo, exec_lo, s1
	s_cbranch_execz .LBB87_43
; %bb.39:
	v_add_nc_u64_e32 v[0:1], s[8:9], v[0:1]
	s_and_not1_b32 vcc_lo, exec_lo, s10
	s_cbranch_vccnz .LBB87_41
; %bb.40:
	s_wait_dscnt 0x1
	v_add_f32_e32 v6, v4, v5
	s_delay_alu instid0(VALU_DEP_2) | instskip(NEXT) | instid1(VALU_DEP_2)
	v_lshl_add_u64 v[4:5], v[0:1], 1, s[4:5]
	v_cvt_f16_f32_e32 v6, v6
	global_store_b16 v[4:5], v6, off offset:48
.LBB87_41:
	s_and_not1_b32 vcc_lo, exec_lo, s3
	s_cbranch_vccnz .LBB87_43
; %bb.42:
	s_wait_dscnt 0x0
	v_add_f32_e32 v2, v2, v3
	v_lshl_add_u64 v[0:1], v[0:1], 1, s[6:7]
	s_delay_alu instid0(VALU_DEP_2)
	v_cvt_f16_f32_e32 v2, v2
	global_store_b16 v[0:1], v2, off offset:48
.LBB87_43:
	s_endpgm
	.section	.rodata,"a",@progbits
	.p2align	6, 0x0
	.amdhsa_kernel _ZN2at6native12_GLOBAL__N_135GammaBetaBackwardCUDAKernelTemplateIN3c104HalfEfLj32ELj8ELj64ELb0ELb1ELb0EEEvllPKT_S7_PKT0_SA_PS5_SB_
		.amdhsa_group_segment_fixed_size 0
		.amdhsa_private_segment_fixed_size 0
		.amdhsa_kernarg_size 320
		.amdhsa_user_sgpr_count 2
		.amdhsa_user_sgpr_dispatch_ptr 0
		.amdhsa_user_sgpr_queue_ptr 0
		.amdhsa_user_sgpr_kernarg_segment_ptr 1
		.amdhsa_user_sgpr_dispatch_id 0
		.amdhsa_user_sgpr_kernarg_preload_length 0
		.amdhsa_user_sgpr_kernarg_preload_offset 0
		.amdhsa_user_sgpr_private_segment_size 0
		.amdhsa_wavefront_size32 1
		.amdhsa_uses_dynamic_stack 0
		.amdhsa_enable_private_segment 0
		.amdhsa_system_sgpr_workgroup_id_x 1
		.amdhsa_system_sgpr_workgroup_id_y 1
		.amdhsa_system_sgpr_workgroup_id_z 0
		.amdhsa_system_sgpr_workgroup_info 0
		.amdhsa_system_vgpr_workitem_id 1
		.amdhsa_next_free_vgpr 49
		.amdhsa_next_free_sgpr 26
		.amdhsa_named_barrier_count 0
		.amdhsa_reserve_vcc 1
		.amdhsa_float_round_mode_32 0
		.amdhsa_float_round_mode_16_64 0
		.amdhsa_float_denorm_mode_32 3
		.amdhsa_float_denorm_mode_16_64 3
		.amdhsa_fp16_overflow 0
		.amdhsa_memory_ordered 1
		.amdhsa_forward_progress 1
		.amdhsa_inst_pref_size 20
		.amdhsa_round_robin_scheduling 0
		.amdhsa_exception_fp_ieee_invalid_op 0
		.amdhsa_exception_fp_denorm_src 0
		.amdhsa_exception_fp_ieee_div_zero 0
		.amdhsa_exception_fp_ieee_overflow 0
		.amdhsa_exception_fp_ieee_underflow 0
		.amdhsa_exception_fp_ieee_inexact 0
		.amdhsa_exception_int_div_zero 0
	.end_amdhsa_kernel
	.section	.text._ZN2at6native12_GLOBAL__N_135GammaBetaBackwardCUDAKernelTemplateIN3c104HalfEfLj32ELj8ELj64ELb0ELb1ELb0EEEvllPKT_S7_PKT0_SA_PS5_SB_,"axG",@progbits,_ZN2at6native12_GLOBAL__N_135GammaBetaBackwardCUDAKernelTemplateIN3c104HalfEfLj32ELj8ELj64ELb0ELb1ELb0EEEvllPKT_S7_PKT0_SA_PS5_SB_,comdat
.Lfunc_end87:
	.size	_ZN2at6native12_GLOBAL__N_135GammaBetaBackwardCUDAKernelTemplateIN3c104HalfEfLj32ELj8ELj64ELb0ELb1ELb0EEEvllPKT_S7_PKT0_SA_PS5_SB_, .Lfunc_end87-_ZN2at6native12_GLOBAL__N_135GammaBetaBackwardCUDAKernelTemplateIN3c104HalfEfLj32ELj8ELj64ELb0ELb1ELb0EEEvllPKT_S7_PKT0_SA_PS5_SB_
                                        ; -- End function
	.set _ZN2at6native12_GLOBAL__N_135GammaBetaBackwardCUDAKernelTemplateIN3c104HalfEfLj32ELj8ELj64ELb0ELb1ELb0EEEvllPKT_S7_PKT0_SA_PS5_SB_.num_vgpr, 49
	.set _ZN2at6native12_GLOBAL__N_135GammaBetaBackwardCUDAKernelTemplateIN3c104HalfEfLj32ELj8ELj64ELb0ELb1ELb0EEEvllPKT_S7_PKT0_SA_PS5_SB_.num_agpr, 0
	.set _ZN2at6native12_GLOBAL__N_135GammaBetaBackwardCUDAKernelTemplateIN3c104HalfEfLj32ELj8ELj64ELb0ELb1ELb0EEEvllPKT_S7_PKT0_SA_PS5_SB_.numbered_sgpr, 26
	.set _ZN2at6native12_GLOBAL__N_135GammaBetaBackwardCUDAKernelTemplateIN3c104HalfEfLj32ELj8ELj64ELb0ELb1ELb0EEEvllPKT_S7_PKT0_SA_PS5_SB_.num_named_barrier, 0
	.set _ZN2at6native12_GLOBAL__N_135GammaBetaBackwardCUDAKernelTemplateIN3c104HalfEfLj32ELj8ELj64ELb0ELb1ELb0EEEvllPKT_S7_PKT0_SA_PS5_SB_.private_seg_size, 0
	.set _ZN2at6native12_GLOBAL__N_135GammaBetaBackwardCUDAKernelTemplateIN3c104HalfEfLj32ELj8ELj64ELb0ELb1ELb0EEEvllPKT_S7_PKT0_SA_PS5_SB_.uses_vcc, 1
	.set _ZN2at6native12_GLOBAL__N_135GammaBetaBackwardCUDAKernelTemplateIN3c104HalfEfLj32ELj8ELj64ELb0ELb1ELb0EEEvllPKT_S7_PKT0_SA_PS5_SB_.uses_flat_scratch, 0
	.set _ZN2at6native12_GLOBAL__N_135GammaBetaBackwardCUDAKernelTemplateIN3c104HalfEfLj32ELj8ELj64ELb0ELb1ELb0EEEvllPKT_S7_PKT0_SA_PS5_SB_.has_dyn_sized_stack, 0
	.set _ZN2at6native12_GLOBAL__N_135GammaBetaBackwardCUDAKernelTemplateIN3c104HalfEfLj32ELj8ELj64ELb0ELb1ELb0EEEvllPKT_S7_PKT0_SA_PS5_SB_.has_recursion, 0
	.set _ZN2at6native12_GLOBAL__N_135GammaBetaBackwardCUDAKernelTemplateIN3c104HalfEfLj32ELj8ELj64ELb0ELb1ELb0EEEvllPKT_S7_PKT0_SA_PS5_SB_.has_indirect_call, 0
	.section	.AMDGPU.csdata,"",@progbits
; Kernel info:
; codeLenInByte = 2536
; TotalNumSgprs: 28
; NumVgprs: 49
; ScratchSize: 0
; MemoryBound: 0
; FloatMode: 240
; IeeeMode: 1
; LDSByteSize: 0 bytes/workgroup (compile time only)
; SGPRBlocks: 0
; VGPRBlocks: 3
; NumSGPRsForWavesPerEU: 28
; NumVGPRsForWavesPerEU: 49
; NamedBarCnt: 0
; Occupancy: 16
; WaveLimiterHint : 0
; COMPUTE_PGM_RSRC2:SCRATCH_EN: 0
; COMPUTE_PGM_RSRC2:USER_SGPR: 2
; COMPUTE_PGM_RSRC2:TRAP_HANDLER: 0
; COMPUTE_PGM_RSRC2:TGID_X_EN: 1
; COMPUTE_PGM_RSRC2:TGID_Y_EN: 1
; COMPUTE_PGM_RSRC2:TGID_Z_EN: 0
; COMPUTE_PGM_RSRC2:TIDIG_COMP_CNT: 1
	.section	.text._ZN2at6native12_GLOBAL__N_135GammaBetaBackwardCUDAKernelTemplateIN3c104HalfEfLj32ELj8ELj64ELb0ELb0ELb0EEEvllPKT_S7_PKT0_SA_PS5_SB_,"axG",@progbits,_ZN2at6native12_GLOBAL__N_135GammaBetaBackwardCUDAKernelTemplateIN3c104HalfEfLj32ELj8ELj64ELb0ELb0ELb0EEEvllPKT_S7_PKT0_SA_PS5_SB_,comdat
	.globl	_ZN2at6native12_GLOBAL__N_135GammaBetaBackwardCUDAKernelTemplateIN3c104HalfEfLj32ELj8ELj64ELb0ELb0ELb0EEEvllPKT_S7_PKT0_SA_PS5_SB_ ; -- Begin function _ZN2at6native12_GLOBAL__N_135GammaBetaBackwardCUDAKernelTemplateIN3c104HalfEfLj32ELj8ELj64ELb0ELb0ELb0EEEvllPKT_S7_PKT0_SA_PS5_SB_
	.p2align	8
	.type	_ZN2at6native12_GLOBAL__N_135GammaBetaBackwardCUDAKernelTemplateIN3c104HalfEfLj32ELj8ELj64ELb0ELb0ELb0EEEvllPKT_S7_PKT0_SA_PS5_SB_,@function
_ZN2at6native12_GLOBAL__N_135GammaBetaBackwardCUDAKernelTemplateIN3c104HalfEfLj32ELj8ELj64ELb0ELb0ELb0EEEvllPKT_S7_PKT0_SA_PS5_SB_: ; @_ZN2at6native12_GLOBAL__N_135GammaBetaBackwardCUDAKernelTemplateIN3c104HalfEfLj32ELj8ELj64ELb0ELb0ELb0EEEvllPKT_S7_PKT0_SA_PS5_SB_
; %bb.0:
	s_load_b256 s[4:11], s[0:1], 0x0
	s_bfe_u32 s3, ttmp6, 0x4000c
	s_bfe_u32 s12, ttmp6, 0x40010
	s_add_co_i32 s3, s3, 1
	s_add_co_i32 s12, s12, 1
	s_and_b32 s2, ttmp6, 15
	s_bfe_u32 s13, ttmp6, 0x40004
	s_mul_i32 s3, ttmp9, s3
	s_mul_i32 s12, ttmp7, s12
	s_getreg_b32 s14, hwreg(HW_REG_IB_STS2, 6, 4)
	s_add_co_i32 s2, s2, s3
	s_add_co_i32 s3, s13, s12
	s_cmp_eq_u32 s14, 0
	s_mov_b32 s19, 0
	s_cselect_b32 s16, ttmp9, s2
	s_cselect_b32 s2, ttmp7, s3
	s_lshl_b32 s3, s16, 5
	s_load_b128 s[12:15], s[0:1], 0x20
	s_or_b32 s18, s3, 31
	s_wait_kmcnt 0x0
	v_cmp_le_i64_e64 s20, s[6:7], s[18:19]
	s_lshl_b32 s18, s2, 6
	s_delay_alu instid0(SALU_CYCLE_1) | instskip(SKIP_2) | instid1(VALU_DEP_1)
	v_cmp_gt_i64_e64 s17, s[4:5], s[18:19]
	s_and_b32 vcc_lo, exec_lo, s20
	v_cndmask_b32_e64 v1, 0, 1, s17
	v_cmp_ne_u32_e64 s2, 1, v1
	s_cbranch_vccz .LBB88_48
; %bb.1:
	v_mov_b32_e32 v33, 0
	s_and_b32 vcc_lo, exec_lo, s2
	s_delay_alu instid0(VALU_DEP_1)
	v_mov_b32_e32 v32, v33
	s_cbranch_vccnz .LBB88_49
; %bb.2:
	v_bfe_u32 v1, v0, 10, 10
	v_mov_b32_e32 v2, 0
	v_and_b32_e32 v62, 0x3ff, v0
	s_load_b32 s20, s[0:1], 0x44
	s_mov_b32 s21, 0
	s_delay_alu instid0(VALU_DEP_2) | instskip(NEXT) | instid1(VALU_DEP_2)
	v_dual_mov_b32 v21, v2 :: v_dual_lshlrev_b32 v20, 3, v1
	v_dual_mov_b32 v19, v2 :: v_dual_add_nc_u32 v18, s3, v62
	v_mov_b32_e32 v32, 0
	s_mov_b32 s37, s21
	s_delay_alu instid0(VALU_DEP_3)
	v_add_nc_u64_e32 v[4:5], s[18:19], v[20:21]
	v_mov_b32_e32 v33, v2
	v_cmp_gt_i64_e64 s2, s[6:7], v[18:19]
	v_lshlrev_b64_e32 v[22:23], 1, v[18:19]
	s_add_nc_u64 s[22:23], s[0:1], 64
	s_mov_b64 s[24:25], 0xffffffffffffffc1
	s_mov_b64 s[26:27], 0xffffffffffffffc2
	v_mul_u64_e32 v[6:7], s[6:7], v[4:5]
	v_add_nc_u64_e32 v[8:9], 7, v[4:5]
	v_add_nc_u64_e32 v[10:11], 6, v[4:5]
	;; [unrolled: 1-line block ×6, first 2 shown]
	s_wait_kmcnt 0x0
	s_lshl_b32 s36, s20, 6
	v_mul_u64_e32 v[8:9], s[6:7], v[8:9]
	v_mul_u64_e32 v[10:11], s[6:7], v[10:11]
	;; [unrolled: 1-line block ×6, first 2 shown]
	s_mul_u64 s[44:45], s[6:7], s[36:37]
	s_mov_b64 s[28:29], 0xffffffffffffffc3
	s_mov_b64 s[30:31], 0xffffffffffffffc4
	;; [unrolled: 1-line block ×6, first 2 shown]
	s_lshl_b64 s[44:45], s[44:45], 1
	s_add_nc_u64 s[46:47], s[18:19], 63
	s_mov_b64 s[48:49], s[18:19]
	v_lshlrev_b64_e32 v[26:27], 1, v[6:7]
	v_add_nc_u64_e32 v[6:7], s[6:7], v[6:7]
	s_delay_alu instid0(VALU_DEP_2)
	v_add_nc_u64_e32 v[24:25], s[8:9], v[26:27]
	v_lshlrev_b64_e32 v[8:9], 1, v[8:9]
	v_lshlrev_b64_e32 v[10:11], 1, v[10:11]
	;; [unrolled: 1-line block ×7, first 2 shown]
	v_add_nc_u64_e32 v[26:27], s[10:11], v[26:27]
	v_add_nc_u64_e32 v[28:29], s[8:9], v[8:9]
	v_add_nc_u64_e32 v[30:31], s[10:11], v[8:9]
	v_add_nc_u64_e32 v[34:35], s[8:9], v[10:11]
	v_add_nc_u64_e32 v[36:37], s[10:11], v[10:11]
	v_add_nc_u64_e32 v[38:39], s[8:9], v[12:13]
	v_add_nc_u64_e32 v[40:41], s[10:11], v[12:13]
	v_add_nc_u64_e32 v[42:43], s[8:9], v[14:15]
	v_add_nc_u64_e32 v[44:45], s[10:11], v[14:15]
	v_add_nc_u64_e32 v[46:47], s[8:9], v[16:17]
	v_add_nc_u64_e32 v[48:49], s[10:11], v[16:17]
	v_add_nc_u64_e32 v[50:51], s[8:9], v[4:5]
	v_add_nc_u64_e32 v[52:53], s[10:11], v[4:5]
	v_add_nc_u64_e32 v[54:55], s[8:9], v[6:7]
	v_add_nc_u64_e32 v[56:57], s[10:11], v[6:7]
	s_branch .LBB88_5
.LBB88_3:                               ;   in Loop: Header=BB88_5 Depth=1
	s_or_b32 exec_lo, exec_lo, s20
	s_wait_loadcnt 0x1
	ds_bpermute_b32 v3, v2, v60
	ds_bpermute_b32 v59, v2, v60 offset:4
	ds_bpermute_b32 v63, v2, v60 offset:8
	s_wait_loadcnt 0x0
	ds_bpermute_b32 v64, v2, v61
	ds_bpermute_b32 v65, v2, v60 offset:12
	ds_bpermute_b32 v66, v2, v61 offset:4
	;; [unrolled: 1-line block ×9, first 2 shown]
	s_wait_dscnt 0xc
	v_dual_mov_b32 v58, v5 :: v_dual_sub_f32 v3, v12, v3
	s_wait_dscnt 0xb
	v_dual_mov_b32 v12, v4 :: v_dual_sub_f32 v13, v13, v59
	s_wait_dscnt 0xa
	v_sub_f32_e32 v59, v14, v63
	v_dual_mul_f32 v3, v4, v3 :: v_dual_mov_b32 v4, v6
	s_delay_alu instid0(VALU_DEP_3) | instskip(SKIP_1) | instid1(VALU_DEP_2)
	v_dual_mul_f32 v5, v5, v13 :: v_dual_mov_b32 v14, v7
	s_wait_dscnt 0x9
	v_dual_mul_f32 v6, v6, v59 :: v_dual_mul_f32 v13, v3, v64
	s_wait_dscnt 0x7
	s_delay_alu instid0(VALU_DEP_2) | instskip(SKIP_1) | instid1(VALU_DEP_2)
	v_dual_sub_f32 v3, v15, v65 :: v_dual_mul_f32 v59, v5, v66
	s_wait_dscnt 0x6
	v_mul_f32_e32 v5, v6, v67
	v_pk_add_f32 v[12:13], v[32:33], v[12:13]
	ds_bpermute_b32 v32, v2, v61 offset:24
	s_wait_dscnt 0x6
	v_dual_sub_f32 v15, v16, v69 :: v_dual_mul_f32 v3, v7, v3
	v_pk_add_f32 v[6:7], v[58:59], v[12:13]
	s_wait_dscnt 0x4
	v_dual_mov_b32 v12, v8 :: v_dual_sub_f32 v13, v17, v72
	s_delay_alu instid0(VALU_DEP_3) | instskip(NEXT) | instid1(VALU_DEP_3)
	v_dual_mul_f32 v8, v8, v15 :: v_dual_mul_f32 v15, v3, v68
	v_pk_add_f32 v[4:5], v[4:5], v[6:7]
	ds_bpermute_b32 v3, v2, v61 offset:28
	s_wait_dscnt 0x3
	v_sub_f32_e32 v16, v18, v73
	v_dual_mul_f32 v17, v9, v13 :: v_dual_mul_f32 v13, v8, v70
	v_pk_add_f32 v[6:7], v[14:15], v[4:5]
	ds_bpermute_b32 v4, v2, v60 offset:28
	v_dual_mov_b32 v8, v9 :: v_dual_mul_f32 v5, v10, v16
	s_wait_dscnt 0x3
	v_mul_f32_e32 v9, v17, v71
	v_pk_add_f32 v[6:7], v[12:13], v[6:7]
	s_wait_dscnt 0x2
	v_dual_mov_b32 v12, v10 :: v_dual_mul_f32 v13, v5, v32
	s_delay_alu instid0(VALU_DEP_2) | instskip(NEXT) | instid1(VALU_DEP_1)
	v_pk_add_f32 v[6:7], v[8:9], v[6:7]
	v_pk_add_f32 v[60:61], v[12:13], v[6:7]
.LBB88_4:                               ;   in Loop: Header=BB88_5 Depth=1
	s_wait_dscnt 0x0
	v_sub_f32_e32 v5, v19, v4
	v_mov_b32_e32 v4, v11
	s_add_nc_u64 s[48:49], s[48:49], s[36:37]
	v_add_nc_u64_e32 v[24:25], s[44:45], v[24:25]
	v_cmp_lt_i64_e64 s20, s[48:49], s[4:5]
	v_mul_f32_e32 v5, v11, v5
	v_add_nc_u64_e32 v[26:27], s[44:45], v[26:27]
	v_add_nc_u64_e32 v[28:29], s[44:45], v[28:29]
	;; [unrolled: 1-line block ×4, first 2 shown]
	v_mul_f32_e32 v5, v5, v3
	v_add_nc_u64_e32 v[36:37], s[44:45], v[36:37]
	v_add_nc_u64_e32 v[38:39], s[44:45], v[38:39]
	;; [unrolled: 1-line block ×11, first 2 shown]
	v_pk_add_f32 v[32:33], v[60:61], v[4:5]
	s_and_b32 vcc_lo, exec_lo, s20
	s_add_nc_u64 s[46:47], s[46:47], s[36:37]
	s_cbranch_vccz .LBB88_49
.LBB88_5:                               ; =>This Inner Loop Header: Depth=1
	v_cmp_ge_i64_e64 s20, s[46:47], s[4:5]
	v_add_nc_u64_e32 v[58:59], s[46:47], v[20:21]
                                        ; implicit-def: $vgpr4_vgpr5_vgpr6_vgpr7_vgpr8_vgpr9_vgpr10_vgpr11
                                        ; implicit-def: $vgpr60_vgpr61
                                        ; implicit-def: $vgpr3
                                        ; implicit-def: $vgpr12_vgpr13_vgpr14_vgpr15_vgpr16_vgpr17_vgpr18_vgpr19
                                        ; implicit-def: $vgpr4
	s_and_b32 vcc_lo, exec_lo, s20
	s_mov_b32 s20, -1
	s_cbranch_vccz .LBB88_27
; %bb.6:                                ;   in Loop: Header=BB88_5 Depth=1
	s_load_b32 s20, s[22:23], 0xc
	v_dual_mov_b32 v60, 0 :: v_dual_mov_b32 v61, 0
	s_wait_kmcnt 0x0
	s_and_b32 s20, s20, 0xffff
	s_delay_alu instid0(SALU_CYCLE_1) | instskip(SKIP_1) | instid1(VALU_DEP_1)
	v_mad_u32_u24 v3, v1, s20, v62
	s_mov_b32 s20, exec_lo
	v_and_b32_e32 v4, 31, v3
	s_delay_alu instid0(VALU_DEP_1)
	v_cmpx_gt_u32_e32 8, v4
	s_cbranch_execz .LBB88_10
; %bb.7:                                ;   in Loop: Header=BB88_5 Depth=1
	v_dual_mov_b32 v5, v2 :: v_dual_mov_b32 v60, 0
	v_mov_b32_e32 v61, 0
	s_mov_b32 s33, exec_lo
	s_delay_alu instid0(VALU_DEP_2) | instskip(NEXT) | instid1(VALU_DEP_1)
	v_add_nc_u64_e32 v[4:5], v[58:59], v[4:5]
	v_add_nc_u64_e32 v[4:5], s[24:25], v[4:5]
	s_delay_alu instid0(VALU_DEP_1)
	v_cmpx_gt_i64_e64 s[4:5], v[4:5]
	s_cbranch_execz .LBB88_9
; %bb.8:                                ;   in Loop: Header=BB88_5 Depth=1
	v_lshlrev_b64_e32 v[4:5], 2, v[4:5]
	s_delay_alu instid0(VALU_DEP_1)
	v_add_nc_u64_e32 v[6:7], s[12:13], v[4:5]
	v_add_nc_u64_e32 v[4:5], s[14:15], v[4:5]
	global_load_b32 v60, v[6:7], off
	global_load_b32 v61, v[4:5], off
.LBB88_9:                               ;   in Loop: Header=BB88_5 Depth=1
	s_wait_xcnt 0x0
	s_or_b32 exec_lo, exec_lo, s33
.LBB88_10:                              ;   in Loop: Header=BB88_5 Depth=1
	s_delay_alu instid0(SALU_CYCLE_1)
	s_or_b32 exec_lo, exec_lo, s20
	v_add_nc_u64_e32 v[10:11], s[24:25], v[58:59]
	v_dual_mov_b32 v7, v2 :: v_dual_mov_b32 v8, v2
	v_dual_mov_b32 v9, v2 :: v_dual_mov_b32 v3, v2
	;; [unrolled: 1-line block ×3, first 2 shown]
	v_mov_b32_e32 v6, v2
	v_cmp_gt_i64_e32 vcc_lo, s[4:5], v[10:11]
	s_delay_alu instid0(VALU_DEP_4)
	v_mov_b64_e32 v[18:19], v[8:9]
	v_mov_b64_e32 v[12:13], v[2:3]
	;; [unrolled: 1-line block ×8, first 2 shown]
	s_and_b32 s33, s2, vcc_lo
	s_delay_alu instid0(SALU_CYCLE_1)
	s_and_saveexec_b32 s20, s33
	s_cbranch_execz .LBB88_12
; %bb.11:                               ;   in Loop: Header=BB88_5 Depth=1
	v_add_nc_u64_e32 v[4:5], v[24:25], v[22:23]
	v_add_nc_u64_e32 v[6:7], v[26:27], v[22:23]
	v_dual_mov_b32 v9, v2 :: v_dual_mov_b32 v10, v2
	v_dual_mov_b32 v11, v2 :: v_dual_mov_b32 v13, v2
	;; [unrolled: 1-line block ×3, first 2 shown]
	global_load_u16 v3, v[4:5], off
	global_load_u16 v12, v[6:7], off
	s_wait_xcnt 0x0
	v_dual_mov_b32 v5, v2 :: v_dual_mov_b32 v6, v2
	v_dual_mov_b32 v7, v2 :: v_dual_mov_b32 v8, v2
	;; [unrolled: 1-line block ×4, first 2 shown]
	s_wait_loadcnt 0x1
	v_cvt_f32_f16_e32 v4, v3
	s_wait_loadcnt 0x0
	v_cvt_f32_f16_e32 v12, v12
.LBB88_12:                              ;   in Loop: Header=BB88_5 Depth=1
	s_or_b32 exec_lo, exec_lo, s20
	v_add_nc_u64_e32 v[64:65], s[26:27], v[58:59]
	s_delay_alu instid0(VALU_DEP_1) | instskip(SKIP_1) | instid1(SALU_CYCLE_1)
	v_cmp_gt_i64_e32 vcc_lo, s[4:5], v[64:65]
	s_and_b32 s33, s2, vcc_lo
	s_and_saveexec_b32 s20, s33
	s_cbranch_execz .LBB88_14
; %bb.13:                               ;   in Loop: Header=BB88_5 Depth=1
	v_add_nc_u64_e32 v[64:65], v[54:55], v[22:23]
	v_add_nc_u64_e32 v[66:67], v[56:57], v[22:23]
	global_load_u16 v3, v[64:65], off
	global_load_u16 v13, v[66:67], off
	s_wait_loadcnt 0x1
	v_cvt_f32_f16_e32 v5, v3
	s_wait_loadcnt 0x0
	v_cvt_f32_f16_e32 v13, v13
.LBB88_14:                              ;   in Loop: Header=BB88_5 Depth=1
	s_or_b32 exec_lo, exec_lo, s20
	v_add_nc_u64_e32 v[64:65], s[28:29], v[58:59]
	s_delay_alu instid0(VALU_DEP_1) | instskip(SKIP_1) | instid1(SALU_CYCLE_1)
	v_cmp_gt_i64_e32 vcc_lo, s[4:5], v[64:65]
	s_and_b32 s33, s2, vcc_lo
	s_and_saveexec_b32 s20, s33
	s_cbranch_execz .LBB88_16
; %bb.15:                               ;   in Loop: Header=BB88_5 Depth=1
	v_add_nc_u64_e32 v[64:65], v[50:51], v[22:23]
	v_add_nc_u64_e32 v[66:67], v[52:53], v[22:23]
	global_load_u16 v3, v[64:65], off
	global_load_u16 v14, v[66:67], off
	s_wait_loadcnt 0x1
	v_cvt_f32_f16_e32 v6, v3
	s_wait_loadcnt 0x0
	v_cvt_f32_f16_e32 v14, v14
.LBB88_16:                              ;   in Loop: Header=BB88_5 Depth=1
	;; [unrolled: 17-line block ×7, first 2 shown]
	s_or_b32 exec_lo, exec_lo, s20
	s_wait_loadcnt 0x1
	ds_bpermute_b32 v3, v2, v60
	ds_bpermute_b32 v63, v2, v60 offset:4
	ds_bpermute_b32 v65, v2, v60 offset:8
	s_wait_loadcnt 0x0
	ds_bpermute_b32 v66, v2, v61
	ds_bpermute_b32 v67, v2, v60 offset:12
	ds_bpermute_b32 v68, v2, v61 offset:4
	;; [unrolled: 1-line block ×8, first 2 shown]
	s_mov_b32 s20, 0
	s_wait_dscnt 0xb
	v_dual_mov_b32 v64, v5 :: v_dual_sub_f32 v3, v12, v3
	s_wait_dscnt 0xa
	v_dual_mov_b32 v12, v4 :: v_dual_sub_f32 v13, v13, v63
	ds_bpermute_b32 v63, v2, v60 offset:24
	v_dual_mul_f32 v3, v4, v3 :: v_dual_mov_b32 v4, v6
	s_wait_dscnt 0xa
	v_sub_f32_e32 v65, v14, v65
	v_dual_mul_f32 v5, v5, v13 :: v_dual_mov_b32 v14, v7
	s_wait_dscnt 0x9
	v_mul_f32_e32 v13, v3, v66
	s_wait_dscnt 0x8
	v_dual_sub_f32 v3, v15, v67 :: v_dual_mul_f32 v6, v6, v65
	s_wait_dscnt 0x5
	v_dual_mul_f32 v65, v5, v68 :: v_dual_sub_f32 v15, v16, v71
	v_pk_add_f32 v[12:13], v[32:33], v[12:13]
	ds_bpermute_b32 v66, v2, v61 offset:24
	v_dual_mul_f32 v3, v7, v3 :: v_dual_mul_f32 v5, v6, v69
	v_pk_add_f32 v[6:7], v[64:65], v[12:13]
	s_wait_dscnt 0x4
	v_dual_mov_b32 v12, v8 :: v_dual_sub_f32 v13, v17, v74
	s_delay_alu instid0(VALU_DEP_3) | instskip(NEXT) | instid1(VALU_DEP_3)
	v_dual_mul_f32 v8, v8, v15 :: v_dual_mul_f32 v15, v3, v70
	v_pk_add_f32 v[4:5], v[4:5], v[6:7]
	ds_bpermute_b32 v3, v2, v61 offset:28
	s_wait_dscnt 0x2
	v_dual_sub_f32 v16, v18, v63 :: v_dual_mul_f32 v17, v9, v13
	v_dual_mul_f32 v13, v8, v72 :: v_dual_mov_b32 v8, v9
	v_pk_add_f32 v[6:7], v[14:15], v[4:5]
	ds_bpermute_b32 v4, v2, v60 offset:28
	v_dual_mul_f32 v5, v10, v16 :: v_dual_mul_f32 v9, v17, v73
	v_pk_add_f32 v[6:7], v[12:13], v[6:7]
	s_wait_dscnt 0x2
	s_delay_alu instid0(VALU_DEP_2) | instskip(NEXT) | instid1(VALU_DEP_2)
	v_dual_mov_b32 v12, v10 :: v_dual_mul_f32 v13, v5, v66
	v_pk_add_f32 v[6:7], v[8:9], v[6:7]
	s_delay_alu instid0(VALU_DEP_1)
	v_pk_add_f32 v[60:61], v[12:13], v[6:7]
.LBB88_27:                              ;   in Loop: Header=BB88_5 Depth=1
	s_and_b32 vcc_lo, exec_lo, s20
	s_cbranch_vccz .LBB88_4
; %bb.28:                               ;   in Loop: Header=BB88_5 Depth=1
	s_load_b32 s20, s[22:23], 0x0
	v_dual_mov_b32 v60, 0 :: v_dual_mov_b32 v61, 0
	s_wait_kmcnt 0x0
	s_cmp_lt_u32 s16, s20
	s_cselect_b32 s20, 12, 18
	s_delay_alu instid0(SALU_CYCLE_1)
	s_add_nc_u64 s[50:51], s[22:23], s[20:21]
	s_load_u16 s20, s[50:51], 0x0
	s_wait_dscnt 0x1
	s_wait_kmcnt 0x0
	v_mad_u32_u24 v3, v1, s20, v62
	s_mov_b32 s20, exec_lo
	s_wait_dscnt 0x0
	s_delay_alu instid0(VALU_DEP_1) | instskip(NEXT) | instid1(VALU_DEP_1)
	v_and_b32_e32 v4, 31, v3
	v_cmpx_gt_u32_e32 8, v4
	s_cbranch_execz .LBB88_32
; %bb.29:                               ;   in Loop: Header=BB88_5 Depth=1
	v_dual_mov_b32 v5, v2 :: v_dual_mov_b32 v60, 0
	v_mov_b32_e32 v61, 0
	s_mov_b32 s33, exec_lo
	s_delay_alu instid0(VALU_DEP_2) | instskip(NEXT) | instid1(VALU_DEP_1)
	v_add_nc_u64_e32 v[4:5], v[58:59], v[4:5]
	v_add_nc_u64_e32 v[4:5], s[24:25], v[4:5]
	s_delay_alu instid0(VALU_DEP_1)
	v_cmpx_gt_i64_e64 s[4:5], v[4:5]
	s_cbranch_execz .LBB88_31
; %bb.30:                               ;   in Loop: Header=BB88_5 Depth=1
	v_lshlrev_b64_e32 v[4:5], 2, v[4:5]
	s_delay_alu instid0(VALU_DEP_1)
	v_add_nc_u64_e32 v[6:7], s[12:13], v[4:5]
	v_add_nc_u64_e32 v[4:5], s[14:15], v[4:5]
	global_load_b32 v60, v[6:7], off
	global_load_b32 v61, v[4:5], off
.LBB88_31:                              ;   in Loop: Header=BB88_5 Depth=1
	s_wait_xcnt 0x0
	s_or_b32 exec_lo, exec_lo, s33
.LBB88_32:                              ;   in Loop: Header=BB88_5 Depth=1
	s_delay_alu instid0(SALU_CYCLE_1) | instskip(SKIP_4) | instid1(VALU_DEP_3)
	s_or_b32 exec_lo, exec_lo, s20
	v_dual_mov_b32 v7, v2 :: v_dual_mov_b32 v8, v2
	v_dual_mov_b32 v9, v2 :: v_dual_mov_b32 v3, v2
	;; [unrolled: 1-line block ×3, first 2 shown]
	v_mov_b32_e32 v6, v2
	v_mov_b64_e32 v[18:19], v[8:9]
	s_delay_alu instid0(VALU_DEP_4) | instskip(NEXT) | instid1(VALU_DEP_4)
	v_mov_b64_e32 v[12:13], v[2:3]
	v_mov_b64_e32 v[14:15], v[4:5]
	s_delay_alu instid0(VALU_DEP_4)
	v_mov_b64_e32 v[16:17], v[6:7]
	v_mov_b64_e32 v[10:11], v[8:9]
	;; [unrolled: 1-line block ×5, first 2 shown]
	s_and_saveexec_b32 s20, s2
	s_cbranch_execnz .LBB88_40
; %bb.33:                               ;   in Loop: Header=BB88_5 Depth=1
	s_or_b32 exec_lo, exec_lo, s20
	s_and_saveexec_b32 s20, s2
	s_cbranch_execnz .LBB88_41
.LBB88_34:                              ;   in Loop: Header=BB88_5 Depth=1
	s_or_b32 exec_lo, exec_lo, s20
	s_and_saveexec_b32 s20, s2
	s_cbranch_execnz .LBB88_42
.LBB88_35:                              ;   in Loop: Header=BB88_5 Depth=1
	s_or_b32 exec_lo, exec_lo, s20
	s_and_saveexec_b32 s20, s2
	s_cbranch_execnz .LBB88_43
.LBB88_36:                              ;   in Loop: Header=BB88_5 Depth=1
	s_or_b32 exec_lo, exec_lo, s20
	s_and_saveexec_b32 s20, s2
	s_cbranch_execnz .LBB88_44
.LBB88_37:                              ;   in Loop: Header=BB88_5 Depth=1
	s_or_b32 exec_lo, exec_lo, s20
	s_and_saveexec_b32 s20, s2
	s_cbranch_execnz .LBB88_45
.LBB88_38:                              ;   in Loop: Header=BB88_5 Depth=1
	s_or_b32 exec_lo, exec_lo, s20
	s_and_saveexec_b32 s20, s2
	s_cbranch_execnz .LBB88_46
.LBB88_39:                              ;   in Loop: Header=BB88_5 Depth=1
	s_or_b32 exec_lo, exec_lo, s20
	s_and_saveexec_b32 s20, s2
	s_cbranch_execz .LBB88_3
	s_branch .LBB88_47
.LBB88_40:                              ;   in Loop: Header=BB88_5 Depth=1
	v_add_nc_u64_e32 v[4:5], v[24:25], v[22:23]
	v_add_nc_u64_e32 v[6:7], v[26:27], v[22:23]
	v_dual_mov_b32 v9, v2 :: v_dual_mov_b32 v10, v2
	v_dual_mov_b32 v11, v2 :: v_dual_mov_b32 v13, v2
	;; [unrolled: 1-line block ×3, first 2 shown]
	global_load_u16 v3, v[4:5], off
	global_load_u16 v12, v[6:7], off
	s_wait_xcnt 0x0
	v_dual_mov_b32 v5, v2 :: v_dual_mov_b32 v6, v2
	v_dual_mov_b32 v7, v2 :: v_dual_mov_b32 v8, v2
	;; [unrolled: 1-line block ×4, first 2 shown]
	s_wait_loadcnt 0x1
	v_cvt_f32_f16_e32 v4, v3
	s_wait_loadcnt 0x0
	v_cvt_f32_f16_e32 v12, v12
	s_or_b32 exec_lo, exec_lo, s20
	s_and_saveexec_b32 s20, s2
	s_cbranch_execz .LBB88_34
.LBB88_41:                              ;   in Loop: Header=BB88_5 Depth=1
	v_add_nc_u64_e32 v[58:59], v[54:55], v[22:23]
	v_add_nc_u64_e32 v[64:65], v[56:57], v[22:23]
	global_load_u16 v3, v[58:59], off
	global_load_u16 v13, v[64:65], off
	s_wait_loadcnt 0x1
	v_cvt_f32_f16_e32 v5, v3
	s_wait_loadcnt 0x0
	v_cvt_f32_f16_e32 v13, v13
	s_or_b32 exec_lo, exec_lo, s20
	s_and_saveexec_b32 s20, s2
	s_cbranch_execz .LBB88_35
.LBB88_42:                              ;   in Loop: Header=BB88_5 Depth=1
	v_add_nc_u64_e32 v[58:59], v[50:51], v[22:23]
	v_add_nc_u64_e32 v[64:65], v[52:53], v[22:23]
	global_load_u16 v3, v[58:59], off
	global_load_u16 v14, v[64:65], off
	s_wait_loadcnt 0x1
	v_cvt_f32_f16_e32 v6, v3
	s_wait_loadcnt 0x0
	v_cvt_f32_f16_e32 v14, v14
	s_or_b32 exec_lo, exec_lo, s20
	s_and_saveexec_b32 s20, s2
	s_cbranch_execz .LBB88_36
.LBB88_43:                              ;   in Loop: Header=BB88_5 Depth=1
	v_add_nc_u64_e32 v[58:59], v[46:47], v[22:23]
	v_add_nc_u64_e32 v[64:65], v[48:49], v[22:23]
	global_load_u16 v3, v[58:59], off
	global_load_u16 v15, v[64:65], off
	s_wait_loadcnt 0x1
	v_cvt_f32_f16_e32 v7, v3
	s_wait_loadcnt 0x0
	v_cvt_f32_f16_e32 v15, v15
	s_or_b32 exec_lo, exec_lo, s20
	s_and_saveexec_b32 s20, s2
	s_cbranch_execz .LBB88_37
.LBB88_44:                              ;   in Loop: Header=BB88_5 Depth=1
	v_add_nc_u64_e32 v[58:59], v[42:43], v[22:23]
	v_add_nc_u64_e32 v[64:65], v[44:45], v[22:23]
	global_load_u16 v3, v[58:59], off
	global_load_u16 v16, v[64:65], off
	s_wait_loadcnt 0x1
	v_cvt_f32_f16_e32 v8, v3
	s_wait_loadcnt 0x0
	v_cvt_f32_f16_e32 v16, v16
	s_or_b32 exec_lo, exec_lo, s20
	s_and_saveexec_b32 s20, s2
	s_cbranch_execz .LBB88_38
.LBB88_45:                              ;   in Loop: Header=BB88_5 Depth=1
	v_add_nc_u64_e32 v[58:59], v[38:39], v[22:23]
	v_add_nc_u64_e32 v[64:65], v[40:41], v[22:23]
	global_load_u16 v3, v[58:59], off
	global_load_u16 v17, v[64:65], off
	s_wait_loadcnt 0x1
	v_cvt_f32_f16_e32 v9, v3
	s_wait_loadcnt 0x0
	v_cvt_f32_f16_e32 v17, v17
	s_or_b32 exec_lo, exec_lo, s20
	s_and_saveexec_b32 s20, s2
	s_cbranch_execz .LBB88_39
.LBB88_46:                              ;   in Loop: Header=BB88_5 Depth=1
	v_add_nc_u64_e32 v[58:59], v[34:35], v[22:23]
	v_add_nc_u64_e32 v[64:65], v[36:37], v[22:23]
	global_load_u16 v3, v[58:59], off
	global_load_u16 v18, v[64:65], off
	s_wait_loadcnt 0x1
	v_cvt_f32_f16_e32 v10, v3
	s_wait_loadcnt 0x0
	v_cvt_f32_f16_e32 v18, v18
	s_or_b32 exec_lo, exec_lo, s20
	s_and_saveexec_b32 s20, s2
	s_cbranch_execz .LBB88_3
.LBB88_47:                              ;   in Loop: Header=BB88_5 Depth=1
	v_add_nc_u64_e32 v[58:59], v[28:29], v[22:23]
	v_add_nc_u64_e32 v[64:65], v[30:31], v[22:23]
	global_load_u16 v3, v[58:59], off
	global_load_u16 v19, v[64:65], off
	s_wait_loadcnt 0x1
	v_cvt_f32_f16_e32 v11, v3
	s_wait_loadcnt 0x0
	v_cvt_f32_f16_e32 v19, v19
	s_branch .LBB88_3
.LBB88_48:
                                        ; implicit-def: $vgpr33
	s_branch .LBB88_50
.LBB88_49:
	s_cbranch_execnz .LBB88_81
.LBB88_50:
	v_mov_b32_e32 v33, 0
	s_and_not1_b32 vcc_lo, exec_lo, s17
	s_delay_alu instid0(VALU_DEP_1)
	v_mov_b32_e32 v32, v33
	s_cbranch_vccnz .LBB88_81
; %bb.51:
	v_bfe_u32 v1, v0, 10, 10
	v_mov_b32_e32 v2, 0
	v_and_b32_e32 v90, 0x3ff, v0
	s_load_b32 s2, s[0:1], 0x44
	s_mov_b64 s[22:23], 0xffffffffffffffc3
	s_delay_alu instid0(VALU_DEP_2) | instskip(SKIP_3) | instid1(VALU_DEP_2)
	v_dual_mov_b32 v5, v2 :: v_dual_lshlrev_b32 v4, 4, v1
	v_dual_mov_b32 v21, v2 :: v_dual_lshlrev_b32 v20, 3, v1
	s_mov_b64 s[24:25], 0xffffffffffffffc4
	s_mov_b64 s[26:27], 0xffffffffffffffc5
	v_lshl_add_u64 v[4:5], s[18:19], 1, v[4:5]
	s_mov_b64 s[28:29], 0xffffffffffffffc6
	v_add_nc_u64_e32 v[8:9], s[18:19], v[20:21]
	s_mov_b64 s[30:31], 0xffffffffffffffc7
	s_mov_b64 s[34:35], 0xffffffffffffffc8
	v_add_nc_u64_e32 v[6:7], 2, v[4:5]
	v_add_nc_u64_e32 v[10:11], 4, v[4:5]
	;; [unrolled: 1-line block ×4, first 2 shown]
	v_mul_u64_e32 v[32:33], s[6:7], v[8:9]
	v_add_nc_u64_e32 v[44:45], 4, v[8:9]
	v_add_nc_u64_e32 v[16:17], 10, v[4:5]
	v_mad_nc_u64_u32 v[22:23], s6, v6, s[8:9]
	v_mul_lo_u32 v3, s6, v7
	v_mul_lo_u32 v42, s7, v6
	v_mad_nc_u64_u32 v[34:35], s6, v6, s[10:11]
	v_add_nc_u64_e32 v[6:7], 7, v[8:9]
	v_mad_nc_u64_u32 v[24:25], s6, v10, s[8:9]
	v_mul_lo_u32 v43, s6, v11
	v_mul_lo_u32 v46, s7, v10
	v_mad_nc_u64_u32 v[36:37], s6, v10, s[10:11]
	v_mad_nc_u64_u32 v[26:27], s6, v12, s[8:9]
	v_mul_lo_u32 v52, s6, v13
	v_mul_lo_u32 v53, s7, v12
	v_mad_nc_u64_u32 v[40:41], s6, v12, s[10:11]
	v_add_nc_u64_e32 v[10:11], 6, v[8:9]
	v_mul_u64_e32 v[6:7], s[6:7], v[6:7]
	v_add_nc_u64_e32 v[12:13], 5, v[8:9]
	v_mad_nc_u64_u32 v[28:29], s6, v14, s[8:9]
	v_mul_lo_u32 v54, s6, v15
	v_mul_lo_u32 v55, s7, v14
	v_add3_u32 v23, v42, v23, v3
	v_add3_u32 v25, v46, v25, v43
	;; [unrolled: 1-line block ×3, first 2 shown]
	v_mul_u64_e32 v[10:11], s[6:7], v[10:11]
	v_add3_u32 v37, v46, v37, v43
	v_mad_nc_u64_u32 v[42:43], s6, v14, s[10:11]
	v_add_nc_u64_e32 v[14:15], 3, v[8:9]
	v_add_nc_u64_e32 v[8:9], 2, v[8:9]
	v_mul_u64_e32 v[12:13], s[6:7], v[12:13]
	v_mul_u64_e32 v[62:63], s[6:7], v[44:45]
	v_add_nc_u64_e32 v[18:19], 12, v[4:5]
	v_add_nc_u64_e32 v[4:5], 14, v[4:5]
	v_mad_nc_u64_u32 v[30:31], s6, v16, s[8:9]
	v_mul_u64_e32 v[14:15], s[6:7], v[14:15]
	v_mul_u64_e32 v[8:9], s[6:7], v[8:9]
	v_mul_lo_u32 v17, s6, v17
	v_mul_lo_u32 v56, s7, v16
	v_mad_nc_u64_u32 v[44:45], s6, v16, s[10:11]
	v_mad_nc_u64_u32 v[46:47], s6, v4, s[8:9]
	v_mul_lo_u32 v3, s6, v5
	v_mul_lo_u32 v16, s7, v4
	v_mad_nc_u64_u32 v[50:51], s6, v4, s[10:11]
	v_dual_mov_b32 v5, v2 :: v_dual_add_nc_u32 v4, s3, v90
	v_add3_u32 v27, v53, v27, v52
	v_add3_u32 v41, v53, v41, v52
	v_mad_nc_u64_u32 v[38:39], s6, v18, s[8:9]
	v_lshlrev_b64_e32 v[6:7], 1, v[6:7]
	v_add3_u32 v31, v56, v31, v17
	v_add3_u32 v45, v56, v45, v17
	v_mul_lo_u32 v19, s6, v19
	v_add3_u32 v47, v16, v47, v3
	v_add3_u32 v51, v16, v51, v3
	v_lshlrev_b64_e32 v[16:17], 1, v[32:33]
	v_add_nc_u64_e32 v[58:59], s[8:9], v[6:7]
	v_add_nc_u64_e32 v[60:61], s[10:11], v[6:7]
	v_mul_lo_u32 v57, s7, v18
	v_mad_nc_u64_u32 v[48:49], s6, v18, s[10:11]
	s_mov_b32 s3, 0
	v_add3_u32 v29, v55, v29, v54
	v_lshlrev_b64_e32 v[6:7], 1, v[12:13]
	v_add_nc_u64_e32 v[12:13], s[6:7], v[32:33]
	v_mov_b32_e32 v32, 0
	v_lshlrev_b64_e32 v[52:53], 1, v[4:5]
	v_lshlrev_b64_e32 v[4:5], 1, v[10:11]
	;; [unrolled: 1-line block ×4, first 2 shown]
	v_add_nc_u64_e32 v[66:67], s[8:9], v[6:7]
	v_add_nc_u64_e32 v[68:69], s[10:11], v[6:7]
	v_lshlrev_b64_e32 v[6:7], 1, v[12:13]
	v_add3_u32 v43, v55, v43, v54
	v_add_nc_u64_e32 v[62:63], s[8:9], v[4:5]
	v_add_nc_u64_e32 v[64:65], s[10:11], v[4:5]
	v_lshlrev_b64_e32 v[4:5], 1, v[14:15]
	v_add3_u32 v39, v57, v39, v19
	v_add3_u32 v49, v57, v49, v19
	v_add_nc_u64_e32 v[54:55], s[8:9], v[16:17]
	v_add_nc_u64_e32 v[56:57], s[10:11], v[16:17]
	;; [unrolled: 1-line block ×10, first 2 shown]
	s_wait_kmcnt 0x0
	s_lshl_b32 s20, s2, 6
	s_mov_b32 s21, s3
	v_mov_b32_e32 v33, v2
	s_mul_u64 s[38:39], s[6:7], s[20:21]
	s_mov_b64 s[8:9], 0xffffffffffffffc1
	s_mov_b64 s[10:11], 0xffffffffffffffc2
	s_add_nc_u64 s[36:37], s[0:1], 64
	s_lshl_b64 s[38:39], s[38:39], 1
	s_add_nc_u64 s[40:41], s[18:19], 63
	s_branch .LBB88_55
.LBB88_52:                              ;   in Loop: Header=BB88_55 Depth=1
	s_wait_xcnt 0x0
	s_or_b32 exec_lo, exec_lo, s17
.LBB88_53:                              ;   in Loop: Header=BB88_55 Depth=1
	s_delay_alu instid0(SALU_CYCLE_1)
	s_or_b32 exec_lo, exec_lo, s2
	v_add_nc_u64_e32 v[4:5], v[54:55], v[52:53]
	v_add_nc_u64_e32 v[8:9], v[56:57], v[52:53]
	v_add_nc_u64_e32 v[10:11], v[22:23], v[52:53]
	v_add_nc_u64_e32 v[12:13], v[34:35], v[52:53]
	v_add_nc_u64_e32 v[14:15], v[24:25], v[52:53]
	s_wait_loadcnt 0x1
	ds_bpermute_b32 v98, v2, v3 offset:12
	s_wait_loadcnt 0x0
	ds_bpermute_b32 v96, v2, v6 offset:8
	global_load_u16 v7, v[4:5], off
	global_load_u16 v16, v[8:9], off
	;; [unrolled: 1-line block ×3, first 2 shown]
	s_wait_xcnt 0x2
	v_add_nc_u64_e32 v[4:5], v[36:37], v[52:53]
	s_wait_xcnt 0x1
	v_add_nc_u64_e32 v[8:9], v[26:27], v[52:53]
	global_load_u16 v18, v[12:13], off
	global_load_u16 v19, v[14:15], off
	s_wait_xcnt 0x2
	v_add_nc_u64_e32 v[10:11], v[40:41], v[52:53]
	s_wait_xcnt 0x1
	v_add_nc_u64_e32 v[12:13], v[28:29], v[52:53]
	;; [unrolled: 2-line block ×3, first 2 shown]
	global_load_u16 v32, v[4:5], off
	global_load_u16 v33, v[8:9], off
	;; [unrolled: 1-line block ×3, first 2 shown]
	s_wait_xcnt 0x2
	v_add_nc_u64_e32 v[4:5], v[30:31], v[52:53]
	s_wait_xcnt 0x1
	v_add_nc_u64_e32 v[8:9], v[44:45], v[52:53]
	global_load_u16 v89, v[12:13], off
	global_load_u16 v91, v[14:15], off
	s_wait_xcnt 0x2
	v_add_nc_u64_e32 v[10:11], v[46:47], v[52:53]
	s_wait_xcnt 0x1
	ds_bpermute_b32 v12, v2, v3 offset:4
	s_wait_xcnt 0x0
	ds_bpermute_b32 v14, v2, v3 offset:8
	ds_bpermute_b32 v100, v2, v3 offset:16
	global_load_u16 v13, v[4:5], off
	s_wait_xcnt 0x0
	v_add_nc_u64_e32 v[4:5], v[48:49], v[52:53]
	global_load_u16 v15, v[8:9], off
	s_wait_xcnt 0x0
	v_add_nc_u64_e32 v[8:9], v[38:39], v[52:53]
	ds_bpermute_b32 v97, v2, v6 offset:12
	ds_bpermute_b32 v99, v2, v6 offset:16
	;; [unrolled: 1-line block ×4, first 2 shown]
	global_load_u16 v92, v[4:5], off
	s_wait_xcnt 0x0
	v_add_nc_u64_e32 v[4:5], v[50:51], v[52:53]
	global_load_u16 v93, v[8:9], off
	global_load_u16 v94, v[4:5], off
	;; [unrolled: 1-line block ×3, first 2 shown]
	s_wait_xcnt 0x2
	ds_bpermute_b32 v9, v2, v3
	s_wait_xcnt 0x1
	ds_bpermute_b32 v5, v2, v6
	s_wait_xcnt 0x0
	ds_bpermute_b32 v11, v2, v6 offset:4
	ds_bpermute_b32 v103, v2, v6 offset:24
	;; [unrolled: 1-line block ×5, first 2 shown]
	s_wait_loadcnt 0xf
	v_cvt_f32_f16_e32 v4, v7
	s_wait_loadcnt 0xe
	v_cvt_f32_f16_e32 v10, v16
	;; [unrolled: 2-line block ×5, first 2 shown]
	s_wait_dscnt 0x6
	s_delay_alu instid0(VALU_DEP_2) | instskip(SKIP_2) | instid1(VALU_DEP_2)
	v_dual_sub_f32 v9, v10, v9 :: v_dual_sub_f32 v7, v7, v12
	s_wait_loadcnt 0xa
	v_cvt_f32_f16_e32 v16, v32
	v_mul_f32_e32 v9, v9, v4
	s_wait_loadcnt 0x8
	v_cvt_f32_f16_e32 v17, v88
	v_cvt_f32_f16_e32 v10, v33
	s_wait_loadcnt 0x6
	v_cvt_f32_f16_e32 v18, v91
	v_sub_f32_e32 v16, v16, v14
	s_wait_dscnt 0x5
	v_dual_mul_f32 v7, v7, v6 :: v_dual_mul_f32 v5, v9, v5
	v_sub_f32_e32 v9, v17, v98
	s_wait_loadcnt 0x5
	v_cvt_f32_f16_e32 v14, v13
	s_wait_dscnt 0x4
	v_dual_mul_f32 v13, v16, v8 :: v_dual_mul_f32 v7, v7, v11
	v_pk_add_f32 v[4:5], v[86:87], v[4:5]
	v_cvt_f32_f16_e32 v12, v89
	s_wait_loadcnt 0x4
	v_cvt_f32_f16_e32 v11, v15
	v_dual_sub_f32 v15, v18, v100 :: v_dual_mul_f32 v16, v9, v10
	v_mul_f32_e32 v9, v13, v96
	v_pk_add_f32 v[4:5], v[4:5], v[6:7]
	s_wait_loadcnt 0x3
	v_cvt_f32_f16_e32 v7, v92
	v_sub_f32_e32 v13, v11, v102
	v_dual_mul_f32 v15, v15, v12 :: v_dual_mul_f32 v11, v16, v97
	v_pk_add_f32 v[4:5], v[4:5], v[8:9]
	s_wait_loadcnt 0x2
	v_cvt_f32_f16_e32 v6, v93
	s_wait_dscnt 0x1
	v_dual_sub_f32 v7, v7, v104 :: v_dual_mul_f32 v9, v13, v14
	v_mul_f32_e32 v13, v15, v99
	v_pk_add_f32 v[4:5], v[4:5], v[10:11]
	s_wait_loadcnt 0x1
	v_cvt_f32_f16_e32 v10, v94
	s_wait_loadcnt 0x0
	v_cvt_f32_f16_e32 v8, v95
	v_dual_mul_f32 v7, v7, v6 :: v_dual_mul_f32 v15, v9, v101
	v_pk_add_f32 v[4:5], v[4:5], v[12:13]
	s_wait_dscnt 0x0
	v_sub_f32_e32 v3, v10, v3
	s_delay_alu instid0(VALU_DEP_3) | instskip(NEXT) | instid1(VALU_DEP_3)
	v_mul_f32_e32 v7, v7, v103
	v_pk_add_f32 v[4:5], v[4:5], v[14:15]
	s_delay_alu instid0(VALU_DEP_3) | instskip(NEXT) | instid1(VALU_DEP_2)
	v_mul_f32_e32 v3, v3, v8
	v_pk_add_f32 v[4:5], v[4:5], v[6:7]
	s_delay_alu instid0(VALU_DEP_2) | instskip(NEXT) | instid1(VALU_DEP_1)
	v_mul_f32_e32 v9, v3, v105
	v_pk_add_f32 v[32:33], v[4:5], v[8:9]
.LBB88_54:                              ;   in Loop: Header=BB88_55 Depth=1
	s_add_nc_u64 s[18:19], s[18:19], s[20:21]
	v_add_nc_u64_e32 v[54:55], s[38:39], v[54:55]
	v_cmp_ge_i64_e64 s2, s[18:19], s[4:5]
	v_add_nc_u64_e32 v[56:57], s[38:39], v[56:57]
	v_add_nc_u64_e32 v[22:23], s[38:39], v[22:23]
	;; [unrolled: 1-line block ×29, first 2 shown]
	s_and_b32 vcc_lo, exec_lo, s2
	s_add_nc_u64 s[40:41], s[40:41], s[20:21]
	s_cbranch_vccnz .LBB88_81
.LBB88_55:                              ; =>This Inner Loop Header: Depth=1
	v_cmp_ge_i64_e64 s2, s[40:41], s[4:5]
	v_add_nc_u64_e32 v[88:89], s[40:41], v[20:21]
	v_dual_mov_b32 v86, v32 :: v_dual_mov_b32 v87, v33
                                        ; implicit-def: $vgpr33
	s_and_b32 vcc_lo, exec_lo, s2
	s_mov_b32 s2, -1
	s_cbranch_vccz .LBB88_77
; %bb.56:                               ;   in Loop: Header=BB88_55 Depth=1
	s_load_b32 s2, s[36:37], 0xc
	v_dual_mov_b32 v33, 0 :: v_dual_mov_b32 v32, 0
	s_wait_kmcnt 0x0
	s_and_b32 s2, s2, 0xffff
	s_delay_alu instid0(SALU_CYCLE_1) | instskip(SKIP_1) | instid1(VALU_DEP_1)
	v_mad_u32_u24 v3, v1, s2, v90
	s_mov_b32 s2, exec_lo
	v_and_b32_e32 v4, 31, v3
	s_delay_alu instid0(VALU_DEP_1)
	v_cmpx_gt_u32_e32 8, v4
	s_cbranch_execz .LBB88_60
; %bb.57:                               ;   in Loop: Header=BB88_55 Depth=1
	v_dual_mov_b32 v5, v2 :: v_dual_mov_b32 v33, 0
	v_mov_b32_e32 v32, 0
	s_mov_b32 s17, exec_lo
	s_delay_alu instid0(VALU_DEP_2) | instskip(NEXT) | instid1(VALU_DEP_1)
	v_add_nc_u64_e32 v[4:5], v[88:89], v[4:5]
	v_add_nc_u64_e32 v[4:5], s[8:9], v[4:5]
	s_delay_alu instid0(VALU_DEP_1)
	v_cmpx_gt_i64_e64 s[4:5], v[4:5]
	s_cbranch_execz .LBB88_59
; %bb.58:                               ;   in Loop: Header=BB88_55 Depth=1
	v_lshlrev_b64_e32 v[4:5], 2, v[4:5]
	s_delay_alu instid0(VALU_DEP_1)
	v_add_nc_u64_e32 v[6:7], s[12:13], v[4:5]
	v_add_nc_u64_e32 v[4:5], s[14:15], v[4:5]
	global_load_b32 v33, v[6:7], off
	global_load_b32 v32, v[4:5], off
.LBB88_59:                              ;   in Loop: Header=BB88_55 Depth=1
	s_wait_xcnt 0x0
	s_or_b32 exec_lo, exec_lo, s17
.LBB88_60:                              ;   in Loop: Header=BB88_55 Depth=1
	s_delay_alu instid0(SALU_CYCLE_1)
	s_or_b32 exec_lo, exec_lo, s2
	v_add_nc_u64_e32 v[10:11], s[8:9], v[88:89]
	v_dual_mov_b32 v7, v2 :: v_dual_mov_b32 v8, v2
	v_dual_mov_b32 v9, v2 :: v_dual_mov_b32 v3, v2
	;; [unrolled: 1-line block ×3, first 2 shown]
	v_mov_b32_e32 v6, v2
	s_delay_alu instid0(VALU_DEP_3)
	v_mov_b64_e32 v[18:19], v[8:9]
	v_cmp_gt_i64_e32 vcc_lo, s[4:5], v[10:11]
	v_mov_b64_e32 v[12:13], v[2:3]
	v_mov_b64_e32 v[14:15], v[4:5]
	;; [unrolled: 1-line block ×7, first 2 shown]
	s_and_saveexec_b32 s2, vcc_lo
	s_cbranch_execz .LBB88_62
; %bb.61:                               ;   in Loop: Header=BB88_55 Depth=1
	v_add_nc_u64_e32 v[4:5], v[54:55], v[52:53]
	v_add_nc_u64_e32 v[6:7], v[56:57], v[52:53]
	v_dual_mov_b32 v9, v2 :: v_dual_mov_b32 v10, v2
	v_dual_mov_b32 v11, v2 :: v_dual_mov_b32 v13, v2
	;; [unrolled: 1-line block ×3, first 2 shown]
	global_load_u16 v3, v[4:5], off
	global_load_u16 v12, v[6:7], off
	s_wait_xcnt 0x0
	v_dual_mov_b32 v5, v2 :: v_dual_mov_b32 v6, v2
	v_dual_mov_b32 v7, v2 :: v_dual_mov_b32 v8, v2
	;; [unrolled: 1-line block ×4, first 2 shown]
	s_wait_loadcnt 0x1
	v_cvt_f32_f16_e32 v4, v3
	s_wait_loadcnt 0x0
	v_cvt_f32_f16_e32 v12, v12
.LBB88_62:                              ;   in Loop: Header=BB88_55 Depth=1
	s_or_b32 exec_lo, exec_lo, s2
	v_add_nc_u64_e32 v[92:93], s[10:11], v[88:89]
	s_mov_b32 s2, exec_lo
	s_delay_alu instid0(VALU_DEP_1)
	v_cmpx_gt_i64_e64 s[4:5], v[92:93]
	s_cbranch_execz .LBB88_64
; %bb.63:                               ;   in Loop: Header=BB88_55 Depth=1
	v_add_nc_u64_e32 v[92:93], v[82:83], v[52:53]
	v_add_nc_u64_e32 v[94:95], v[84:85], v[52:53]
	global_load_u16 v3, v[92:93], off
	global_load_u16 v13, v[94:95], off
	s_wait_loadcnt 0x1
	v_cvt_f32_f16_e32 v5, v3
	s_wait_loadcnt 0x0
	v_cvt_f32_f16_e32 v13, v13
.LBB88_64:                              ;   in Loop: Header=BB88_55 Depth=1
	s_or_b32 exec_lo, exec_lo, s2
	v_add_nc_u64_e32 v[92:93], s[22:23], v[88:89]
	s_mov_b32 s2, exec_lo
	s_delay_alu instid0(VALU_DEP_1)
	v_cmpx_gt_i64_e64 s[4:5], v[92:93]
	s_cbranch_execz .LBB88_66
; %bb.65:                               ;   in Loop: Header=BB88_55 Depth=1
	v_add_nc_u64_e32 v[92:93], v[78:79], v[52:53]
	v_add_nc_u64_e32 v[94:95], v[80:81], v[52:53]
	global_load_u16 v3, v[92:93], off
	global_load_u16 v14, v[94:95], off
	s_wait_loadcnt 0x1
	v_cvt_f32_f16_e32 v6, v3
	s_wait_loadcnt 0x0
	v_cvt_f32_f16_e32 v14, v14
.LBB88_66:                              ;   in Loop: Header=BB88_55 Depth=1
	;; [unrolled: 16-line block ×7, first 2 shown]
	s_or_b32 exec_lo, exec_lo, s2
	s_wait_loadcnt 0x1
	ds_bpermute_b32 v3, v2, v33
	ds_bpermute_b32 v91, v2, v33 offset:4
	ds_bpermute_b32 v93, v2, v33 offset:8
	s_wait_loadcnt 0x0
	ds_bpermute_b32 v94, v2, v32
	ds_bpermute_b32 v95, v2, v33 offset:12
	ds_bpermute_b32 v96, v2, v32 offset:4
	;; [unrolled: 1-line block ×10, first 2 shown]
	s_mov_b32 s2, 0
	s_wait_dscnt 0xd
	v_dual_mov_b32 v92, v6 :: v_dual_sub_f32 v3, v12, v3
	s_wait_dscnt 0xc
	v_dual_mov_b32 v12, v4 :: v_dual_sub_f32 v13, v13, v91
	s_wait_dscnt 0x9
	v_sub_f32_e32 v15, v15, v95
	v_dual_mul_f32 v3, v4, v3 :: v_dual_mov_b32 v4, v5
	v_sub_f32_e32 v14, v14, v93
	s_wait_dscnt 0x6
	v_dual_mul_f32 v5, v5, v13 :: v_dual_sub_f32 v16, v16, v100
	s_delay_alu instid0(VALU_DEP_3) | instskip(SKIP_4) | instid1(VALU_DEP_3)
	v_mul_f32_e32 v13, v3, v94
	ds_bpermute_b32 v3, v2, v33 offset:28
	v_dual_mul_f32 v14, v6, v14 :: v_dual_mul_f32 v5, v5, v96
	v_mov_b32_e32 v6, v7
	v_pk_add_f32 v[12:13], v[86:87], v[12:13]
	v_dual_mul_f32 v7, v7, v15 :: v_dual_mul_f32 v93, v14, v97
	ds_bpermute_b32 v14, v2, v32 offset:28
	v_mul_f32_e32 v15, v8, v16
	v_pk_add_f32 v[4:5], v[4:5], v[12:13]
	s_wait_dscnt 0x6
	v_sub_f32_e32 v13, v17, v102
	v_dual_mul_f32 v7, v7, v98 :: v_dual_mov_b32 v12, v8
	s_wait_dscnt 0x4
	v_sub_f32_e32 v8, v18, v104
	v_pk_add_f32 v[4:5], v[92:93], v[4:5]
	v_dual_mul_f32 v16, v9, v13 :: v_dual_mul_f32 v13, v15, v99
	s_delay_alu instid0(VALU_DEP_2) | instskip(SKIP_2) | instid1(VALU_DEP_3)
	v_pk_add_f32 v[4:5], v[6:7], v[4:5]
	s_wait_dscnt 0x1
	v_dual_mov_b32 v6, v9 :: v_dual_sub_f32 v3, v19, v3
	v_dual_mul_f32 v9, v10, v8 :: v_dual_mul_f32 v7, v16, v101
	v_mov_b32_e32 v8, v10
	v_pk_add_f32 v[4:5], v[12:13], v[4:5]
	s_delay_alu instid0(VALU_DEP_4) | instskip(NEXT) | instid1(VALU_DEP_2)
	v_mul_f32_e32 v3, v11, v3
	v_pk_add_f32 v[4:5], v[6:7], v[4:5]
	v_dual_mov_b32 v6, v11 :: v_dual_mul_f32 v9, v9, v103
	s_wait_dscnt 0x0
	s_delay_alu instid0(VALU_DEP_3) | instskip(NEXT) | instid1(VALU_DEP_2)
	v_mul_f32_e32 v7, v3, v14
	v_pk_add_f32 v[4:5], v[8:9], v[4:5]
	s_delay_alu instid0(VALU_DEP_1)
	v_pk_add_f32 v[32:33], v[6:7], v[4:5]
.LBB88_77:                              ;   in Loop: Header=BB88_55 Depth=1
	s_and_b32 vcc_lo, exec_lo, s2
	s_cbranch_vccz .LBB88_54
; %bb.78:                               ;   in Loop: Header=BB88_55 Depth=1
	s_load_b32 s2, s[36:37], 0x0
	v_mov_b32_e32 v6, 0
	s_wait_kmcnt 0x0
	s_cmp_lt_u32 s16, s2
	s_cselect_b32 s2, 12, 18
	s_delay_alu instid0(SALU_CYCLE_1) | instskip(SKIP_4) | instid1(VALU_DEP_1)
	s_add_nc_u64 s[42:43], s[36:37], s[2:3]
	s_load_u16 s2, s[42:43], 0x0
	s_wait_kmcnt 0x0
	v_mad_u32_u24 v3, v1, s2, v90
	s_mov_b32 s2, exec_lo
	v_dual_mov_b32 v3, 0 :: v_dual_bitop2_b32 v4, 31, v3 bitop3:0x40
	s_delay_alu instid0(VALU_DEP_1)
	v_cmpx_gt_u32_e32 8, v4
	s_cbranch_execz .LBB88_53
; %bb.79:                               ;   in Loop: Header=BB88_55 Depth=1
	v_dual_mov_b32 v5, v2 :: v_dual_mov_b32 v3, 0
	v_mov_b32_e32 v6, 0
	s_mov_b32 s17, exec_lo
	s_delay_alu instid0(VALU_DEP_2) | instskip(NEXT) | instid1(VALU_DEP_1)
	v_add_nc_u64_e32 v[4:5], v[88:89], v[4:5]
	v_add_nc_u64_e32 v[4:5], s[8:9], v[4:5]
	s_delay_alu instid0(VALU_DEP_1)
	v_cmpx_gt_i64_e64 s[4:5], v[4:5]
	s_cbranch_execz .LBB88_52
; %bb.80:                               ;   in Loop: Header=BB88_55 Depth=1
	v_lshlrev_b64_e32 v[4:5], 2, v[4:5]
	s_delay_alu instid0(VALU_DEP_1)
	v_add_nc_u64_e32 v[8:9], s[12:13], v[4:5]
	v_add_nc_u64_e32 v[4:5], s[14:15], v[4:5]
	global_load_b32 v3, v[8:9], off
	global_load_b32 v6, v[4:5], off
	s_branch .LBB88_52
.LBB88_81:
	v_and_b32_e32 v1, 0x3ff, v0
	v_bfe_u32 v2, v0, 10, 10
	v_bfe_u32 v0, v0, 5, 5
	s_mov_b32 s2, exec_lo
	s_delay_alu instid0(VALU_DEP_2) | instskip(NEXT) | instid1(VALU_DEP_2)
	v_mad_u32_u24 v3, v2, 33, v1
	v_add_nc_u32_e32 v0, v0, v2
	s_delay_alu instid0(VALU_DEP_2)
	v_lshl_add_u32 v2, v3, 2, 0
	ds_store_b32 v2, v33
	ds_store_b32 v2, v32 offset:1056
	s_wait_dscnt 0x0
	s_barrier_signal -1
	s_barrier_wait -1
	v_cmpx_gt_u32_e32 32, v0
	s_cbranch_execz .LBB88_113
; %bb.82:
	s_load_b128 s[8:11], s[0:1], 0x30
	v_and_b32_e32 v2, 31, v1
	s_delay_alu instid0(VALU_DEP_1)
	v_cmp_lt_u32_e64 s2, 7, v2
	s_wait_xcnt 0x0
	v_cmp_gt_u32_e64 s0, 8, v2
	v_mul_u32_u24_e32 v6, 33, v2
                                        ; implicit-def: $vgpr2
	s_and_saveexec_b32 s1, s0
	s_cbranch_execz .LBB88_84
; %bb.83:
	s_delay_alu instid0(VALU_DEP_1) | instskip(NEXT) | instid1(VALU_DEP_1)
	v_add_nc_u32_e32 v2, v0, v6
	v_lshl_add_u32 v2, v2, 2, 0
	ds_load_b32 v3, v2
	ds_load_b32 v2, v2 offset:1056
.LBB88_84:
	s_or_b32 exec_lo, exec_lo, s1
	v_mbcnt_lo_u32_b32 v9, -1, 0
	s_mov_b32 s17, 0
	v_cmp_eq_u32_e64 s1, 0, v1
	s_lshl_b64 s[4:5], s[16:17], 5
	s_wait_kmcnt 0x0
	s_cmp_lg_u64 s[8:9], 0
	v_xor_b32_e32 v8, 2, v9
	v_xor_b32_e32 v4, 4, v9
	s_cselect_b32 s12, -1, 0
	s_cmp_lg_u64 s[10:11], 0
	v_xor_b32_e32 v10, 1, v9
	s_cselect_b32 s3, -1, 0
	v_cmp_gt_i32_e32 vcc_lo, 32, v4
	v_dual_mov_b32 v1, 0 :: v_dual_cndmask_b32 v4, v9, v4
	v_cmp_gt_i32_e32 vcc_lo, 32, v8
	v_cndmask_b32_e32 v8, v9, v8, vcc_lo
	v_cmp_gt_i32_e32 vcc_lo, 32, v10
	s_delay_alu instid0(VALU_DEP_4) | instskip(NEXT) | instid1(VALU_DEP_3)
	v_lshlrev_b32_e32 v7, 2, v4
	v_dual_cndmask_b32 v9, v9, v10 :: v_dual_lshlrev_b32 v8, 2, v8
	s_wait_dscnt 0x1
	ds_bpermute_b32 v5, v7, v3
	s_wait_dscnt 0x1
	ds_bpermute_b32 v4, v7, v2
	v_lshlrev_b32_e32 v9, 2, v9
	s_wait_dscnt 0x0
	v_pk_add_f32 v[2:3], v[2:3], v[4:5]
	ds_bpermute_b32 v5, v8, v3
	ds_bpermute_b32 v4, v8, v2
	s_wait_dscnt 0x0
	v_pk_add_f32 v[2:3], v[2:3], v[4:5]
	v_dual_mov_b32 v5, s5 :: v_dual_bitop2_b32 v4, s4, v0 bitop3:0x54
	ds_bpermute_b32 v11, v9, v3
	ds_bpermute_b32 v10, v9, v2
	v_cmp_gt_i64_e32 vcc_lo, s[6:7], v[4:5]
	s_and_b32 s14, s1, vcc_lo
	s_wait_dscnt 0x0
	v_pk_add_f32 v[2:3], v[2:3], v[10:11]
	s_and_saveexec_b32 s13, s14
	s_cbranch_execz .LBB88_89
; %bb.85:
	s_and_not1_b32 vcc_lo, exec_lo, s12
	s_cbranch_vccnz .LBB88_87
; %bb.86:
	v_lshl_add_u64 v[10:11], v[4:5], 1, s[8:9]
	v_cvt_f16_f32_e32 v12, v3
	global_store_b16 v[10:11], v12, off
.LBB88_87:
	s_and_not1_b32 vcc_lo, exec_lo, s3
	s_cbranch_vccnz .LBB88_89
; %bb.88:
	v_lshl_add_u64 v[4:5], v[4:5], 1, s[10:11]
	s_wait_xcnt 0x0
	v_cvt_f16_f32_e32 v10, v2
	global_store_b16 v[4:5], v10, off
.LBB88_89:
	s_wait_xcnt 0x0
	s_or_b32 exec_lo, exec_lo, s13
	v_cmp_gt_u32_e32 vcc_lo, 24, v0
	s_and_b32 exec_lo, exec_lo, vcc_lo
	s_cbranch_execz .LBB88_113
; %bb.90:
	s_and_saveexec_b32 s13, s2
	s_delay_alu instid0(SALU_CYCLE_1) | instskip(NEXT) | instid1(SALU_CYCLE_1)
	s_xor_b32 s13, exec_lo, s13
	s_and_not1_saveexec_b32 s13, s13
	s_cbranch_execz .LBB88_92
; %bb.91:
	v_add_nc_u32_e32 v2, v0, v6
	s_delay_alu instid0(VALU_DEP_1)
	v_lshl_add_u32 v2, v2, 2, 0
	ds_load_b32 v3, v2 offset:32
	ds_load_b32 v2, v2 offset:1088
.LBB88_92:
	s_or_b32 exec_lo, exec_lo, s13
	s_wait_dscnt 0x1
	ds_bpermute_b32 v5, v7, v3
	s_wait_dscnt 0x1
	ds_bpermute_b32 v4, v7, v2
	v_dual_mov_b32 v11, 0 :: v_dual_add_nc_u32 v10, 8, v0
	s_delay_alu instid0(VALU_DEP_1) | instskip(NEXT) | instid1(VALU_DEP_1)
	v_add_nc_u64_e32 v[10:11], s[4:5], v[10:11]
	v_cmp_gt_i64_e32 vcc_lo, s[6:7], v[10:11]
	s_wait_dscnt 0x0
	v_pk_add_f32 v[2:3], v[2:3], v[4:5]
	s_and_b32 s14, s1, vcc_lo
	ds_bpermute_b32 v5, v8, v3
	ds_bpermute_b32 v4, v8, v2
	s_wait_dscnt 0x0
	v_pk_add_f32 v[2:3], v[2:3], v[4:5]
	ds_bpermute_b32 v5, v9, v3
	ds_bpermute_b32 v4, v9, v2
	s_wait_dscnt 0x0
	v_pk_add_f32 v[2:3], v[2:3], v[4:5]
	s_and_saveexec_b32 s13, s14
	s_cbranch_execz .LBB88_97
; %bb.93:
	s_and_not1_b32 vcc_lo, exec_lo, s12
	s_cbranch_vccnz .LBB88_95
; %bb.94:
	v_add_nc_u64_e32 v[4:5], s[4:5], v[0:1]
	v_cvt_f16_f32_e32 v10, v3
	s_delay_alu instid0(VALU_DEP_2)
	v_lshl_add_u64 v[4:5], v[4:5], 1, s[8:9]
	global_store_b16 v[4:5], v10, off offset:16
.LBB88_95:
	s_and_not1_b32 vcc_lo, exec_lo, s3
	s_cbranch_vccnz .LBB88_97
; %bb.96:
	s_wait_xcnt 0x0
	v_add_nc_u64_e32 v[4:5], s[4:5], v[0:1]
	v_cvt_f16_f32_e32 v10, v2
	s_delay_alu instid0(VALU_DEP_2)
	v_lshl_add_u64 v[4:5], v[4:5], 1, s[10:11]
	global_store_b16 v[4:5], v10, off offset:16
.LBB88_97:
	s_wait_xcnt 0x0
	s_or_b32 exec_lo, exec_lo, s13
	v_cmp_gt_u32_e32 vcc_lo, 16, v0
	s_and_b32 exec_lo, exec_lo, vcc_lo
	s_cbranch_execz .LBB88_113
; %bb.98:
	s_and_saveexec_b32 s13, s2
	s_delay_alu instid0(SALU_CYCLE_1) | instskip(NEXT) | instid1(SALU_CYCLE_1)
	s_xor_b32 s2, exec_lo, s13
	s_and_not1_saveexec_b32 s2, s2
	s_cbranch_execz .LBB88_100
; %bb.99:
	v_add_nc_u32_e32 v2, v0, v6
	s_delay_alu instid0(VALU_DEP_1)
	v_lshl_add_u32 v2, v2, 2, 0
	ds_load_b32 v3, v2 offset:64
	ds_load_b32 v2, v2 offset:1120
.LBB88_100:
	s_or_b32 exec_lo, exec_lo, s2
	s_wait_dscnt 0x1
	ds_bpermute_b32 v5, v7, v3
	s_wait_dscnt 0x1
	ds_bpermute_b32 v4, v7, v2
	v_dual_mov_b32 v11, s5 :: v_dual_add_nc_u32 v10, 16, v0
	s_delay_alu instid0(VALU_DEP_1) | instskip(NEXT) | instid1(VALU_DEP_1)
	v_or_b32_e32 v10, s4, v10
	v_cmp_gt_i64_e32 vcc_lo, s[6:7], v[10:11]
	s_and_b32 s13, s1, vcc_lo
	s_wait_dscnt 0x0
	v_pk_add_f32 v[2:3], v[2:3], v[4:5]
	ds_bpermute_b32 v5, v8, v3
	ds_bpermute_b32 v4, v8, v2
	s_wait_dscnt 0x0
	v_pk_add_f32 v[2:3], v[2:3], v[4:5]
	ds_bpermute_b32 v5, v9, v3
	ds_bpermute_b32 v4, v9, v2
	s_wait_dscnt 0x0
	v_pk_add_f32 v[2:3], v[2:3], v[4:5]
	s_and_saveexec_b32 s2, s13
	s_cbranch_execz .LBB88_105
; %bb.101:
	s_and_not1_b32 vcc_lo, exec_lo, s12
	s_cbranch_vccnz .LBB88_103
; %bb.102:
	v_add_nc_u64_e32 v[4:5], s[4:5], v[0:1]
	v_cvt_f16_f32_e32 v10, v3
	s_delay_alu instid0(VALU_DEP_2)
	v_lshl_add_u64 v[4:5], v[4:5], 1, s[8:9]
	global_store_b16 v[4:5], v10, off offset:32
.LBB88_103:
	s_and_not1_b32 vcc_lo, exec_lo, s3
	s_cbranch_vccnz .LBB88_105
; %bb.104:
	s_wait_xcnt 0x0
	v_add_nc_u64_e32 v[4:5], s[4:5], v[0:1]
	v_cvt_f16_f32_e32 v10, v2
	s_delay_alu instid0(VALU_DEP_2)
	v_lshl_add_u64 v[4:5], v[4:5], 1, s[10:11]
	global_store_b16 v[4:5], v10, off offset:32
.LBB88_105:
	s_wait_xcnt 0x0
	s_or_b32 exec_lo, exec_lo, s2
	v_cmp_gt_u32_e32 vcc_lo, 8, v0
	s_and_b32 exec_lo, exec_lo, vcc_lo
	s_cbranch_execz .LBB88_113
; %bb.106:
	s_and_saveexec_b32 s2, s0
	s_cbranch_execz .LBB88_108
; %bb.107:
	v_add_nc_u32_e32 v2, v0, v6
	s_delay_alu instid0(VALU_DEP_1)
	v_lshl_add_u32 v2, v2, 2, 0
	ds_load_b32 v3, v2 offset:96
	ds_load_b32 v2, v2 offset:1152
.LBB88_108:
	s_or_b32 exec_lo, exec_lo, s2
	s_wait_dscnt 0x1
	ds_bpermute_b32 v4, v7, v3
	s_wait_dscnt 0x1
	ds_bpermute_b32 v5, v7, v2
	v_dual_mov_b32 v7, s5 :: v_dual_add_nc_u32 v6, 24, v0
	s_delay_alu instid0(VALU_DEP_1) | instskip(NEXT) | instid1(VALU_DEP_1)
	v_or_b32_e32 v6, s4, v6
	v_cmp_gt_i64_e32 vcc_lo, s[6:7], v[6:7]
	s_and_b32 s0, s1, vcc_lo
	s_wait_dscnt 0x0
	v_dual_add_f32 v3, v3, v4 :: v_dual_add_f32 v2, v2, v5
	ds_bpermute_b32 v4, v8, v3
	ds_bpermute_b32 v5, v8, v2
	s_wait_dscnt 0x0
	v_dual_add_f32 v4, v3, v4 :: v_dual_add_f32 v2, v2, v5
	ds_bpermute_b32 v5, v9, v4
	ds_bpermute_b32 v3, v9, v2
	s_and_b32 exec_lo, exec_lo, s0
	s_cbranch_execz .LBB88_113
; %bb.109:
	v_add_nc_u64_e32 v[0:1], s[4:5], v[0:1]
	s_and_not1_b32 vcc_lo, exec_lo, s12
	s_cbranch_vccnz .LBB88_111
; %bb.110:
	s_wait_dscnt 0x1
	v_add_f32_e32 v6, v4, v5
	s_delay_alu instid0(VALU_DEP_2) | instskip(NEXT) | instid1(VALU_DEP_2)
	v_lshl_add_u64 v[4:5], v[0:1], 1, s[8:9]
	v_cvt_f16_f32_e32 v6, v6
	global_store_b16 v[4:5], v6, off offset:48
.LBB88_111:
	s_and_not1_b32 vcc_lo, exec_lo, s3
	s_cbranch_vccnz .LBB88_113
; %bb.112:
	s_wait_dscnt 0x0
	v_add_f32_e32 v2, v2, v3
	v_lshl_add_u64 v[0:1], v[0:1], 1, s[10:11]
	s_delay_alu instid0(VALU_DEP_2)
	v_cvt_f16_f32_e32 v2, v2
	global_store_b16 v[0:1], v2, off offset:48
.LBB88_113:
	s_sendmsg sendmsg(MSG_DEALLOC_VGPRS)
	s_endpgm
	.section	.rodata,"a",@progbits
	.p2align	6, 0x0
	.amdhsa_kernel _ZN2at6native12_GLOBAL__N_135GammaBetaBackwardCUDAKernelTemplateIN3c104HalfEfLj32ELj8ELj64ELb0ELb0ELb0EEEvllPKT_S7_PKT0_SA_PS5_SB_
		.amdhsa_group_segment_fixed_size 0
		.amdhsa_private_segment_fixed_size 0
		.amdhsa_kernarg_size 320
		.amdhsa_user_sgpr_count 2
		.amdhsa_user_sgpr_dispatch_ptr 0
		.amdhsa_user_sgpr_queue_ptr 0
		.amdhsa_user_sgpr_kernarg_segment_ptr 1
		.amdhsa_user_sgpr_dispatch_id 0
		.amdhsa_user_sgpr_kernarg_preload_length 0
		.amdhsa_user_sgpr_kernarg_preload_offset 0
		.amdhsa_user_sgpr_private_segment_size 0
		.amdhsa_wavefront_size32 1
		.amdhsa_uses_dynamic_stack 0
		.amdhsa_enable_private_segment 0
		.amdhsa_system_sgpr_workgroup_id_x 1
		.amdhsa_system_sgpr_workgroup_id_y 1
		.amdhsa_system_sgpr_workgroup_id_z 0
		.amdhsa_system_sgpr_workgroup_info 0
		.amdhsa_system_vgpr_workitem_id 1
		.amdhsa_next_free_vgpr 106
		.amdhsa_next_free_sgpr 52
		.amdhsa_named_barrier_count 0
		.amdhsa_reserve_vcc 1
		.amdhsa_float_round_mode_32 0
		.amdhsa_float_round_mode_16_64 0
		.amdhsa_float_denorm_mode_32 3
		.amdhsa_float_denorm_mode_16_64 3
		.amdhsa_fp16_overflow 0
		.amdhsa_memory_ordered 1
		.amdhsa_forward_progress 1
		.amdhsa_inst_pref_size 60
		.amdhsa_round_robin_scheduling 0
		.amdhsa_exception_fp_ieee_invalid_op 0
		.amdhsa_exception_fp_denorm_src 0
		.amdhsa_exception_fp_ieee_div_zero 0
		.amdhsa_exception_fp_ieee_overflow 0
		.amdhsa_exception_fp_ieee_underflow 0
		.amdhsa_exception_fp_ieee_inexact 0
		.amdhsa_exception_int_div_zero 0
	.end_amdhsa_kernel
	.section	.text._ZN2at6native12_GLOBAL__N_135GammaBetaBackwardCUDAKernelTemplateIN3c104HalfEfLj32ELj8ELj64ELb0ELb0ELb0EEEvllPKT_S7_PKT0_SA_PS5_SB_,"axG",@progbits,_ZN2at6native12_GLOBAL__N_135GammaBetaBackwardCUDAKernelTemplateIN3c104HalfEfLj32ELj8ELj64ELb0ELb0ELb0EEEvllPKT_S7_PKT0_SA_PS5_SB_,comdat
.Lfunc_end88:
	.size	_ZN2at6native12_GLOBAL__N_135GammaBetaBackwardCUDAKernelTemplateIN3c104HalfEfLj32ELj8ELj64ELb0ELb0ELb0EEEvllPKT_S7_PKT0_SA_PS5_SB_, .Lfunc_end88-_ZN2at6native12_GLOBAL__N_135GammaBetaBackwardCUDAKernelTemplateIN3c104HalfEfLj32ELj8ELj64ELb0ELb0ELb0EEEvllPKT_S7_PKT0_SA_PS5_SB_
                                        ; -- End function
	.set _ZN2at6native12_GLOBAL__N_135GammaBetaBackwardCUDAKernelTemplateIN3c104HalfEfLj32ELj8ELj64ELb0ELb0ELb0EEEvllPKT_S7_PKT0_SA_PS5_SB_.num_vgpr, 106
	.set _ZN2at6native12_GLOBAL__N_135GammaBetaBackwardCUDAKernelTemplateIN3c104HalfEfLj32ELj8ELj64ELb0ELb0ELb0EEEvllPKT_S7_PKT0_SA_PS5_SB_.num_agpr, 0
	.set _ZN2at6native12_GLOBAL__N_135GammaBetaBackwardCUDAKernelTemplateIN3c104HalfEfLj32ELj8ELj64ELb0ELb0ELb0EEEvllPKT_S7_PKT0_SA_PS5_SB_.numbered_sgpr, 52
	.set _ZN2at6native12_GLOBAL__N_135GammaBetaBackwardCUDAKernelTemplateIN3c104HalfEfLj32ELj8ELj64ELb0ELb0ELb0EEEvllPKT_S7_PKT0_SA_PS5_SB_.num_named_barrier, 0
	.set _ZN2at6native12_GLOBAL__N_135GammaBetaBackwardCUDAKernelTemplateIN3c104HalfEfLj32ELj8ELj64ELb0ELb0ELb0EEEvllPKT_S7_PKT0_SA_PS5_SB_.private_seg_size, 0
	.set _ZN2at6native12_GLOBAL__N_135GammaBetaBackwardCUDAKernelTemplateIN3c104HalfEfLj32ELj8ELj64ELb0ELb0ELb0EEEvllPKT_S7_PKT0_SA_PS5_SB_.uses_vcc, 1
	.set _ZN2at6native12_GLOBAL__N_135GammaBetaBackwardCUDAKernelTemplateIN3c104HalfEfLj32ELj8ELj64ELb0ELb0ELb0EEEvllPKT_S7_PKT0_SA_PS5_SB_.uses_flat_scratch, 0
	.set _ZN2at6native12_GLOBAL__N_135GammaBetaBackwardCUDAKernelTemplateIN3c104HalfEfLj32ELj8ELj64ELb0ELb0ELb0EEEvllPKT_S7_PKT0_SA_PS5_SB_.has_dyn_sized_stack, 0
	.set _ZN2at6native12_GLOBAL__N_135GammaBetaBackwardCUDAKernelTemplateIN3c104HalfEfLj32ELj8ELj64ELb0ELb0ELb0EEEvllPKT_S7_PKT0_SA_PS5_SB_.has_recursion, 0
	.set _ZN2at6native12_GLOBAL__N_135GammaBetaBackwardCUDAKernelTemplateIN3c104HalfEfLj32ELj8ELj64ELb0ELb0ELb0EEEvllPKT_S7_PKT0_SA_PS5_SB_.has_indirect_call, 0
	.section	.AMDGPU.csdata,"",@progbits
; Kernel info:
; codeLenInByte = 7680
; TotalNumSgprs: 54
; NumVgprs: 106
; ScratchSize: 0
; MemoryBound: 0
; FloatMode: 240
; IeeeMode: 1
; LDSByteSize: 0 bytes/workgroup (compile time only)
; SGPRBlocks: 0
; VGPRBlocks: 6
; NumSGPRsForWavesPerEU: 54
; NumVGPRsForWavesPerEU: 106
; NamedBarCnt: 0
; Occupancy: 9
; WaveLimiterHint : 0
; COMPUTE_PGM_RSRC2:SCRATCH_EN: 0
; COMPUTE_PGM_RSRC2:USER_SGPR: 2
; COMPUTE_PGM_RSRC2:TRAP_HANDLER: 0
; COMPUTE_PGM_RSRC2:TGID_X_EN: 1
; COMPUTE_PGM_RSRC2:TGID_Y_EN: 1
; COMPUTE_PGM_RSRC2:TGID_Z_EN: 0
; COMPUTE_PGM_RSRC2:TIDIG_COMP_CNT: 1
	.section	.text._ZN2at6native12_GLOBAL__N_135GammaBetaBackwardCUDAKernelTemplateIN3c104HalfEfLj32ELj16ELj128ELb0ELb1ELb0EEEvllPKT_S7_PKT0_SA_PS5_SB_,"axG",@progbits,_ZN2at6native12_GLOBAL__N_135GammaBetaBackwardCUDAKernelTemplateIN3c104HalfEfLj32ELj16ELj128ELb0ELb1ELb0EEEvllPKT_S7_PKT0_SA_PS5_SB_,comdat
	.globl	_ZN2at6native12_GLOBAL__N_135GammaBetaBackwardCUDAKernelTemplateIN3c104HalfEfLj32ELj16ELj128ELb0ELb1ELb0EEEvllPKT_S7_PKT0_SA_PS5_SB_ ; -- Begin function _ZN2at6native12_GLOBAL__N_135GammaBetaBackwardCUDAKernelTemplateIN3c104HalfEfLj32ELj16ELj128ELb0ELb1ELb0EEEvllPKT_S7_PKT0_SA_PS5_SB_
	.p2align	8
	.type	_ZN2at6native12_GLOBAL__N_135GammaBetaBackwardCUDAKernelTemplateIN3c104HalfEfLj32ELj16ELj128ELb0ELb1ELb0EEEvllPKT_S7_PKT0_SA_PS5_SB_,@function
_ZN2at6native12_GLOBAL__N_135GammaBetaBackwardCUDAKernelTemplateIN3c104HalfEfLj32ELj16ELj128ELb0ELb1ELb0EEEvllPKT_S7_PKT0_SA_PS5_SB_: ; @_ZN2at6native12_GLOBAL__N_135GammaBetaBackwardCUDAKernelTemplateIN3c104HalfEfLj32ELj16ELj128ELb0ELb1ELb0EEEvllPKT_S7_PKT0_SA_PS5_SB_
; %bb.0:
	s_load_b128 s[12:15], s[0:1], 0x0
	s_bfe_u32 s2, ttmp6, 0x40010
	s_bfe_u32 s4, ttmp6, 0x40004
	s_add_co_i32 s2, s2, 1
	s_getreg_b32 s3, hwreg(HW_REG_IB_STS2, 6, 4)
	s_mul_i32 s2, ttmp7, s2
	s_mov_b32 s17, 0
	s_add_co_i32 s4, s4, s2
	s_cmp_eq_u32 s3, 0
	v_bfe_u32 v11, v0, 10, 10
	s_cselect_b32 s2, ttmp7, s4
	s_delay_alu instid0(SALU_CYCLE_1)
	s_lshl_b32 s16, s2, 7
	s_wait_kmcnt 0x0
	v_cmp_gt_i64_e64 s2, s[12:13], s[16:17]
	s_and_b32 vcc_lo, exec_lo, s2
	s_cbranch_vccnz .LBB89_2
; %bb.1:
	v_bfe_u32 v1, v0, 10, 10
	s_mov_b32 s2, s17
	s_branch .LBB89_3
.LBB89_2:
	s_mov_b32 s2, -1
                                        ; implicit-def: $vgpr1
.LBB89_3:
	v_mov_b32_e32 v9, 0
	v_and_b32_e32 v10, 0x3ff, v0
	s_and_not1_b32 vcc_lo, exec_lo, s2
	s_delay_alu instid0(VALU_DEP_2)
	v_mov_b32_e32 v8, v9
	s_cbranch_vccnz .LBB89_11
; %bb.4:
	v_dual_mov_b32 v1, 0 :: v_dual_lshlrev_b32 v0, 3, v11
	s_load_b32 s2, s[0:1], 0x4c
	s_bfe_u32 s21, ttmp6, 0x4000c
	s_clause 0x1
	s_load_b32 s18, s[0:1], 0x44
	s_load_b256 s[4:11], s[0:1], 0x10
	s_add_co_i32 s21, s21, 1
	v_add_nc_u64_e32 v[2:3], s[16:17], v[0:1]
	s_and_b32 s20, ttmp6, 15
	s_mul_i32 s21, ttmp9, s21
	v_dual_mov_b32 v13, 12 :: v_dual_mov_b32 v5, v1
	s_add_co_i32 s20, s20, s21
	s_mov_b32 s19, 0
	s_delay_alu instid0(VALU_DEP_2)
	v_mul_u64_e32 v[6:7], s[14:15], v[2:3]
	v_dual_mov_b32 v0, 8 :: v_dual_mov_b32 v12, 4
	v_dual_mov_b32 v14, 16 :: v_dual_mov_b32 v15, 20
	;; [unrolled: 1-line block ×3, first 2 shown]
	s_wait_kmcnt 0x0
	s_and_b32 s2, s2, 0xffff
	s_cmp_eq_u32 s3, 0
	v_mad_u32_u24 v4, v11, s2, v10
	v_mov_b32_e32 v9, v1
	s_cselect_b32 s2, ttmp9, s20
	s_lshl_b32 s18, s18, 7
	v_lshl_add_u32 v8, s2, 5, v10
	v_and_b32_e32 v4, 31, v4
	s_mul_u64 s[22:23], s[14:15], s[18:19]
	s_lshl_b64 s[20:21], s[18:19], 2
	s_lshl_b64 s[22:23], s[22:23], 1
	v_lshlrev_b64_e32 v[18:19], 1, v[8:9]
	v_add_nc_u64_e32 v[2:3], v[2:3], v[4:5]
	v_cmp_gt_u32_e64 s2, 8, v4
	v_mov_b32_e32 v8, 0
	s_lshl_b64 s[14:15], s[14:15], 1
	v_lshlrev_b64_e32 v[4:5], 2, v[2:3]
	v_lshl_add_u64 v[6:7], v[6:7], 1, v[18:19]
	s_branch .LBB89_7
.LBB89_5:                               ;   in Loop: Header=BB89_7 Depth=1
	s_wait_xcnt 0x0
	s_or_b32 exec_lo, exec_lo, s25
.LBB89_6:                               ;   in Loop: Header=BB89_7 Depth=1
	s_delay_alu instid0(SALU_CYCLE_1)
	s_or_b32 exec_lo, exec_lo, s24
	v_add_nc_u64_e32 v[20:21], s[6:7], v[6:7]
	v_add_nc_u64_e32 v[22:23], s[4:5], v[6:7]
	s_wait_loadcnt 0x1
	ds_bpermute_b32 v43, v0, v19
	ds_bpermute_b32 v45, v13, v19
	s_wait_loadcnt 0x0
	ds_bpermute_b32 v42, v0, v18
	ds_bpermute_b32 v46, v14, v19
	;; [unrolled: 1-line block ×3, first 2 shown]
	v_add_nc_u64_e32 v[24:25], s[14:15], v[20:21]
	v_add_nc_u64_e32 v[26:27], s[14:15], v[22:23]
	global_load_u16 v28, v[20:21], off
	global_load_u16 v29, v[22:23], off
	ds_bpermute_b32 v47, v15, v18
	ds_bpermute_b32 v48, v16, v18
	s_add_nc_u64 s[16:17], s[16:17], s[18:19]
	s_wait_xcnt 0x1
	v_add_nc_u64_e32 v[20:21], s[14:15], v[24:25]
	s_wait_xcnt 0x0
	v_add_nc_u64_e32 v[22:23], s[14:15], v[26:27]
	global_load_u16 v30, v[24:25], off
	global_load_u16 v31, v[26:27], off
	v_cmp_lt_i64_e64 s24, s[16:17], s[12:13]
	v_add_nc_u64_e32 v[4:5], s[20:21], v[4:5]
	v_add_nc_u64_e32 v[2:3], s[18:19], v[2:3]
	;; [unrolled: 1-line block ×3, first 2 shown]
	s_wait_xcnt 0x1
	v_add_nc_u64_e32 v[24:25], s[14:15], v[20:21]
	s_wait_xcnt 0x0
	v_add_nc_u64_e32 v[26:27], s[14:15], v[22:23]
	global_load_u16 v32, v[20:21], off
	global_load_u16 v33, v[22:23], off
	s_and_b32 vcc_lo, exec_lo, s24
	global_load_u16 v34, v[24:25], off
	global_load_u16 v35, v[26:27], off
	s_wait_xcnt 0x3
	v_add_nc_u64_e32 v[20:21], s[14:15], v[24:25]
	s_wait_xcnt 0x2
	v_add_nc_u64_e32 v[22:23], s[14:15], v[26:27]
	s_wait_xcnt 0x1
	s_delay_alu instid0(VALU_DEP_2)
	v_add_nc_u64_e32 v[24:25], s[14:15], v[20:21]
	global_load_u16 v26, v[20:21], off
	s_wait_xcnt 0x0
	v_add_nc_u64_e32 v[20:21], s[14:15], v[22:23]
	global_load_u16 v27, v[22:23], off
	global_load_u16 v36, v[24:25], off
	;; [unrolled: 1-line block ×3, first 2 shown]
	s_wait_xcnt 0x2
	v_add_nc_u64_e32 v[22:23], s[14:15], v[24:25]
	global_load_u16 v38, v[22:23], off
	s_wait_xcnt 0x2
	v_add_nc_u64_e32 v[24:25], s[14:15], v[20:21]
	s_wait_xcnt 0x1
	v_add_nc_u64_e32 v[20:21], s[14:15], v[22:23]
	s_wait_xcnt 0x0
	s_delay_alu instid0(VALU_DEP_2)
	v_add_nc_u64_e32 v[22:23], s[14:15], v[24:25]
	global_load_u16 v39, v[24:25], off
	global_load_u16 v40, v[20:21], off
	;; [unrolled: 1-line block ×3, first 2 shown]
	s_wait_xcnt 0x1
	ds_bpermute_b32 v21, v1, v19
	s_wait_xcnt 0x0
	ds_bpermute_b32 v23, v12, v19
	ds_bpermute_b32 v24, v1, v18
	;; [unrolled: 1-line block ×3, first 2 shown]
	s_wait_loadcnt 0xf
	v_cvt_f32_f16_e32 v22, v28
	s_wait_loadcnt 0xe
	v_cvt_f32_f16_e32 v20, v29
	ds_bpermute_b32 v28, v14, v18
	s_wait_loadcnt 0xd
	v_cvt_f32_f16_e32 v29, v30
	s_wait_dscnt 0x4
	v_sub_f32_e32 v21, v22, v21
	ds_bpermute_b32 v30, v15, v19
	s_wait_loadcnt 0xc
	v_cvt_f32_f16_e32 v22, v31
	s_wait_dscnt 0x4
	v_sub_f32_e32 v23, v29, v23
	v_mul_f32_e32 v21, v21, v20
	ds_bpermute_b32 v29, v16, v19
	s_wait_loadcnt 0xb
	v_cvt_f32_f16_e32 v31, v32
	ds_bpermute_b32 v32, v17, v19
	s_wait_dscnt 0x5
	v_dual_mul_f32 v19, v23, v22 :: v_dual_mul_f32 v21, v21, v24
	s_wait_loadcnt 0xa
	v_cvt_f32_f16_e32 v24, v33
	v_sub_f32_e32 v31, v31, v43
	s_wait_loadcnt 0x9
	v_cvt_f32_f16_e32 v33, v34
	s_wait_dscnt 0x4
	v_mul_f32_e32 v23, v19, v25
	v_pk_add_f32 v[8:9], v[8:9], v[20:21]
	s_wait_loadcnt 0x8
	v_cvt_f32_f16_e32 v20, v35
	v_dual_mul_f32 v19, v31, v24 :: v_dual_sub_f32 v21, v33, v45
	s_wait_loadcnt 0x7
	v_cvt_f32_f16_e32 v26, v26
	s_delay_alu instid0(VALU_DEP_2)
	v_mul_f32_e32 v25, v19, v42
	v_pk_add_f32 v[8:9], v[8:9], v[22:23]
	s_wait_loadcnt 0x6
	v_cvt_f32_f16_e32 v22, v27
	v_dual_mul_f32 v19, v21, v20 :: v_dual_sub_f32 v23, v26, v46
	s_wait_loadcnt 0x5
	v_cvt_f32_f16_e32 v27, v36
	ds_bpermute_b32 v26, v17, v18
	v_pk_add_f32 v[8:9], v[8:9], v[24:25]
	s_wait_loadcnt 0x4
	v_cvt_f32_f16_e32 v18, v37
	s_wait_dscnt 0x3
	v_sub_f32_e32 v24, v27, v30
	v_mul_f32_e32 v21, v19, v44
	s_wait_loadcnt 0x3
	v_cvt_f32_f16_e32 v25, v38
	v_mul_f32_e32 v19, v23, v22
	s_delay_alu instid0(VALU_DEP_1)
	v_dual_mul_f32 v23, v19, v28 :: v_dual_mul_f32 v19, v24, v18
	v_pk_add_f32 v[8:9], v[8:9], v[20:21]
	s_wait_dscnt 0x2
	v_sub_f32_e32 v21, v25, v29
	s_wait_loadcnt 0x2
	v_cvt_f32_f16_e32 v20, v39
	s_wait_loadcnt 0x1
	v_cvt_f32_f16_e32 v24, v40
	v_mul_f32_e32 v19, v19, v47
	v_pk_add_f32 v[8:9], v[8:9], v[22:23]
	s_wait_loadcnt 0x0
	v_cvt_f32_f16_e32 v22, v41
	v_mul_f32_e32 v21, v21, v20
	s_wait_dscnt 0x1
	v_sub_f32_e32 v23, v24, v32
	v_pk_add_f32 v[8:9], v[8:9], v[18:19]
	s_delay_alu instid0(VALU_DEP_2) | instskip(NEXT) | instid1(VALU_DEP_1)
	v_dual_mul_f32 v21, v21, v48 :: v_dual_mul_f32 v18, v23, v22
	v_pk_add_f32 v[8:9], v[8:9], v[20:21]
	s_wait_dscnt 0x0
	s_delay_alu instid0(VALU_DEP_2) | instskip(NEXT) | instid1(VALU_DEP_1)
	v_mul_f32_e32 v23, v18, v26
	v_pk_add_f32 v[8:9], v[8:9], v[22:23]
	s_cbranch_vccz .LBB89_10
.LBB89_7:                               ; =>This Inner Loop Header: Depth=1
	v_dual_mov_b32 v18, 0 :: v_dual_mov_b32 v19, 0
	s_and_saveexec_b32 s24, s2
	s_cbranch_execz .LBB89_6
; %bb.8:                                ;   in Loop: Header=BB89_7 Depth=1
	v_dual_mov_b32 v19, 0 :: v_dual_mov_b32 v18, 0
	s_mov_b32 s25, exec_lo
	v_cmpx_gt_i64_e64 s[12:13], v[2:3]
	s_cbranch_execz .LBB89_5
; %bb.9:                                ;   in Loop: Header=BB89_7 Depth=1
	v_add_nc_u64_e32 v[20:21], s[8:9], v[4:5]
	v_add_nc_u64_e32 v[22:23], s[10:11], v[4:5]
	global_load_b32 v19, v[20:21], off
	global_load_b32 v18, v[22:23], off
	s_branch .LBB89_5
.LBB89_10:
	v_mov_b32_e32 v1, v11
.LBB89_11:
	s_load_b128 s[4:7], s[0:1], 0x30
	s_delay_alu instid0(VALU_DEP_1) | instskip(SKIP_3) | instid1(VALU_DEP_2)
	v_mad_u32_u24 v0, v1, 33, v10
	v_lshrrev_b32_e32 v2, 5, v10
	s_wait_xcnt 0x0
	s_mov_b32 s0, exec_lo
	v_lshl_add_u32 v3, v0, 2, 0
	s_delay_alu instid0(VALU_DEP_2)
	v_add_nc_u32_e32 v0, v2, v1
	ds_store_b32 v3, v9
	ds_store_b32 v3, v8 offset:2112
	s_wait_dscnt 0x0
	s_barrier_signal -1
	s_barrier_wait -1
	v_cmpx_gt_u32_e32 32, v0
	s_cbranch_execz .LBB89_27
; %bb.12:
	v_and_b32_e32 v1, 31, v10
                                        ; implicit-def: $vgpr2
	s_delay_alu instid0(VALU_DEP_1)
	v_cmp_gt_u32_e64 s0, 16, v1
	v_mul_u32_u24_e32 v6, 33, v1
	s_and_saveexec_b32 s1, s0
	s_cbranch_execz .LBB89_14
; %bb.13:
	s_delay_alu instid0(VALU_DEP_1) | instskip(NEXT) | instid1(VALU_DEP_1)
	v_add_nc_u32_e32 v1, v0, v6
	v_lshl_add_u32 v1, v1, 2, 0
	ds_load_b32 v3, v1
	ds_load_b32 v2, v1 offset:2112
.LBB89_14:
	s_or_b32 exec_lo, exec_lo, s1
	v_mbcnt_lo_u32_b32 v1, -1, 0
	s_bfe_u32 s1, ttmp6, 0x4000c
	s_and_b32 s2, ttmp6, 15
	s_add_co_i32 s1, s1, 1
	s_delay_alu instid0(SALU_CYCLE_1)
	s_mul_i32 s1, ttmp9, s1
	v_xor_b32_e32 v11, 1, v1
	v_xor_b32_e32 v8, 4, v1
	;; [unrolled: 1-line block ×3, first 2 shown]
	s_add_co_i32 s2, s2, s1
	s_cmp_eq_u32 s3, 0
	s_mov_b32 s3, 0
	s_cselect_b32 s2, ttmp9, s2
	v_cmp_gt_i32_e32 vcc_lo, 32, v4
	s_lshl_b64 s[2:3], s[2:3], 5
	v_xor_b32_e32 v9, 2, v1
	s_wait_kmcnt 0x0
	s_cmp_lg_u64 s[4:5], 0
	v_cmp_eq_u32_e64 s1, 0, v10
	v_cndmask_b32_e32 v4, v1, v4, vcc_lo
	v_cmp_gt_i32_e32 vcc_lo, 32, v8
	s_cselect_b32 s9, -1, 0
	s_cmp_lg_u64 s[6:7], 0
	s_cselect_b32 s8, -1, 0
	v_cndmask_b32_e32 v8, v1, v8, vcc_lo
	v_cmp_gt_i32_e32 vcc_lo, 32, v9
	v_dual_lshlrev_b32 v7, 2, v4 :: v_dual_cndmask_b32 v9, v1, v9, vcc_lo
	s_wait_dscnt 0x1
	ds_bpermute_b32 v5, v7, v3
	s_wait_dscnt 0x1
	ds_bpermute_b32 v4, v7, v2
	v_lshlrev_b32_e32 v8, 2, v8
	v_cmp_gt_i32_e32 vcc_lo, 32, v11
	v_dual_lshlrev_b32 v9, 2, v9 :: v_dual_cndmask_b32 v1, v1, v11, vcc_lo
	s_delay_alu instid0(VALU_DEP_1)
	v_dual_lshlrev_b32 v11, 2, v1 :: v_dual_mov_b32 v1, 0
	s_wait_dscnt 0x0
	v_pk_add_f32 v[2:3], v[2:3], v[4:5]
	ds_bpermute_b32 v5, v8, v3
	ds_bpermute_b32 v4, v8, v2
	s_wait_dscnt 0x0
	v_pk_add_f32 v[2:3], v[2:3], v[4:5]
	ds_bpermute_b32 v5, v9, v3
	ds_bpermute_b32 v4, v9, v2
	;; [unrolled: 4-line block ×3, first 2 shown]
	s_wait_dscnt 0x0
	v_pk_add_f32 v[2:3], v[2:3], v[4:5]
	s_and_saveexec_b32 s10, s1
	s_cbranch_execz .LBB89_19
; %bb.15:
	v_dual_mov_b32 v5, s3 :: v_dual_bitop2_b32 v4, s2, v0 bitop3:0x54
	s_and_not1_b32 vcc_lo, exec_lo, s9
	s_cbranch_vccnz .LBB89_17
; %bb.16:
	s_delay_alu instid0(VALU_DEP_1)
	v_lshl_add_u64 v[12:13], v[4:5], 1, s[4:5]
	v_cvt_f16_f32_e32 v10, v3
	global_store_b16 v[12:13], v10, off
.LBB89_17:
	s_and_not1_b32 vcc_lo, exec_lo, s8
	s_cbranch_vccnz .LBB89_19
; %bb.18:
	v_lshl_add_u64 v[4:5], v[4:5], 1, s[6:7]
	s_wait_xcnt 0x0
	v_cvt_f16_f32_e32 v10, v2
	global_store_b16 v[4:5], v10, off
.LBB89_19:
	s_wait_xcnt 0x0
	s_or_b32 exec_lo, exec_lo, s10
	v_cmp_gt_u32_e32 vcc_lo, 16, v0
	s_and_b32 exec_lo, exec_lo, vcc_lo
	s_cbranch_execz .LBB89_27
; %bb.20:
	s_and_saveexec_b32 s10, s0
	s_cbranch_execz .LBB89_22
; %bb.21:
	v_add_nc_u32_e32 v2, v0, v6
	s_delay_alu instid0(VALU_DEP_1)
	v_lshl_add_u32 v2, v2, 2, 0
	ds_load_b32 v3, v2 offset:64
	ds_load_b32 v2, v2 offset:2176
.LBB89_22:
	s_or_b32 exec_lo, exec_lo, s10
	s_wait_dscnt 0x1
	ds_bpermute_b32 v4, v7, v3
	s_wait_dscnt 0x1
	ds_bpermute_b32 v5, v7, v2
	s_wait_dscnt 0x0
	v_dual_add_f32 v3, v3, v4 :: v_dual_add_f32 v2, v2, v5
	ds_bpermute_b32 v4, v8, v3
	ds_bpermute_b32 v5, v8, v2
	s_wait_dscnt 0x0
	v_dual_add_f32 v3, v3, v4 :: v_dual_add_f32 v2, v2, v5
	ds_bpermute_b32 v4, v9, v3
	;; [unrolled: 4-line block ×3, first 2 shown]
	ds_bpermute_b32 v3, v11, v2
	s_and_b32 exec_lo, exec_lo, s1
	s_cbranch_execz .LBB89_27
; %bb.23:
	v_add_nc_u64_e32 v[0:1], s[2:3], v[0:1]
	s_and_not1_b32 vcc_lo, exec_lo, s9
	s_cbranch_vccnz .LBB89_25
; %bb.24:
	s_wait_dscnt 0x1
	v_add_f32_e32 v6, v4, v5
	s_delay_alu instid0(VALU_DEP_2) | instskip(NEXT) | instid1(VALU_DEP_2)
	v_lshl_add_u64 v[4:5], v[0:1], 1, s[4:5]
	v_cvt_f16_f32_e32 v6, v6
	global_store_b16 v[4:5], v6, off offset:32
.LBB89_25:
	s_and_not1_b32 vcc_lo, exec_lo, s8
	s_cbranch_vccnz .LBB89_27
; %bb.26:
	s_wait_dscnt 0x0
	v_add_f32_e32 v2, v2, v3
	v_lshl_add_u64 v[0:1], v[0:1], 1, s[6:7]
	s_delay_alu instid0(VALU_DEP_2)
	v_cvt_f16_f32_e32 v2, v2
	global_store_b16 v[0:1], v2, off offset:32
.LBB89_27:
	s_endpgm
	.section	.rodata,"a",@progbits
	.p2align	6, 0x0
	.amdhsa_kernel _ZN2at6native12_GLOBAL__N_135GammaBetaBackwardCUDAKernelTemplateIN3c104HalfEfLj32ELj16ELj128ELb0ELb1ELb0EEEvllPKT_S7_PKT0_SA_PS5_SB_
		.amdhsa_group_segment_fixed_size 0
		.amdhsa_private_segment_fixed_size 0
		.amdhsa_kernarg_size 320
		.amdhsa_user_sgpr_count 2
		.amdhsa_user_sgpr_dispatch_ptr 0
		.amdhsa_user_sgpr_queue_ptr 0
		.amdhsa_user_sgpr_kernarg_segment_ptr 1
		.amdhsa_user_sgpr_dispatch_id 0
		.amdhsa_user_sgpr_kernarg_preload_length 0
		.amdhsa_user_sgpr_kernarg_preload_offset 0
		.amdhsa_user_sgpr_private_segment_size 0
		.amdhsa_wavefront_size32 1
		.amdhsa_uses_dynamic_stack 0
		.amdhsa_enable_private_segment 0
		.amdhsa_system_sgpr_workgroup_id_x 1
		.amdhsa_system_sgpr_workgroup_id_y 1
		.amdhsa_system_sgpr_workgroup_id_z 0
		.amdhsa_system_sgpr_workgroup_info 0
		.amdhsa_system_vgpr_workitem_id 1
		.amdhsa_next_free_vgpr 49
		.amdhsa_next_free_sgpr 26
		.amdhsa_named_barrier_count 0
		.amdhsa_reserve_vcc 1
		.amdhsa_float_round_mode_32 0
		.amdhsa_float_round_mode_16_64 0
		.amdhsa_float_denorm_mode_32 3
		.amdhsa_float_denorm_mode_16_64 3
		.amdhsa_fp16_overflow 0
		.amdhsa_memory_ordered 1
		.amdhsa_forward_progress 1
		.amdhsa_inst_pref_size 17
		.amdhsa_round_robin_scheduling 0
		.amdhsa_exception_fp_ieee_invalid_op 0
		.amdhsa_exception_fp_denorm_src 0
		.amdhsa_exception_fp_ieee_div_zero 0
		.amdhsa_exception_fp_ieee_overflow 0
		.amdhsa_exception_fp_ieee_underflow 0
		.amdhsa_exception_fp_ieee_inexact 0
		.amdhsa_exception_int_div_zero 0
	.end_amdhsa_kernel
	.section	.text._ZN2at6native12_GLOBAL__N_135GammaBetaBackwardCUDAKernelTemplateIN3c104HalfEfLj32ELj16ELj128ELb0ELb1ELb0EEEvllPKT_S7_PKT0_SA_PS5_SB_,"axG",@progbits,_ZN2at6native12_GLOBAL__N_135GammaBetaBackwardCUDAKernelTemplateIN3c104HalfEfLj32ELj16ELj128ELb0ELb1ELb0EEEvllPKT_S7_PKT0_SA_PS5_SB_,comdat
.Lfunc_end89:
	.size	_ZN2at6native12_GLOBAL__N_135GammaBetaBackwardCUDAKernelTemplateIN3c104HalfEfLj32ELj16ELj128ELb0ELb1ELb0EEEvllPKT_S7_PKT0_SA_PS5_SB_, .Lfunc_end89-_ZN2at6native12_GLOBAL__N_135GammaBetaBackwardCUDAKernelTemplateIN3c104HalfEfLj32ELj16ELj128ELb0ELb1ELb0EEEvllPKT_S7_PKT0_SA_PS5_SB_
                                        ; -- End function
	.set _ZN2at6native12_GLOBAL__N_135GammaBetaBackwardCUDAKernelTemplateIN3c104HalfEfLj32ELj16ELj128ELb0ELb1ELb0EEEvllPKT_S7_PKT0_SA_PS5_SB_.num_vgpr, 49
	.set _ZN2at6native12_GLOBAL__N_135GammaBetaBackwardCUDAKernelTemplateIN3c104HalfEfLj32ELj16ELj128ELb0ELb1ELb0EEEvllPKT_S7_PKT0_SA_PS5_SB_.num_agpr, 0
	.set _ZN2at6native12_GLOBAL__N_135GammaBetaBackwardCUDAKernelTemplateIN3c104HalfEfLj32ELj16ELj128ELb0ELb1ELb0EEEvllPKT_S7_PKT0_SA_PS5_SB_.numbered_sgpr, 26
	.set _ZN2at6native12_GLOBAL__N_135GammaBetaBackwardCUDAKernelTemplateIN3c104HalfEfLj32ELj16ELj128ELb0ELb1ELb0EEEvllPKT_S7_PKT0_SA_PS5_SB_.num_named_barrier, 0
	.set _ZN2at6native12_GLOBAL__N_135GammaBetaBackwardCUDAKernelTemplateIN3c104HalfEfLj32ELj16ELj128ELb0ELb1ELb0EEEvllPKT_S7_PKT0_SA_PS5_SB_.private_seg_size, 0
	.set _ZN2at6native12_GLOBAL__N_135GammaBetaBackwardCUDAKernelTemplateIN3c104HalfEfLj32ELj16ELj128ELb0ELb1ELb0EEEvllPKT_S7_PKT0_SA_PS5_SB_.uses_vcc, 1
	.set _ZN2at6native12_GLOBAL__N_135GammaBetaBackwardCUDAKernelTemplateIN3c104HalfEfLj32ELj16ELj128ELb0ELb1ELb0EEEvllPKT_S7_PKT0_SA_PS5_SB_.uses_flat_scratch, 0
	.set _ZN2at6native12_GLOBAL__N_135GammaBetaBackwardCUDAKernelTemplateIN3c104HalfEfLj32ELj16ELj128ELb0ELb1ELb0EEEvllPKT_S7_PKT0_SA_PS5_SB_.has_dyn_sized_stack, 0
	.set _ZN2at6native12_GLOBAL__N_135GammaBetaBackwardCUDAKernelTemplateIN3c104HalfEfLj32ELj16ELj128ELb0ELb1ELb0EEEvllPKT_S7_PKT0_SA_PS5_SB_.has_recursion, 0
	.set _ZN2at6native12_GLOBAL__N_135GammaBetaBackwardCUDAKernelTemplateIN3c104HalfEfLj32ELj16ELj128ELb0ELb1ELb0EEEvllPKT_S7_PKT0_SA_PS5_SB_.has_indirect_call, 0
	.section	.AMDGPU.csdata,"",@progbits
; Kernel info:
; codeLenInByte = 2092
; TotalNumSgprs: 28
; NumVgprs: 49
; ScratchSize: 0
; MemoryBound: 0
; FloatMode: 240
; IeeeMode: 1
; LDSByteSize: 0 bytes/workgroup (compile time only)
; SGPRBlocks: 0
; VGPRBlocks: 3
; NumSGPRsForWavesPerEU: 28
; NumVGPRsForWavesPerEU: 49
; NamedBarCnt: 0
; Occupancy: 16
; WaveLimiterHint : 0
; COMPUTE_PGM_RSRC2:SCRATCH_EN: 0
; COMPUTE_PGM_RSRC2:USER_SGPR: 2
; COMPUTE_PGM_RSRC2:TRAP_HANDLER: 0
; COMPUTE_PGM_RSRC2:TGID_X_EN: 1
; COMPUTE_PGM_RSRC2:TGID_Y_EN: 1
; COMPUTE_PGM_RSRC2:TGID_Z_EN: 0
; COMPUTE_PGM_RSRC2:TIDIG_COMP_CNT: 1
	.section	.text._ZN2at6native12_GLOBAL__N_135GammaBetaBackwardCUDAKernelTemplateIN3c104HalfEfLj32ELj16ELj128ELb0ELb0ELb0EEEvllPKT_S7_PKT0_SA_PS5_SB_,"axG",@progbits,_ZN2at6native12_GLOBAL__N_135GammaBetaBackwardCUDAKernelTemplateIN3c104HalfEfLj32ELj16ELj128ELb0ELb0ELb0EEEvllPKT_S7_PKT0_SA_PS5_SB_,comdat
	.globl	_ZN2at6native12_GLOBAL__N_135GammaBetaBackwardCUDAKernelTemplateIN3c104HalfEfLj32ELj16ELj128ELb0ELb0ELb0EEEvllPKT_S7_PKT0_SA_PS5_SB_ ; -- Begin function _ZN2at6native12_GLOBAL__N_135GammaBetaBackwardCUDAKernelTemplateIN3c104HalfEfLj32ELj16ELj128ELb0ELb0ELb0EEEvllPKT_S7_PKT0_SA_PS5_SB_
	.p2align	8
	.type	_ZN2at6native12_GLOBAL__N_135GammaBetaBackwardCUDAKernelTemplateIN3c104HalfEfLj32ELj16ELj128ELb0ELb0ELb0EEEvllPKT_S7_PKT0_SA_PS5_SB_,@function
_ZN2at6native12_GLOBAL__N_135GammaBetaBackwardCUDAKernelTemplateIN3c104HalfEfLj32ELj16ELj128ELb0ELb0ELb0EEEvllPKT_S7_PKT0_SA_PS5_SB_: ; @_ZN2at6native12_GLOBAL__N_135GammaBetaBackwardCUDAKernelTemplateIN3c104HalfEfLj32ELj16ELj128ELb0ELb0ELb0EEEvllPKT_S7_PKT0_SA_PS5_SB_
; %bb.0:
	s_load_b256 s[4:11], s[0:1], 0x0
	s_bfe_u32 s3, ttmp6, 0x4000c
	s_bfe_u32 s12, ttmp6, 0x40010
	s_add_co_i32 s3, s3, 1
	s_add_co_i32 s12, s12, 1
	s_and_b32 s2, ttmp6, 15
	s_bfe_u32 s13, ttmp6, 0x40004
	s_mul_i32 s3, ttmp9, s3
	s_mul_i32 s12, ttmp7, s12
	s_getreg_b32 s14, hwreg(HW_REG_IB_STS2, 6, 4)
	s_add_co_i32 s2, s2, s3
	s_add_co_i32 s3, s13, s12
	s_cmp_eq_u32 s14, 0
	s_mov_b32 s19, 0
	s_cselect_b32 s16, ttmp9, s2
	s_cselect_b32 s2, ttmp7, s3
	s_lshl_b32 s3, s16, 5
	s_load_b128 s[12:15], s[0:1], 0x20
	s_or_b32 s18, s3, 31
	s_wait_kmcnt 0x0
	v_cmp_le_i64_e64 s20, s[6:7], s[18:19]
	s_lshl_b32 s18, s2, 7
	s_delay_alu instid0(SALU_CYCLE_1) | instskip(SKIP_2) | instid1(VALU_DEP_1)
	v_cmp_gt_i64_e64 s17, s[4:5], s[18:19]
	s_and_b32 vcc_lo, exec_lo, s20
	v_cndmask_b32_e64 v1, 0, 1, s17
	v_cmp_ne_u32_e64 s2, 1, v1
	s_cbranch_vccz .LBB90_48
; %bb.1:
	v_mov_b32_e32 v33, 0
	s_and_b32 vcc_lo, exec_lo, s2
	s_delay_alu instid0(VALU_DEP_1)
	v_mov_b32_e32 v32, v33
	s_cbranch_vccnz .LBB90_49
; %bb.2:
	v_bfe_u32 v1, v0, 10, 10
	v_mov_b32_e32 v2, 0
	v_and_b32_e32 v62, 0x3ff, v0
	s_load_b32 s20, s[0:1], 0x44
	s_mov_b32 s21, 0
	s_delay_alu instid0(VALU_DEP_2) | instskip(NEXT) | instid1(VALU_DEP_2)
	v_dual_mov_b32 v21, v2 :: v_dual_lshlrev_b32 v20, 3, v1
	v_dual_mov_b32 v19, v2 :: v_dual_add_nc_u32 v18, s3, v62
	v_mov_b32_e32 v32, 0
	s_mov_b32 s37, s21
	s_delay_alu instid0(VALU_DEP_3)
	v_add_nc_u64_e32 v[4:5], s[18:19], v[20:21]
	v_mov_b32_e32 v33, v2
	v_cmp_gt_i64_e64 s2, s[6:7], v[18:19]
	v_lshlrev_b64_e32 v[22:23], 1, v[18:19]
	s_add_nc_u64 s[22:23], s[0:1], 64
	s_mov_b64 s[24:25], 0xffffffffffffff81
	s_mov_b64 s[26:27], 0xffffffffffffff82
	v_mul_u64_e32 v[6:7], s[6:7], v[4:5]
	v_add_nc_u64_e32 v[8:9], 7, v[4:5]
	v_add_nc_u64_e32 v[10:11], 6, v[4:5]
	v_add_nc_u64_e32 v[12:13], 5, v[4:5]
	v_add_nc_u64_e32 v[14:15], 4, v[4:5]
	v_add_nc_u64_e32 v[16:17], 3, v[4:5]
	v_add_nc_u64_e32 v[4:5], 2, v[4:5]
	s_wait_kmcnt 0x0
	s_lshl_b32 s36, s20, 7
	v_mul_u64_e32 v[8:9], s[6:7], v[8:9]
	v_mul_u64_e32 v[10:11], s[6:7], v[10:11]
	;; [unrolled: 1-line block ×6, first 2 shown]
	s_mul_u64 s[44:45], s[6:7], s[36:37]
	s_mov_b64 s[28:29], 0xffffffffffffff83
	s_mov_b64 s[30:31], 0xffffffffffffff84
	;; [unrolled: 1-line block ×6, first 2 shown]
	s_lshl_b64 s[44:45], s[44:45], 1
	s_add_nc_u64 s[46:47], s[18:19], 0x7f
	s_mov_b64 s[48:49], s[18:19]
	v_lshlrev_b64_e32 v[26:27], 1, v[6:7]
	v_add_nc_u64_e32 v[6:7], s[6:7], v[6:7]
	s_delay_alu instid0(VALU_DEP_2)
	v_add_nc_u64_e32 v[24:25], s[8:9], v[26:27]
	v_lshlrev_b64_e32 v[8:9], 1, v[8:9]
	v_lshlrev_b64_e32 v[10:11], 1, v[10:11]
	;; [unrolled: 1-line block ×7, first 2 shown]
	v_add_nc_u64_e32 v[26:27], s[10:11], v[26:27]
	v_add_nc_u64_e32 v[28:29], s[8:9], v[8:9]
	;; [unrolled: 1-line block ×15, first 2 shown]
	s_branch .LBB90_5
.LBB90_3:                               ;   in Loop: Header=BB90_5 Depth=1
	s_or_b32 exec_lo, exec_lo, s20
	s_wait_loadcnt 0x1
	ds_bpermute_b32 v3, v2, v60
	ds_bpermute_b32 v59, v2, v60 offset:4
	ds_bpermute_b32 v63, v2, v60 offset:8
	s_wait_loadcnt 0x0
	ds_bpermute_b32 v64, v2, v61
	ds_bpermute_b32 v65, v2, v60 offset:12
	ds_bpermute_b32 v66, v2, v61 offset:4
	;; [unrolled: 1-line block ×9, first 2 shown]
	s_wait_dscnt 0xc
	v_dual_mov_b32 v58, v5 :: v_dual_sub_f32 v3, v12, v3
	s_wait_dscnt 0xb
	v_dual_mov_b32 v12, v4 :: v_dual_sub_f32 v13, v13, v59
	s_wait_dscnt 0xa
	v_sub_f32_e32 v59, v14, v63
	v_dual_mul_f32 v3, v4, v3 :: v_dual_mov_b32 v4, v6
	s_delay_alu instid0(VALU_DEP_3) | instskip(SKIP_1) | instid1(VALU_DEP_2)
	v_dual_mul_f32 v5, v5, v13 :: v_dual_mov_b32 v14, v7
	s_wait_dscnt 0x9
	v_dual_mul_f32 v6, v6, v59 :: v_dual_mul_f32 v13, v3, v64
	s_wait_dscnt 0x7
	s_delay_alu instid0(VALU_DEP_2) | instskip(SKIP_1) | instid1(VALU_DEP_2)
	v_dual_sub_f32 v3, v15, v65 :: v_dual_mul_f32 v59, v5, v66
	s_wait_dscnt 0x6
	v_mul_f32_e32 v5, v6, v67
	v_pk_add_f32 v[12:13], v[32:33], v[12:13]
	ds_bpermute_b32 v32, v2, v61 offset:24
	s_wait_dscnt 0x6
	v_dual_sub_f32 v15, v16, v69 :: v_dual_mul_f32 v3, v7, v3
	v_pk_add_f32 v[6:7], v[58:59], v[12:13]
	s_wait_dscnt 0x4
	v_dual_mov_b32 v12, v8 :: v_dual_sub_f32 v13, v17, v72
	s_delay_alu instid0(VALU_DEP_3) | instskip(NEXT) | instid1(VALU_DEP_3)
	v_dual_mul_f32 v8, v8, v15 :: v_dual_mul_f32 v15, v3, v68
	v_pk_add_f32 v[4:5], v[4:5], v[6:7]
	ds_bpermute_b32 v3, v2, v61 offset:28
	s_wait_dscnt 0x3
	v_sub_f32_e32 v16, v18, v73
	v_dual_mul_f32 v17, v9, v13 :: v_dual_mul_f32 v13, v8, v70
	v_pk_add_f32 v[6:7], v[14:15], v[4:5]
	ds_bpermute_b32 v4, v2, v60 offset:28
	v_dual_mov_b32 v8, v9 :: v_dual_mul_f32 v5, v10, v16
	s_wait_dscnt 0x3
	v_mul_f32_e32 v9, v17, v71
	v_pk_add_f32 v[6:7], v[12:13], v[6:7]
	s_wait_dscnt 0x2
	v_dual_mov_b32 v12, v10 :: v_dual_mul_f32 v13, v5, v32
	s_delay_alu instid0(VALU_DEP_2) | instskip(NEXT) | instid1(VALU_DEP_1)
	v_pk_add_f32 v[6:7], v[8:9], v[6:7]
	v_pk_add_f32 v[60:61], v[12:13], v[6:7]
.LBB90_4:                               ;   in Loop: Header=BB90_5 Depth=1
	s_wait_dscnt 0x0
	v_sub_f32_e32 v5, v19, v4
	v_mov_b32_e32 v4, v11
	s_add_nc_u64 s[48:49], s[48:49], s[36:37]
	v_add_nc_u64_e32 v[24:25], s[44:45], v[24:25]
	v_cmp_lt_i64_e64 s20, s[48:49], s[4:5]
	v_mul_f32_e32 v5, v11, v5
	v_add_nc_u64_e32 v[26:27], s[44:45], v[26:27]
	v_add_nc_u64_e32 v[28:29], s[44:45], v[28:29]
	;; [unrolled: 1-line block ×4, first 2 shown]
	v_mul_f32_e32 v5, v5, v3
	v_add_nc_u64_e32 v[36:37], s[44:45], v[36:37]
	v_add_nc_u64_e32 v[38:39], s[44:45], v[38:39]
	;; [unrolled: 1-line block ×11, first 2 shown]
	v_pk_add_f32 v[32:33], v[60:61], v[4:5]
	s_and_b32 vcc_lo, exec_lo, s20
	s_add_nc_u64 s[46:47], s[46:47], s[36:37]
	s_cbranch_vccz .LBB90_49
.LBB90_5:                               ; =>This Inner Loop Header: Depth=1
	v_cmp_ge_i64_e64 s20, s[46:47], s[4:5]
	v_add_nc_u64_e32 v[58:59], s[46:47], v[20:21]
                                        ; implicit-def: $vgpr4_vgpr5_vgpr6_vgpr7_vgpr8_vgpr9_vgpr10_vgpr11
                                        ; implicit-def: $vgpr60_vgpr61
                                        ; implicit-def: $vgpr3
                                        ; implicit-def: $vgpr12_vgpr13_vgpr14_vgpr15_vgpr16_vgpr17_vgpr18_vgpr19
                                        ; implicit-def: $vgpr4
	s_and_b32 vcc_lo, exec_lo, s20
	s_mov_b32 s20, -1
	s_cbranch_vccz .LBB90_27
; %bb.6:                                ;   in Loop: Header=BB90_5 Depth=1
	s_load_b32 s20, s[22:23], 0xc
	v_dual_mov_b32 v60, 0 :: v_dual_mov_b32 v61, 0
	s_wait_kmcnt 0x0
	s_and_b32 s20, s20, 0xffff
	s_delay_alu instid0(SALU_CYCLE_1) | instskip(SKIP_1) | instid1(VALU_DEP_1)
	v_mad_u32_u24 v3, v1, s20, v62
	s_mov_b32 s20, exec_lo
	v_and_b32_e32 v4, 31, v3
	s_delay_alu instid0(VALU_DEP_1)
	v_cmpx_gt_u32_e32 8, v4
	s_cbranch_execz .LBB90_10
; %bb.7:                                ;   in Loop: Header=BB90_5 Depth=1
	v_dual_mov_b32 v5, v2 :: v_dual_mov_b32 v60, 0
	v_mov_b32_e32 v61, 0
	s_mov_b32 s33, exec_lo
	s_delay_alu instid0(VALU_DEP_2) | instskip(NEXT) | instid1(VALU_DEP_1)
	v_add_nc_u64_e32 v[4:5], v[58:59], v[4:5]
	v_add_nc_u64_e32 v[4:5], s[24:25], v[4:5]
	s_delay_alu instid0(VALU_DEP_1)
	v_cmpx_gt_i64_e64 s[4:5], v[4:5]
	s_cbranch_execz .LBB90_9
; %bb.8:                                ;   in Loop: Header=BB90_5 Depth=1
	v_lshlrev_b64_e32 v[4:5], 2, v[4:5]
	s_delay_alu instid0(VALU_DEP_1)
	v_add_nc_u64_e32 v[6:7], s[12:13], v[4:5]
	v_add_nc_u64_e32 v[4:5], s[14:15], v[4:5]
	global_load_b32 v60, v[6:7], off
	global_load_b32 v61, v[4:5], off
.LBB90_9:                               ;   in Loop: Header=BB90_5 Depth=1
	s_wait_xcnt 0x0
	s_or_b32 exec_lo, exec_lo, s33
.LBB90_10:                              ;   in Loop: Header=BB90_5 Depth=1
	s_delay_alu instid0(SALU_CYCLE_1)
	s_or_b32 exec_lo, exec_lo, s20
	v_add_nc_u64_e32 v[10:11], s[24:25], v[58:59]
	v_dual_mov_b32 v7, v2 :: v_dual_mov_b32 v8, v2
	v_dual_mov_b32 v9, v2 :: v_dual_mov_b32 v3, v2
	;; [unrolled: 1-line block ×3, first 2 shown]
	v_mov_b32_e32 v6, v2
	v_cmp_gt_i64_e32 vcc_lo, s[4:5], v[10:11]
	s_delay_alu instid0(VALU_DEP_4)
	v_mov_b64_e32 v[18:19], v[8:9]
	v_mov_b64_e32 v[12:13], v[2:3]
	;; [unrolled: 1-line block ×8, first 2 shown]
	s_and_b32 s33, s2, vcc_lo
	s_delay_alu instid0(SALU_CYCLE_1)
	s_and_saveexec_b32 s20, s33
	s_cbranch_execz .LBB90_12
; %bb.11:                               ;   in Loop: Header=BB90_5 Depth=1
	v_add_nc_u64_e32 v[4:5], v[24:25], v[22:23]
	v_add_nc_u64_e32 v[6:7], v[26:27], v[22:23]
	v_dual_mov_b32 v9, v2 :: v_dual_mov_b32 v10, v2
	v_dual_mov_b32 v11, v2 :: v_dual_mov_b32 v13, v2
	;; [unrolled: 1-line block ×3, first 2 shown]
	global_load_u16 v3, v[4:5], off
	global_load_u16 v12, v[6:7], off
	s_wait_xcnt 0x0
	v_dual_mov_b32 v5, v2 :: v_dual_mov_b32 v6, v2
	v_dual_mov_b32 v7, v2 :: v_dual_mov_b32 v8, v2
	;; [unrolled: 1-line block ×4, first 2 shown]
	s_wait_loadcnt 0x1
	v_cvt_f32_f16_e32 v4, v3
	s_wait_loadcnt 0x0
	v_cvt_f32_f16_e32 v12, v12
.LBB90_12:                              ;   in Loop: Header=BB90_5 Depth=1
	s_or_b32 exec_lo, exec_lo, s20
	v_add_nc_u64_e32 v[64:65], s[26:27], v[58:59]
	s_delay_alu instid0(VALU_DEP_1) | instskip(SKIP_1) | instid1(SALU_CYCLE_1)
	v_cmp_gt_i64_e32 vcc_lo, s[4:5], v[64:65]
	s_and_b32 s33, s2, vcc_lo
	s_and_saveexec_b32 s20, s33
	s_cbranch_execz .LBB90_14
; %bb.13:                               ;   in Loop: Header=BB90_5 Depth=1
	v_add_nc_u64_e32 v[64:65], v[54:55], v[22:23]
	v_add_nc_u64_e32 v[66:67], v[56:57], v[22:23]
	global_load_u16 v3, v[64:65], off
	global_load_u16 v13, v[66:67], off
	s_wait_loadcnt 0x1
	v_cvt_f32_f16_e32 v5, v3
	s_wait_loadcnt 0x0
	v_cvt_f32_f16_e32 v13, v13
.LBB90_14:                              ;   in Loop: Header=BB90_5 Depth=1
	s_or_b32 exec_lo, exec_lo, s20
	v_add_nc_u64_e32 v[64:65], s[28:29], v[58:59]
	s_delay_alu instid0(VALU_DEP_1) | instskip(SKIP_1) | instid1(SALU_CYCLE_1)
	v_cmp_gt_i64_e32 vcc_lo, s[4:5], v[64:65]
	s_and_b32 s33, s2, vcc_lo
	s_and_saveexec_b32 s20, s33
	s_cbranch_execz .LBB90_16
; %bb.15:                               ;   in Loop: Header=BB90_5 Depth=1
	v_add_nc_u64_e32 v[64:65], v[50:51], v[22:23]
	v_add_nc_u64_e32 v[66:67], v[52:53], v[22:23]
	global_load_u16 v3, v[64:65], off
	global_load_u16 v14, v[66:67], off
	s_wait_loadcnt 0x1
	v_cvt_f32_f16_e32 v6, v3
	s_wait_loadcnt 0x0
	v_cvt_f32_f16_e32 v14, v14
.LBB90_16:                              ;   in Loop: Header=BB90_5 Depth=1
	;; [unrolled: 17-line block ×7, first 2 shown]
	s_or_b32 exec_lo, exec_lo, s20
	s_wait_loadcnt 0x1
	ds_bpermute_b32 v3, v2, v60
	ds_bpermute_b32 v63, v2, v60 offset:4
	ds_bpermute_b32 v65, v2, v60 offset:8
	s_wait_loadcnt 0x0
	ds_bpermute_b32 v66, v2, v61
	ds_bpermute_b32 v67, v2, v60 offset:12
	ds_bpermute_b32 v68, v2, v61 offset:4
	;; [unrolled: 1-line block ×8, first 2 shown]
	s_mov_b32 s20, 0
	s_wait_dscnt 0xb
	v_dual_mov_b32 v64, v5 :: v_dual_sub_f32 v3, v12, v3
	s_wait_dscnt 0xa
	v_dual_mov_b32 v12, v4 :: v_dual_sub_f32 v13, v13, v63
	ds_bpermute_b32 v63, v2, v60 offset:24
	v_dual_mul_f32 v3, v4, v3 :: v_dual_mov_b32 v4, v6
	s_wait_dscnt 0xa
	v_sub_f32_e32 v65, v14, v65
	v_dual_mul_f32 v5, v5, v13 :: v_dual_mov_b32 v14, v7
	s_wait_dscnt 0x9
	v_mul_f32_e32 v13, v3, v66
	s_wait_dscnt 0x8
	v_dual_sub_f32 v3, v15, v67 :: v_dual_mul_f32 v6, v6, v65
	s_wait_dscnt 0x5
	v_dual_mul_f32 v65, v5, v68 :: v_dual_sub_f32 v15, v16, v71
	v_pk_add_f32 v[12:13], v[32:33], v[12:13]
	ds_bpermute_b32 v66, v2, v61 offset:24
	v_dual_mul_f32 v3, v7, v3 :: v_dual_mul_f32 v5, v6, v69
	v_pk_add_f32 v[6:7], v[64:65], v[12:13]
	s_wait_dscnt 0x4
	v_dual_mov_b32 v12, v8 :: v_dual_sub_f32 v13, v17, v74
	s_delay_alu instid0(VALU_DEP_3) | instskip(NEXT) | instid1(VALU_DEP_3)
	v_dual_mul_f32 v8, v8, v15 :: v_dual_mul_f32 v15, v3, v70
	v_pk_add_f32 v[4:5], v[4:5], v[6:7]
	ds_bpermute_b32 v3, v2, v61 offset:28
	s_wait_dscnt 0x2
	v_dual_sub_f32 v16, v18, v63 :: v_dual_mul_f32 v17, v9, v13
	v_dual_mul_f32 v13, v8, v72 :: v_dual_mov_b32 v8, v9
	v_pk_add_f32 v[6:7], v[14:15], v[4:5]
	ds_bpermute_b32 v4, v2, v60 offset:28
	v_dual_mul_f32 v5, v10, v16 :: v_dual_mul_f32 v9, v17, v73
	v_pk_add_f32 v[6:7], v[12:13], v[6:7]
	s_wait_dscnt 0x2
	s_delay_alu instid0(VALU_DEP_2) | instskip(NEXT) | instid1(VALU_DEP_2)
	v_dual_mov_b32 v12, v10 :: v_dual_mul_f32 v13, v5, v66
	v_pk_add_f32 v[6:7], v[8:9], v[6:7]
	s_delay_alu instid0(VALU_DEP_1)
	v_pk_add_f32 v[60:61], v[12:13], v[6:7]
.LBB90_27:                              ;   in Loop: Header=BB90_5 Depth=1
	s_and_b32 vcc_lo, exec_lo, s20
	s_cbranch_vccz .LBB90_4
; %bb.28:                               ;   in Loop: Header=BB90_5 Depth=1
	s_load_b32 s20, s[22:23], 0x0
	v_dual_mov_b32 v60, 0 :: v_dual_mov_b32 v61, 0
	s_wait_kmcnt 0x0
	s_cmp_lt_u32 s16, s20
	s_cselect_b32 s20, 12, 18
	s_delay_alu instid0(SALU_CYCLE_1)
	s_add_nc_u64 s[50:51], s[22:23], s[20:21]
	s_load_u16 s20, s[50:51], 0x0
	s_wait_dscnt 0x1
	s_wait_kmcnt 0x0
	v_mad_u32_u24 v3, v1, s20, v62
	s_mov_b32 s20, exec_lo
	s_wait_dscnt 0x0
	s_delay_alu instid0(VALU_DEP_1) | instskip(NEXT) | instid1(VALU_DEP_1)
	v_and_b32_e32 v4, 31, v3
	v_cmpx_gt_u32_e32 8, v4
	s_cbranch_execz .LBB90_32
; %bb.29:                               ;   in Loop: Header=BB90_5 Depth=1
	v_dual_mov_b32 v5, v2 :: v_dual_mov_b32 v60, 0
	v_mov_b32_e32 v61, 0
	s_mov_b32 s33, exec_lo
	s_delay_alu instid0(VALU_DEP_2) | instskip(NEXT) | instid1(VALU_DEP_1)
	v_add_nc_u64_e32 v[4:5], v[58:59], v[4:5]
	v_add_nc_u64_e32 v[4:5], s[24:25], v[4:5]
	s_delay_alu instid0(VALU_DEP_1)
	v_cmpx_gt_i64_e64 s[4:5], v[4:5]
	s_cbranch_execz .LBB90_31
; %bb.30:                               ;   in Loop: Header=BB90_5 Depth=1
	v_lshlrev_b64_e32 v[4:5], 2, v[4:5]
	s_delay_alu instid0(VALU_DEP_1)
	v_add_nc_u64_e32 v[6:7], s[12:13], v[4:5]
	v_add_nc_u64_e32 v[4:5], s[14:15], v[4:5]
	global_load_b32 v60, v[6:7], off
	global_load_b32 v61, v[4:5], off
.LBB90_31:                              ;   in Loop: Header=BB90_5 Depth=1
	s_wait_xcnt 0x0
	s_or_b32 exec_lo, exec_lo, s33
.LBB90_32:                              ;   in Loop: Header=BB90_5 Depth=1
	s_delay_alu instid0(SALU_CYCLE_1) | instskip(SKIP_4) | instid1(VALU_DEP_3)
	s_or_b32 exec_lo, exec_lo, s20
	v_dual_mov_b32 v7, v2 :: v_dual_mov_b32 v8, v2
	v_dual_mov_b32 v9, v2 :: v_dual_mov_b32 v3, v2
	;; [unrolled: 1-line block ×3, first 2 shown]
	v_mov_b32_e32 v6, v2
	v_mov_b64_e32 v[18:19], v[8:9]
	s_delay_alu instid0(VALU_DEP_4) | instskip(NEXT) | instid1(VALU_DEP_4)
	v_mov_b64_e32 v[12:13], v[2:3]
	v_mov_b64_e32 v[14:15], v[4:5]
	s_delay_alu instid0(VALU_DEP_4)
	v_mov_b64_e32 v[16:17], v[6:7]
	v_mov_b64_e32 v[10:11], v[8:9]
	;; [unrolled: 1-line block ×5, first 2 shown]
	s_and_saveexec_b32 s20, s2
	s_cbranch_execnz .LBB90_40
; %bb.33:                               ;   in Loop: Header=BB90_5 Depth=1
	s_or_b32 exec_lo, exec_lo, s20
	s_and_saveexec_b32 s20, s2
	s_cbranch_execnz .LBB90_41
.LBB90_34:                              ;   in Loop: Header=BB90_5 Depth=1
	s_or_b32 exec_lo, exec_lo, s20
	s_and_saveexec_b32 s20, s2
	s_cbranch_execnz .LBB90_42
.LBB90_35:                              ;   in Loop: Header=BB90_5 Depth=1
	s_or_b32 exec_lo, exec_lo, s20
	s_and_saveexec_b32 s20, s2
	s_cbranch_execnz .LBB90_43
.LBB90_36:                              ;   in Loop: Header=BB90_5 Depth=1
	s_or_b32 exec_lo, exec_lo, s20
	s_and_saveexec_b32 s20, s2
	s_cbranch_execnz .LBB90_44
.LBB90_37:                              ;   in Loop: Header=BB90_5 Depth=1
	s_or_b32 exec_lo, exec_lo, s20
	s_and_saveexec_b32 s20, s2
	s_cbranch_execnz .LBB90_45
.LBB90_38:                              ;   in Loop: Header=BB90_5 Depth=1
	s_or_b32 exec_lo, exec_lo, s20
	s_and_saveexec_b32 s20, s2
	s_cbranch_execnz .LBB90_46
.LBB90_39:                              ;   in Loop: Header=BB90_5 Depth=1
	s_or_b32 exec_lo, exec_lo, s20
	s_and_saveexec_b32 s20, s2
	s_cbranch_execz .LBB90_3
	s_branch .LBB90_47
.LBB90_40:                              ;   in Loop: Header=BB90_5 Depth=1
	v_add_nc_u64_e32 v[4:5], v[24:25], v[22:23]
	v_add_nc_u64_e32 v[6:7], v[26:27], v[22:23]
	v_dual_mov_b32 v9, v2 :: v_dual_mov_b32 v10, v2
	v_dual_mov_b32 v11, v2 :: v_dual_mov_b32 v13, v2
	;; [unrolled: 1-line block ×3, first 2 shown]
	global_load_u16 v3, v[4:5], off
	global_load_u16 v12, v[6:7], off
	s_wait_xcnt 0x0
	v_dual_mov_b32 v5, v2 :: v_dual_mov_b32 v6, v2
	v_dual_mov_b32 v7, v2 :: v_dual_mov_b32 v8, v2
	;; [unrolled: 1-line block ×4, first 2 shown]
	s_wait_loadcnt 0x1
	v_cvt_f32_f16_e32 v4, v3
	s_wait_loadcnt 0x0
	v_cvt_f32_f16_e32 v12, v12
	s_or_b32 exec_lo, exec_lo, s20
	s_and_saveexec_b32 s20, s2
	s_cbranch_execz .LBB90_34
.LBB90_41:                              ;   in Loop: Header=BB90_5 Depth=1
	v_add_nc_u64_e32 v[58:59], v[54:55], v[22:23]
	v_add_nc_u64_e32 v[64:65], v[56:57], v[22:23]
	global_load_u16 v3, v[58:59], off
	global_load_u16 v13, v[64:65], off
	s_wait_loadcnt 0x1
	v_cvt_f32_f16_e32 v5, v3
	s_wait_loadcnt 0x0
	v_cvt_f32_f16_e32 v13, v13
	s_or_b32 exec_lo, exec_lo, s20
	s_and_saveexec_b32 s20, s2
	s_cbranch_execz .LBB90_35
.LBB90_42:                              ;   in Loop: Header=BB90_5 Depth=1
	v_add_nc_u64_e32 v[58:59], v[50:51], v[22:23]
	v_add_nc_u64_e32 v[64:65], v[52:53], v[22:23]
	global_load_u16 v3, v[58:59], off
	global_load_u16 v14, v[64:65], off
	s_wait_loadcnt 0x1
	v_cvt_f32_f16_e32 v6, v3
	s_wait_loadcnt 0x0
	v_cvt_f32_f16_e32 v14, v14
	s_or_b32 exec_lo, exec_lo, s20
	s_and_saveexec_b32 s20, s2
	s_cbranch_execz .LBB90_36
.LBB90_43:                              ;   in Loop: Header=BB90_5 Depth=1
	v_add_nc_u64_e32 v[58:59], v[46:47], v[22:23]
	v_add_nc_u64_e32 v[64:65], v[48:49], v[22:23]
	global_load_u16 v3, v[58:59], off
	global_load_u16 v15, v[64:65], off
	s_wait_loadcnt 0x1
	v_cvt_f32_f16_e32 v7, v3
	s_wait_loadcnt 0x0
	v_cvt_f32_f16_e32 v15, v15
	s_or_b32 exec_lo, exec_lo, s20
	s_and_saveexec_b32 s20, s2
	s_cbranch_execz .LBB90_37
.LBB90_44:                              ;   in Loop: Header=BB90_5 Depth=1
	v_add_nc_u64_e32 v[58:59], v[42:43], v[22:23]
	v_add_nc_u64_e32 v[64:65], v[44:45], v[22:23]
	global_load_u16 v3, v[58:59], off
	global_load_u16 v16, v[64:65], off
	s_wait_loadcnt 0x1
	v_cvt_f32_f16_e32 v8, v3
	s_wait_loadcnt 0x0
	v_cvt_f32_f16_e32 v16, v16
	s_or_b32 exec_lo, exec_lo, s20
	s_and_saveexec_b32 s20, s2
	s_cbranch_execz .LBB90_38
.LBB90_45:                              ;   in Loop: Header=BB90_5 Depth=1
	v_add_nc_u64_e32 v[58:59], v[38:39], v[22:23]
	v_add_nc_u64_e32 v[64:65], v[40:41], v[22:23]
	global_load_u16 v3, v[58:59], off
	global_load_u16 v17, v[64:65], off
	s_wait_loadcnt 0x1
	v_cvt_f32_f16_e32 v9, v3
	s_wait_loadcnt 0x0
	v_cvt_f32_f16_e32 v17, v17
	s_or_b32 exec_lo, exec_lo, s20
	s_and_saveexec_b32 s20, s2
	s_cbranch_execz .LBB90_39
.LBB90_46:                              ;   in Loop: Header=BB90_5 Depth=1
	v_add_nc_u64_e32 v[58:59], v[34:35], v[22:23]
	v_add_nc_u64_e32 v[64:65], v[36:37], v[22:23]
	global_load_u16 v3, v[58:59], off
	global_load_u16 v18, v[64:65], off
	s_wait_loadcnt 0x1
	v_cvt_f32_f16_e32 v10, v3
	s_wait_loadcnt 0x0
	v_cvt_f32_f16_e32 v18, v18
	s_or_b32 exec_lo, exec_lo, s20
	s_and_saveexec_b32 s20, s2
	s_cbranch_execz .LBB90_3
.LBB90_47:                              ;   in Loop: Header=BB90_5 Depth=1
	v_add_nc_u64_e32 v[58:59], v[28:29], v[22:23]
	v_add_nc_u64_e32 v[64:65], v[30:31], v[22:23]
	global_load_u16 v3, v[58:59], off
	global_load_u16 v19, v[64:65], off
	s_wait_loadcnt 0x1
	v_cvt_f32_f16_e32 v11, v3
	s_wait_loadcnt 0x0
	v_cvt_f32_f16_e32 v19, v19
	s_branch .LBB90_3
.LBB90_48:
                                        ; implicit-def: $vgpr33
	s_branch .LBB90_50
.LBB90_49:
	s_cbranch_execnz .LBB90_81
.LBB90_50:
	v_mov_b32_e32 v33, 0
	s_and_not1_b32 vcc_lo, exec_lo, s17
	s_delay_alu instid0(VALU_DEP_1)
	v_mov_b32_e32 v32, v33
	s_cbranch_vccnz .LBB90_81
; %bb.51:
	v_bfe_u32 v1, v0, 10, 10
	v_mov_b32_e32 v2, 0
	v_and_b32_e32 v90, 0x3ff, v0
	s_load_b32 s2, s[0:1], 0x44
	s_mov_b64 s[22:23], 0xffffffffffffff83
	s_delay_alu instid0(VALU_DEP_2) | instskip(SKIP_3) | instid1(VALU_DEP_2)
	v_dual_mov_b32 v5, v2 :: v_dual_lshlrev_b32 v4, 4, v1
	v_dual_mov_b32 v21, v2 :: v_dual_lshlrev_b32 v20, 3, v1
	s_mov_b64 s[24:25], 0xffffffffffffff84
	s_mov_b64 s[26:27], 0xffffffffffffff85
	v_lshl_add_u64 v[4:5], s[18:19], 1, v[4:5]
	s_mov_b64 s[28:29], 0xffffffffffffff86
	v_add_nc_u64_e32 v[8:9], s[18:19], v[20:21]
	s_mov_b64 s[30:31], 0xffffffffffffff87
	s_mov_b64 s[34:35], 0xffffffffffffff88
	v_add_nc_u64_e32 v[6:7], 2, v[4:5]
	v_add_nc_u64_e32 v[10:11], 4, v[4:5]
	;; [unrolled: 1-line block ×4, first 2 shown]
	v_mul_u64_e32 v[32:33], s[6:7], v[8:9]
	v_add_nc_u64_e32 v[44:45], 4, v[8:9]
	v_add_nc_u64_e32 v[16:17], 10, v[4:5]
	v_mad_nc_u64_u32 v[22:23], s6, v6, s[8:9]
	v_mul_lo_u32 v3, s6, v7
	v_mul_lo_u32 v42, s7, v6
	v_mad_nc_u64_u32 v[34:35], s6, v6, s[10:11]
	v_add_nc_u64_e32 v[6:7], 7, v[8:9]
	v_mad_nc_u64_u32 v[24:25], s6, v10, s[8:9]
	v_mul_lo_u32 v43, s6, v11
	v_mul_lo_u32 v46, s7, v10
	v_mad_nc_u64_u32 v[36:37], s6, v10, s[10:11]
	v_mad_nc_u64_u32 v[26:27], s6, v12, s[8:9]
	v_mul_lo_u32 v52, s6, v13
	v_mul_lo_u32 v53, s7, v12
	v_mad_nc_u64_u32 v[40:41], s6, v12, s[10:11]
	v_add_nc_u64_e32 v[10:11], 6, v[8:9]
	v_mul_u64_e32 v[6:7], s[6:7], v[6:7]
	v_add_nc_u64_e32 v[12:13], 5, v[8:9]
	v_mad_nc_u64_u32 v[28:29], s6, v14, s[8:9]
	v_mul_lo_u32 v54, s6, v15
	v_mul_lo_u32 v55, s7, v14
	v_add3_u32 v23, v42, v23, v3
	v_add3_u32 v25, v46, v25, v43
	v_add3_u32 v35, v42, v35, v3
	v_mul_u64_e32 v[10:11], s[6:7], v[10:11]
	v_add3_u32 v37, v46, v37, v43
	v_mad_nc_u64_u32 v[42:43], s6, v14, s[10:11]
	v_add_nc_u64_e32 v[14:15], 3, v[8:9]
	v_add_nc_u64_e32 v[8:9], 2, v[8:9]
	v_mul_u64_e32 v[12:13], s[6:7], v[12:13]
	v_mul_u64_e32 v[62:63], s[6:7], v[44:45]
	v_add_nc_u64_e32 v[18:19], 12, v[4:5]
	v_add_nc_u64_e32 v[4:5], 14, v[4:5]
	v_mad_nc_u64_u32 v[30:31], s6, v16, s[8:9]
	v_mul_u64_e32 v[14:15], s[6:7], v[14:15]
	v_mul_u64_e32 v[8:9], s[6:7], v[8:9]
	v_mul_lo_u32 v17, s6, v17
	v_mul_lo_u32 v56, s7, v16
	v_mad_nc_u64_u32 v[44:45], s6, v16, s[10:11]
	v_mad_nc_u64_u32 v[46:47], s6, v4, s[8:9]
	v_mul_lo_u32 v3, s6, v5
	v_mul_lo_u32 v16, s7, v4
	v_mad_nc_u64_u32 v[50:51], s6, v4, s[10:11]
	v_dual_mov_b32 v5, v2 :: v_dual_add_nc_u32 v4, s3, v90
	v_add3_u32 v27, v53, v27, v52
	v_add3_u32 v41, v53, v41, v52
	v_mad_nc_u64_u32 v[38:39], s6, v18, s[8:9]
	v_lshlrev_b64_e32 v[6:7], 1, v[6:7]
	v_add3_u32 v31, v56, v31, v17
	v_add3_u32 v45, v56, v45, v17
	v_mul_lo_u32 v19, s6, v19
	v_add3_u32 v47, v16, v47, v3
	v_add3_u32 v51, v16, v51, v3
	v_lshlrev_b64_e32 v[16:17], 1, v[32:33]
	v_add_nc_u64_e32 v[58:59], s[8:9], v[6:7]
	v_add_nc_u64_e32 v[60:61], s[10:11], v[6:7]
	v_mul_lo_u32 v57, s7, v18
	v_mad_nc_u64_u32 v[48:49], s6, v18, s[10:11]
	s_mov_b32 s3, 0
	v_add3_u32 v29, v55, v29, v54
	v_lshlrev_b64_e32 v[6:7], 1, v[12:13]
	v_add_nc_u64_e32 v[12:13], s[6:7], v[32:33]
	v_mov_b32_e32 v32, 0
	v_lshlrev_b64_e32 v[52:53], 1, v[4:5]
	v_lshlrev_b64_e32 v[4:5], 1, v[10:11]
	;; [unrolled: 1-line block ×4, first 2 shown]
	v_add_nc_u64_e32 v[66:67], s[8:9], v[6:7]
	v_add_nc_u64_e32 v[68:69], s[10:11], v[6:7]
	v_lshlrev_b64_e32 v[6:7], 1, v[12:13]
	v_add3_u32 v43, v55, v43, v54
	v_add_nc_u64_e32 v[62:63], s[8:9], v[4:5]
	v_add_nc_u64_e32 v[64:65], s[10:11], v[4:5]
	v_lshlrev_b64_e32 v[4:5], 1, v[14:15]
	v_add3_u32 v39, v57, v39, v19
	v_add3_u32 v49, v57, v49, v19
	v_add_nc_u64_e32 v[54:55], s[8:9], v[16:17]
	v_add_nc_u64_e32 v[56:57], s[10:11], v[16:17]
	;; [unrolled: 1-line block ×10, first 2 shown]
	s_wait_kmcnt 0x0
	s_lshl_b32 s20, s2, 7
	s_mov_b32 s21, s3
	v_mov_b32_e32 v33, v2
	s_mul_u64 s[38:39], s[6:7], s[20:21]
	s_mov_b64 s[8:9], 0xffffffffffffff81
	s_mov_b64 s[10:11], 0xffffffffffffff82
	s_add_nc_u64 s[36:37], s[0:1], 64
	s_lshl_b64 s[38:39], s[38:39], 1
	s_add_nc_u64 s[40:41], s[18:19], 0x7f
	s_branch .LBB90_55
.LBB90_52:                              ;   in Loop: Header=BB90_55 Depth=1
	s_wait_xcnt 0x0
	s_or_b32 exec_lo, exec_lo, s17
.LBB90_53:                              ;   in Loop: Header=BB90_55 Depth=1
	s_delay_alu instid0(SALU_CYCLE_1)
	s_or_b32 exec_lo, exec_lo, s2
	v_add_nc_u64_e32 v[4:5], v[54:55], v[52:53]
	v_add_nc_u64_e32 v[8:9], v[56:57], v[52:53]
	;; [unrolled: 1-line block ×5, first 2 shown]
	s_wait_loadcnt 0x1
	ds_bpermute_b32 v98, v2, v3 offset:12
	s_wait_loadcnt 0x0
	ds_bpermute_b32 v96, v2, v6 offset:8
	global_load_u16 v7, v[4:5], off
	global_load_u16 v16, v[8:9], off
	;; [unrolled: 1-line block ×3, first 2 shown]
	s_wait_xcnt 0x2
	v_add_nc_u64_e32 v[4:5], v[36:37], v[52:53]
	s_wait_xcnt 0x1
	v_add_nc_u64_e32 v[8:9], v[26:27], v[52:53]
	global_load_u16 v18, v[12:13], off
	global_load_u16 v19, v[14:15], off
	s_wait_xcnt 0x2
	v_add_nc_u64_e32 v[10:11], v[40:41], v[52:53]
	s_wait_xcnt 0x1
	v_add_nc_u64_e32 v[12:13], v[28:29], v[52:53]
	;; [unrolled: 2-line block ×3, first 2 shown]
	global_load_u16 v32, v[4:5], off
	global_load_u16 v33, v[8:9], off
	global_load_u16 v88, v[10:11], off
	s_wait_xcnt 0x2
	v_add_nc_u64_e32 v[4:5], v[30:31], v[52:53]
	s_wait_xcnt 0x1
	v_add_nc_u64_e32 v[8:9], v[44:45], v[52:53]
	global_load_u16 v89, v[12:13], off
	global_load_u16 v91, v[14:15], off
	s_wait_xcnt 0x2
	v_add_nc_u64_e32 v[10:11], v[46:47], v[52:53]
	s_wait_xcnt 0x1
	ds_bpermute_b32 v12, v2, v3 offset:4
	s_wait_xcnt 0x0
	ds_bpermute_b32 v14, v2, v3 offset:8
	ds_bpermute_b32 v100, v2, v3 offset:16
	global_load_u16 v13, v[4:5], off
	s_wait_xcnt 0x0
	v_add_nc_u64_e32 v[4:5], v[48:49], v[52:53]
	global_load_u16 v15, v[8:9], off
	s_wait_xcnt 0x0
	v_add_nc_u64_e32 v[8:9], v[38:39], v[52:53]
	ds_bpermute_b32 v97, v2, v6 offset:12
	ds_bpermute_b32 v99, v2, v6 offset:16
	;; [unrolled: 1-line block ×4, first 2 shown]
	global_load_u16 v92, v[4:5], off
	s_wait_xcnt 0x0
	v_add_nc_u64_e32 v[4:5], v[50:51], v[52:53]
	global_load_u16 v93, v[8:9], off
	global_load_u16 v94, v[4:5], off
	;; [unrolled: 1-line block ×3, first 2 shown]
	s_wait_xcnt 0x2
	ds_bpermute_b32 v9, v2, v3
	s_wait_xcnt 0x1
	ds_bpermute_b32 v5, v2, v6
	s_wait_xcnt 0x0
	ds_bpermute_b32 v11, v2, v6 offset:4
	ds_bpermute_b32 v103, v2, v6 offset:24
	;; [unrolled: 1-line block ×5, first 2 shown]
	s_wait_loadcnt 0xf
	v_cvt_f32_f16_e32 v4, v7
	s_wait_loadcnt 0xe
	v_cvt_f32_f16_e32 v10, v16
	;; [unrolled: 2-line block ×5, first 2 shown]
	s_wait_dscnt 0x6
	s_delay_alu instid0(VALU_DEP_2) | instskip(SKIP_2) | instid1(VALU_DEP_2)
	v_dual_sub_f32 v9, v10, v9 :: v_dual_sub_f32 v7, v7, v12
	s_wait_loadcnt 0xa
	v_cvt_f32_f16_e32 v16, v32
	v_mul_f32_e32 v9, v9, v4
	s_wait_loadcnt 0x8
	v_cvt_f32_f16_e32 v17, v88
	v_cvt_f32_f16_e32 v10, v33
	s_wait_loadcnt 0x6
	v_cvt_f32_f16_e32 v18, v91
	v_sub_f32_e32 v16, v16, v14
	s_wait_dscnt 0x5
	v_dual_mul_f32 v7, v7, v6 :: v_dual_mul_f32 v5, v9, v5
	v_sub_f32_e32 v9, v17, v98
	s_wait_loadcnt 0x5
	v_cvt_f32_f16_e32 v14, v13
	s_wait_dscnt 0x4
	v_dual_mul_f32 v13, v16, v8 :: v_dual_mul_f32 v7, v7, v11
	v_pk_add_f32 v[4:5], v[86:87], v[4:5]
	v_cvt_f32_f16_e32 v12, v89
	s_wait_loadcnt 0x4
	v_cvt_f32_f16_e32 v11, v15
	v_dual_sub_f32 v15, v18, v100 :: v_dual_mul_f32 v16, v9, v10
	v_mul_f32_e32 v9, v13, v96
	v_pk_add_f32 v[4:5], v[4:5], v[6:7]
	s_wait_loadcnt 0x3
	v_cvt_f32_f16_e32 v7, v92
	v_sub_f32_e32 v13, v11, v102
	v_dual_mul_f32 v15, v15, v12 :: v_dual_mul_f32 v11, v16, v97
	v_pk_add_f32 v[4:5], v[4:5], v[8:9]
	s_wait_loadcnt 0x2
	v_cvt_f32_f16_e32 v6, v93
	s_wait_dscnt 0x1
	v_dual_sub_f32 v7, v7, v104 :: v_dual_mul_f32 v9, v13, v14
	v_mul_f32_e32 v13, v15, v99
	v_pk_add_f32 v[4:5], v[4:5], v[10:11]
	s_wait_loadcnt 0x1
	v_cvt_f32_f16_e32 v10, v94
	s_wait_loadcnt 0x0
	v_cvt_f32_f16_e32 v8, v95
	v_dual_mul_f32 v7, v7, v6 :: v_dual_mul_f32 v15, v9, v101
	v_pk_add_f32 v[4:5], v[4:5], v[12:13]
	s_wait_dscnt 0x0
	v_sub_f32_e32 v3, v10, v3
	s_delay_alu instid0(VALU_DEP_3) | instskip(NEXT) | instid1(VALU_DEP_3)
	v_mul_f32_e32 v7, v7, v103
	v_pk_add_f32 v[4:5], v[4:5], v[14:15]
	s_delay_alu instid0(VALU_DEP_3) | instskip(NEXT) | instid1(VALU_DEP_2)
	v_mul_f32_e32 v3, v3, v8
	v_pk_add_f32 v[4:5], v[4:5], v[6:7]
	s_delay_alu instid0(VALU_DEP_2) | instskip(NEXT) | instid1(VALU_DEP_1)
	v_mul_f32_e32 v9, v3, v105
	v_pk_add_f32 v[32:33], v[4:5], v[8:9]
.LBB90_54:                              ;   in Loop: Header=BB90_55 Depth=1
	s_add_nc_u64 s[18:19], s[18:19], s[20:21]
	v_add_nc_u64_e32 v[54:55], s[38:39], v[54:55]
	v_cmp_ge_i64_e64 s2, s[18:19], s[4:5]
	v_add_nc_u64_e32 v[56:57], s[38:39], v[56:57]
	v_add_nc_u64_e32 v[22:23], s[38:39], v[22:23]
	v_add_nc_u64_e32 v[24:25], s[38:39], v[24:25]
	v_add_nc_u64_e32 v[26:27], s[38:39], v[26:27]
	v_add_nc_u64_e32 v[28:29], s[38:39], v[28:29]
	v_add_nc_u64_e32 v[30:31], s[38:39], v[30:31]
	v_add_nc_u64_e32 v[38:39], s[38:39], v[38:39]
	v_add_nc_u64_e32 v[46:47], s[38:39], v[46:47]
	v_add_nc_u64_e32 v[34:35], s[38:39], v[34:35]
	v_add_nc_u64_e32 v[36:37], s[38:39], v[36:37]
	v_add_nc_u64_e32 v[40:41], s[38:39], v[40:41]
	v_add_nc_u64_e32 v[42:43], s[38:39], v[42:43]
	v_add_nc_u64_e32 v[44:45], s[38:39], v[44:45]
	v_add_nc_u64_e32 v[48:49], s[38:39], v[48:49]
	v_add_nc_u64_e32 v[50:51], s[38:39], v[50:51]
	v_add_nc_u64_e32 v[58:59], s[38:39], v[58:59]
	v_add_nc_u64_e32 v[60:61], s[38:39], v[60:61]
	v_add_nc_u64_e32 v[62:63], s[38:39], v[62:63]
	v_add_nc_u64_e32 v[64:65], s[38:39], v[64:65]
	v_add_nc_u64_e32 v[66:67], s[38:39], v[66:67]
	v_add_nc_u64_e32 v[68:69], s[38:39], v[68:69]
	v_add_nc_u64_e32 v[70:71], s[38:39], v[70:71]
	v_add_nc_u64_e32 v[72:73], s[38:39], v[72:73]
	v_add_nc_u64_e32 v[74:75], s[38:39], v[74:75]
	v_add_nc_u64_e32 v[76:77], s[38:39], v[76:77]
	v_add_nc_u64_e32 v[78:79], s[38:39], v[78:79]
	v_add_nc_u64_e32 v[80:81], s[38:39], v[80:81]
	v_add_nc_u64_e32 v[82:83], s[38:39], v[82:83]
	v_add_nc_u64_e32 v[84:85], s[38:39], v[84:85]
	s_and_b32 vcc_lo, exec_lo, s2
	s_add_nc_u64 s[40:41], s[40:41], s[20:21]
	s_cbranch_vccnz .LBB90_81
.LBB90_55:                              ; =>This Inner Loop Header: Depth=1
	v_cmp_ge_i64_e64 s2, s[40:41], s[4:5]
	v_add_nc_u64_e32 v[88:89], s[40:41], v[20:21]
	v_dual_mov_b32 v86, v32 :: v_dual_mov_b32 v87, v33
                                        ; implicit-def: $vgpr33
	s_and_b32 vcc_lo, exec_lo, s2
	s_mov_b32 s2, -1
	s_cbranch_vccz .LBB90_77
; %bb.56:                               ;   in Loop: Header=BB90_55 Depth=1
	s_load_b32 s2, s[36:37], 0xc
	v_dual_mov_b32 v33, 0 :: v_dual_mov_b32 v32, 0
	s_wait_kmcnt 0x0
	s_and_b32 s2, s2, 0xffff
	s_delay_alu instid0(SALU_CYCLE_1) | instskip(SKIP_1) | instid1(VALU_DEP_1)
	v_mad_u32_u24 v3, v1, s2, v90
	s_mov_b32 s2, exec_lo
	v_and_b32_e32 v4, 31, v3
	s_delay_alu instid0(VALU_DEP_1)
	v_cmpx_gt_u32_e32 8, v4
	s_cbranch_execz .LBB90_60
; %bb.57:                               ;   in Loop: Header=BB90_55 Depth=1
	v_dual_mov_b32 v5, v2 :: v_dual_mov_b32 v33, 0
	v_mov_b32_e32 v32, 0
	s_mov_b32 s17, exec_lo
	s_delay_alu instid0(VALU_DEP_2) | instskip(NEXT) | instid1(VALU_DEP_1)
	v_add_nc_u64_e32 v[4:5], v[88:89], v[4:5]
	v_add_nc_u64_e32 v[4:5], s[8:9], v[4:5]
	s_delay_alu instid0(VALU_DEP_1)
	v_cmpx_gt_i64_e64 s[4:5], v[4:5]
	s_cbranch_execz .LBB90_59
; %bb.58:                               ;   in Loop: Header=BB90_55 Depth=1
	v_lshlrev_b64_e32 v[4:5], 2, v[4:5]
	s_delay_alu instid0(VALU_DEP_1)
	v_add_nc_u64_e32 v[6:7], s[12:13], v[4:5]
	v_add_nc_u64_e32 v[4:5], s[14:15], v[4:5]
	global_load_b32 v33, v[6:7], off
	global_load_b32 v32, v[4:5], off
.LBB90_59:                              ;   in Loop: Header=BB90_55 Depth=1
	s_wait_xcnt 0x0
	s_or_b32 exec_lo, exec_lo, s17
.LBB90_60:                              ;   in Loop: Header=BB90_55 Depth=1
	s_delay_alu instid0(SALU_CYCLE_1)
	s_or_b32 exec_lo, exec_lo, s2
	v_add_nc_u64_e32 v[10:11], s[8:9], v[88:89]
	v_dual_mov_b32 v7, v2 :: v_dual_mov_b32 v8, v2
	v_dual_mov_b32 v9, v2 :: v_dual_mov_b32 v3, v2
	;; [unrolled: 1-line block ×3, first 2 shown]
	v_mov_b32_e32 v6, v2
	s_delay_alu instid0(VALU_DEP_3)
	v_mov_b64_e32 v[18:19], v[8:9]
	v_cmp_gt_i64_e32 vcc_lo, s[4:5], v[10:11]
	v_mov_b64_e32 v[12:13], v[2:3]
	v_mov_b64_e32 v[14:15], v[4:5]
	;; [unrolled: 1-line block ×7, first 2 shown]
	s_and_saveexec_b32 s2, vcc_lo
	s_cbranch_execz .LBB90_62
; %bb.61:                               ;   in Loop: Header=BB90_55 Depth=1
	v_add_nc_u64_e32 v[4:5], v[54:55], v[52:53]
	v_add_nc_u64_e32 v[6:7], v[56:57], v[52:53]
	v_dual_mov_b32 v9, v2 :: v_dual_mov_b32 v10, v2
	v_dual_mov_b32 v11, v2 :: v_dual_mov_b32 v13, v2
	v_dual_mov_b32 v14, v2 :: v_dual_mov_b32 v15, v2
	global_load_u16 v3, v[4:5], off
	global_load_u16 v12, v[6:7], off
	s_wait_xcnt 0x0
	v_dual_mov_b32 v5, v2 :: v_dual_mov_b32 v6, v2
	v_dual_mov_b32 v7, v2 :: v_dual_mov_b32 v8, v2
	;; [unrolled: 1-line block ×4, first 2 shown]
	s_wait_loadcnt 0x1
	v_cvt_f32_f16_e32 v4, v3
	s_wait_loadcnt 0x0
	v_cvt_f32_f16_e32 v12, v12
.LBB90_62:                              ;   in Loop: Header=BB90_55 Depth=1
	s_or_b32 exec_lo, exec_lo, s2
	v_add_nc_u64_e32 v[92:93], s[10:11], v[88:89]
	s_mov_b32 s2, exec_lo
	s_delay_alu instid0(VALU_DEP_1)
	v_cmpx_gt_i64_e64 s[4:5], v[92:93]
	s_cbranch_execz .LBB90_64
; %bb.63:                               ;   in Loop: Header=BB90_55 Depth=1
	v_add_nc_u64_e32 v[92:93], v[82:83], v[52:53]
	v_add_nc_u64_e32 v[94:95], v[84:85], v[52:53]
	global_load_u16 v3, v[92:93], off
	global_load_u16 v13, v[94:95], off
	s_wait_loadcnt 0x1
	v_cvt_f32_f16_e32 v5, v3
	s_wait_loadcnt 0x0
	v_cvt_f32_f16_e32 v13, v13
.LBB90_64:                              ;   in Loop: Header=BB90_55 Depth=1
	s_or_b32 exec_lo, exec_lo, s2
	v_add_nc_u64_e32 v[92:93], s[22:23], v[88:89]
	s_mov_b32 s2, exec_lo
	s_delay_alu instid0(VALU_DEP_1)
	v_cmpx_gt_i64_e64 s[4:5], v[92:93]
	s_cbranch_execz .LBB90_66
; %bb.65:                               ;   in Loop: Header=BB90_55 Depth=1
	v_add_nc_u64_e32 v[92:93], v[78:79], v[52:53]
	v_add_nc_u64_e32 v[94:95], v[80:81], v[52:53]
	global_load_u16 v3, v[92:93], off
	global_load_u16 v14, v[94:95], off
	s_wait_loadcnt 0x1
	v_cvt_f32_f16_e32 v6, v3
	s_wait_loadcnt 0x0
	v_cvt_f32_f16_e32 v14, v14
.LBB90_66:                              ;   in Loop: Header=BB90_55 Depth=1
	;; [unrolled: 16-line block ×7, first 2 shown]
	s_or_b32 exec_lo, exec_lo, s2
	s_wait_loadcnt 0x1
	ds_bpermute_b32 v3, v2, v33
	ds_bpermute_b32 v91, v2, v33 offset:4
	ds_bpermute_b32 v93, v2, v33 offset:8
	s_wait_loadcnt 0x0
	ds_bpermute_b32 v94, v2, v32
	ds_bpermute_b32 v95, v2, v33 offset:12
	ds_bpermute_b32 v96, v2, v32 offset:4
	;; [unrolled: 1-line block ×10, first 2 shown]
	s_mov_b32 s2, 0
	s_wait_dscnt 0xd
	v_dual_mov_b32 v92, v6 :: v_dual_sub_f32 v3, v12, v3
	s_wait_dscnt 0xc
	v_dual_mov_b32 v12, v4 :: v_dual_sub_f32 v13, v13, v91
	s_wait_dscnt 0x9
	v_sub_f32_e32 v15, v15, v95
	v_dual_mul_f32 v3, v4, v3 :: v_dual_mov_b32 v4, v5
	v_sub_f32_e32 v14, v14, v93
	s_wait_dscnt 0x6
	v_dual_mul_f32 v5, v5, v13 :: v_dual_sub_f32 v16, v16, v100
	s_delay_alu instid0(VALU_DEP_3) | instskip(SKIP_4) | instid1(VALU_DEP_3)
	v_mul_f32_e32 v13, v3, v94
	ds_bpermute_b32 v3, v2, v33 offset:28
	v_dual_mul_f32 v14, v6, v14 :: v_dual_mul_f32 v5, v5, v96
	v_mov_b32_e32 v6, v7
	v_pk_add_f32 v[12:13], v[86:87], v[12:13]
	v_dual_mul_f32 v7, v7, v15 :: v_dual_mul_f32 v93, v14, v97
	ds_bpermute_b32 v14, v2, v32 offset:28
	v_mul_f32_e32 v15, v8, v16
	v_pk_add_f32 v[4:5], v[4:5], v[12:13]
	s_wait_dscnt 0x6
	v_sub_f32_e32 v13, v17, v102
	v_dual_mul_f32 v7, v7, v98 :: v_dual_mov_b32 v12, v8
	s_wait_dscnt 0x4
	v_sub_f32_e32 v8, v18, v104
	v_pk_add_f32 v[4:5], v[92:93], v[4:5]
	v_dual_mul_f32 v16, v9, v13 :: v_dual_mul_f32 v13, v15, v99
	s_delay_alu instid0(VALU_DEP_2) | instskip(SKIP_2) | instid1(VALU_DEP_3)
	v_pk_add_f32 v[4:5], v[6:7], v[4:5]
	s_wait_dscnt 0x1
	v_dual_mov_b32 v6, v9 :: v_dual_sub_f32 v3, v19, v3
	v_dual_mul_f32 v9, v10, v8 :: v_dual_mul_f32 v7, v16, v101
	v_mov_b32_e32 v8, v10
	v_pk_add_f32 v[4:5], v[12:13], v[4:5]
	s_delay_alu instid0(VALU_DEP_4) | instskip(NEXT) | instid1(VALU_DEP_2)
	v_mul_f32_e32 v3, v11, v3
	v_pk_add_f32 v[4:5], v[6:7], v[4:5]
	v_dual_mov_b32 v6, v11 :: v_dual_mul_f32 v9, v9, v103
	s_wait_dscnt 0x0
	s_delay_alu instid0(VALU_DEP_3) | instskip(NEXT) | instid1(VALU_DEP_2)
	v_mul_f32_e32 v7, v3, v14
	v_pk_add_f32 v[4:5], v[8:9], v[4:5]
	s_delay_alu instid0(VALU_DEP_1)
	v_pk_add_f32 v[32:33], v[6:7], v[4:5]
.LBB90_77:                              ;   in Loop: Header=BB90_55 Depth=1
	s_and_b32 vcc_lo, exec_lo, s2
	s_cbranch_vccz .LBB90_54
; %bb.78:                               ;   in Loop: Header=BB90_55 Depth=1
	s_load_b32 s2, s[36:37], 0x0
	v_mov_b32_e32 v6, 0
	s_wait_kmcnt 0x0
	s_cmp_lt_u32 s16, s2
	s_cselect_b32 s2, 12, 18
	s_delay_alu instid0(SALU_CYCLE_1) | instskip(SKIP_4) | instid1(VALU_DEP_1)
	s_add_nc_u64 s[42:43], s[36:37], s[2:3]
	s_load_u16 s2, s[42:43], 0x0
	s_wait_kmcnt 0x0
	v_mad_u32_u24 v3, v1, s2, v90
	s_mov_b32 s2, exec_lo
	v_dual_mov_b32 v3, 0 :: v_dual_bitop2_b32 v4, 31, v3 bitop3:0x40
	s_delay_alu instid0(VALU_DEP_1)
	v_cmpx_gt_u32_e32 8, v4
	s_cbranch_execz .LBB90_53
; %bb.79:                               ;   in Loop: Header=BB90_55 Depth=1
	v_dual_mov_b32 v5, v2 :: v_dual_mov_b32 v3, 0
	v_mov_b32_e32 v6, 0
	s_mov_b32 s17, exec_lo
	s_delay_alu instid0(VALU_DEP_2) | instskip(NEXT) | instid1(VALU_DEP_1)
	v_add_nc_u64_e32 v[4:5], v[88:89], v[4:5]
	v_add_nc_u64_e32 v[4:5], s[8:9], v[4:5]
	s_delay_alu instid0(VALU_DEP_1)
	v_cmpx_gt_i64_e64 s[4:5], v[4:5]
	s_cbranch_execz .LBB90_52
; %bb.80:                               ;   in Loop: Header=BB90_55 Depth=1
	v_lshlrev_b64_e32 v[4:5], 2, v[4:5]
	s_delay_alu instid0(VALU_DEP_1)
	v_add_nc_u64_e32 v[8:9], s[12:13], v[4:5]
	v_add_nc_u64_e32 v[4:5], s[14:15], v[4:5]
	global_load_b32 v3, v[8:9], off
	global_load_b32 v6, v[4:5], off
	s_branch .LBB90_52
.LBB90_81:
	v_and_b32_e32 v1, 0x3ff, v0
	v_bfe_u32 v2, v0, 10, 10
	v_bfe_u32 v0, v0, 5, 5
	s_mov_b32 s2, exec_lo
	s_delay_alu instid0(VALU_DEP_2) | instskip(NEXT) | instid1(VALU_DEP_2)
	v_mad_u32_u24 v3, v2, 33, v1
	v_add_nc_u32_e32 v0, v0, v2
	s_delay_alu instid0(VALU_DEP_2)
	v_lshl_add_u32 v2, v3, 2, 0
	ds_store_b32 v2, v33
	ds_store_b32 v2, v32 offset:2112
	s_wait_dscnt 0x0
	s_barrier_signal -1
	s_barrier_wait -1
	v_cmpx_gt_u32_e32 32, v0
	s_cbranch_execz .LBB90_97
; %bb.82:
	s_load_b128 s[8:11], s[0:1], 0x30
	v_and_b32_e32 v2, 31, v1
	s_wait_xcnt 0x0
	s_delay_alu instid0(VALU_DEP_1)
	v_cmp_gt_u32_e64 s0, 16, v2
	v_mul_u32_u24_e32 v6, 33, v2
                                        ; implicit-def: $vgpr2
	s_and_saveexec_b32 s1, s0
	s_cbranch_execz .LBB90_84
; %bb.83:
	s_delay_alu instid0(VALU_DEP_1) | instskip(NEXT) | instid1(VALU_DEP_1)
	v_add_nc_u32_e32 v2, v0, v6
	v_lshl_add_u32 v2, v2, 2, 0
	ds_load_b32 v3, v2
	ds_load_b32 v2, v2 offset:2112
.LBB90_84:
	s_or_b32 exec_lo, exec_lo, s1
	v_mbcnt_lo_u32_b32 v10, -1, 0
	s_mov_b32 s17, 0
	v_cmp_eq_u32_e64 s1, 0, v1
	s_lshl_b64 s[2:3], s[16:17], 5
	s_wait_kmcnt 0x0
	s_cmp_lg_u64 s[8:9], 0
	v_xor_b32_e32 v8, 4, v10
	v_dual_mov_b32 v1, 0 :: v_dual_bitop2_b32 v4, 8, v10 bitop3:0x14
	s_cselect_b32 s5, -1, 0
	s_cmp_lg_u64 s[10:11], 0
	v_xor_b32_e32 v9, 2, v10
	s_delay_alu instid0(VALU_DEP_2)
	v_cmp_gt_i32_e32 vcc_lo, 32, v4
	s_cselect_b32 s4, -1, 0
	v_dual_cndmask_b32 v4, v10, v4, vcc_lo :: v_dual_bitop2_b32 v11, 1, v10 bitop3:0x14
	v_cmp_gt_i32_e32 vcc_lo, 32, v8
	v_cndmask_b32_e32 v8, v10, v8, vcc_lo
	v_cmp_gt_i32_e32 vcc_lo, 32, v9
	s_delay_alu instid0(VALU_DEP_4) | instskip(NEXT) | instid1(VALU_DEP_3)
	v_lshlrev_b32_e32 v7, 2, v4
	v_dual_cndmask_b32 v9, v10, v9 :: v_dual_lshlrev_b32 v8, 2, v8
	s_wait_dscnt 0x1
	ds_bpermute_b32 v5, v7, v3
	s_wait_dscnt 0x1
	ds_bpermute_b32 v4, v7, v2
	v_cmp_gt_i32_e32 vcc_lo, 32, v11
	v_dual_cndmask_b32 v10, v10, v11 :: v_dual_lshlrev_b32 v9, 2, v9
	s_wait_dscnt 0x0
	v_pk_add_f32 v[2:3], v[2:3], v[4:5]
	ds_bpermute_b32 v5, v8, v3
	ds_bpermute_b32 v4, v8, v2
	s_wait_dscnt 0x0
	v_pk_add_f32 v[2:3], v[2:3], v[4:5]
	ds_bpermute_b32 v5, v9, v3
	ds_bpermute_b32 v4, v9, v2
	s_wait_dscnt 0x0
	v_pk_add_f32 v[2:3], v[2:3], v[4:5]
	v_dual_lshlrev_b32 v10, 2, v10 :: v_dual_bitop2_b32 v4, s2, v0 bitop3:0x54
	v_mov_b32_e32 v5, s3
	ds_bpermute_b32 v13, v10, v3
	ds_bpermute_b32 v12, v10, v2
	v_cmp_gt_i64_e32 vcc_lo, s[6:7], v[4:5]
	s_and_b32 s13, s1, vcc_lo
	s_wait_dscnt 0x0
	v_pk_add_f32 v[2:3], v[2:3], v[12:13]
	s_and_saveexec_b32 s12, s13
	s_cbranch_execz .LBB90_89
; %bb.85:
	s_and_not1_b32 vcc_lo, exec_lo, s5
	s_cbranch_vccnz .LBB90_87
; %bb.86:
	v_lshl_add_u64 v[12:13], v[4:5], 1, s[8:9]
	v_cvt_f16_f32_e32 v11, v3
	global_store_b16 v[12:13], v11, off
.LBB90_87:
	s_and_not1_b32 vcc_lo, exec_lo, s4
	s_cbranch_vccnz .LBB90_89
; %bb.88:
	v_lshl_add_u64 v[4:5], v[4:5], 1, s[10:11]
	s_wait_xcnt 0x0
	v_cvt_f16_f32_e32 v11, v2
	global_store_b16 v[4:5], v11, off
.LBB90_89:
	s_wait_xcnt 0x0
	s_or_b32 exec_lo, exec_lo, s12
	v_cmp_gt_u32_e32 vcc_lo, 16, v0
	s_and_b32 exec_lo, exec_lo, vcc_lo
	s_cbranch_execz .LBB90_97
; %bb.90:
	s_and_saveexec_b32 s12, s0
	s_cbranch_execz .LBB90_92
; %bb.91:
	v_add_nc_u32_e32 v2, v0, v6
	s_delay_alu instid0(VALU_DEP_1)
	v_lshl_add_u32 v2, v2, 2, 0
	ds_load_b32 v3, v2 offset:64
	ds_load_b32 v2, v2 offset:2176
.LBB90_92:
	s_or_b32 exec_lo, exec_lo, s12
	s_wait_dscnt 0x1
	ds_bpermute_b32 v4, v7, v3
	s_wait_dscnt 0x1
	ds_bpermute_b32 v5, v7, v2
	v_dual_mov_b32 v7, s3 :: v_dual_add_nc_u32 v6, 16, v0
	s_delay_alu instid0(VALU_DEP_1) | instskip(NEXT) | instid1(VALU_DEP_1)
	v_or_b32_e32 v6, s2, v6
	v_cmp_gt_i64_e32 vcc_lo, s[6:7], v[6:7]
	s_and_b32 s0, s1, vcc_lo
	s_wait_dscnt 0x0
	v_dual_add_f32 v3, v3, v4 :: v_dual_add_f32 v2, v2, v5
	ds_bpermute_b32 v4, v8, v3
	ds_bpermute_b32 v5, v8, v2
	s_wait_dscnt 0x0
	v_dual_add_f32 v3, v3, v4 :: v_dual_add_f32 v2, v2, v5
	ds_bpermute_b32 v4, v9, v3
	ds_bpermute_b32 v5, v9, v2
	;; [unrolled: 4-line block ×3, first 2 shown]
	s_and_b32 exec_lo, exec_lo, s0
	s_cbranch_execz .LBB90_97
; %bb.93:
	v_add_nc_u64_e32 v[0:1], s[2:3], v[0:1]
	s_and_not1_b32 vcc_lo, exec_lo, s5
	s_cbranch_vccnz .LBB90_95
; %bb.94:
	s_wait_dscnt 0x1
	v_add_f32_e32 v6, v4, v5
	s_delay_alu instid0(VALU_DEP_2) | instskip(NEXT) | instid1(VALU_DEP_2)
	v_lshl_add_u64 v[4:5], v[0:1], 1, s[8:9]
	v_cvt_f16_f32_e32 v6, v6
	global_store_b16 v[4:5], v6, off offset:32
.LBB90_95:
	s_and_not1_b32 vcc_lo, exec_lo, s4
	s_cbranch_vccnz .LBB90_97
; %bb.96:
	s_wait_dscnt 0x0
	v_add_f32_e32 v2, v2, v3
	v_lshl_add_u64 v[0:1], v[0:1], 1, s[10:11]
	s_delay_alu instid0(VALU_DEP_2)
	v_cvt_f16_f32_e32 v2, v2
	global_store_b16 v[0:1], v2, off offset:32
.LBB90_97:
	s_sendmsg sendmsg(MSG_DEALLOC_VGPRS)
	s_endpgm
	.section	.rodata,"a",@progbits
	.p2align	6, 0x0
	.amdhsa_kernel _ZN2at6native12_GLOBAL__N_135GammaBetaBackwardCUDAKernelTemplateIN3c104HalfEfLj32ELj16ELj128ELb0ELb0ELb0EEEvllPKT_S7_PKT0_SA_PS5_SB_
		.amdhsa_group_segment_fixed_size 0
		.amdhsa_private_segment_fixed_size 0
		.amdhsa_kernarg_size 320
		.amdhsa_user_sgpr_count 2
		.amdhsa_user_sgpr_dispatch_ptr 0
		.amdhsa_user_sgpr_queue_ptr 0
		.amdhsa_user_sgpr_kernarg_segment_ptr 1
		.amdhsa_user_sgpr_dispatch_id 0
		.amdhsa_user_sgpr_kernarg_preload_length 0
		.amdhsa_user_sgpr_kernarg_preload_offset 0
		.amdhsa_user_sgpr_private_segment_size 0
		.amdhsa_wavefront_size32 1
		.amdhsa_uses_dynamic_stack 0
		.amdhsa_enable_private_segment 0
		.amdhsa_system_sgpr_workgroup_id_x 1
		.amdhsa_system_sgpr_workgroup_id_y 1
		.amdhsa_system_sgpr_workgroup_id_z 0
		.amdhsa_system_sgpr_workgroup_info 0
		.amdhsa_system_vgpr_workitem_id 1
		.amdhsa_next_free_vgpr 106
		.amdhsa_next_free_sgpr 52
		.amdhsa_named_barrier_count 0
		.amdhsa_reserve_vcc 1
		.amdhsa_float_round_mode_32 0
		.amdhsa_float_round_mode_16_64 0
		.amdhsa_float_denorm_mode_32 3
		.amdhsa_float_denorm_mode_16_64 3
		.amdhsa_fp16_overflow 0
		.amdhsa_memory_ordered 1
		.amdhsa_forward_progress 1
		.amdhsa_inst_pref_size 57
		.amdhsa_round_robin_scheduling 0
		.amdhsa_exception_fp_ieee_invalid_op 0
		.amdhsa_exception_fp_denorm_src 0
		.amdhsa_exception_fp_ieee_div_zero 0
		.amdhsa_exception_fp_ieee_overflow 0
		.amdhsa_exception_fp_ieee_underflow 0
		.amdhsa_exception_fp_ieee_inexact 0
		.amdhsa_exception_int_div_zero 0
	.end_amdhsa_kernel
	.section	.text._ZN2at6native12_GLOBAL__N_135GammaBetaBackwardCUDAKernelTemplateIN3c104HalfEfLj32ELj16ELj128ELb0ELb0ELb0EEEvllPKT_S7_PKT0_SA_PS5_SB_,"axG",@progbits,_ZN2at6native12_GLOBAL__N_135GammaBetaBackwardCUDAKernelTemplateIN3c104HalfEfLj32ELj16ELj128ELb0ELb0ELb0EEEvllPKT_S7_PKT0_SA_PS5_SB_,comdat
.Lfunc_end90:
	.size	_ZN2at6native12_GLOBAL__N_135GammaBetaBackwardCUDAKernelTemplateIN3c104HalfEfLj32ELj16ELj128ELb0ELb0ELb0EEEvllPKT_S7_PKT0_SA_PS5_SB_, .Lfunc_end90-_ZN2at6native12_GLOBAL__N_135GammaBetaBackwardCUDAKernelTemplateIN3c104HalfEfLj32ELj16ELj128ELb0ELb0ELb0EEEvllPKT_S7_PKT0_SA_PS5_SB_
                                        ; -- End function
	.set _ZN2at6native12_GLOBAL__N_135GammaBetaBackwardCUDAKernelTemplateIN3c104HalfEfLj32ELj16ELj128ELb0ELb0ELb0EEEvllPKT_S7_PKT0_SA_PS5_SB_.num_vgpr, 106
	.set _ZN2at6native12_GLOBAL__N_135GammaBetaBackwardCUDAKernelTemplateIN3c104HalfEfLj32ELj16ELj128ELb0ELb0ELb0EEEvllPKT_S7_PKT0_SA_PS5_SB_.num_agpr, 0
	.set _ZN2at6native12_GLOBAL__N_135GammaBetaBackwardCUDAKernelTemplateIN3c104HalfEfLj32ELj16ELj128ELb0ELb0ELb0EEEvllPKT_S7_PKT0_SA_PS5_SB_.numbered_sgpr, 52
	.set _ZN2at6native12_GLOBAL__N_135GammaBetaBackwardCUDAKernelTemplateIN3c104HalfEfLj32ELj16ELj128ELb0ELb0ELb0EEEvllPKT_S7_PKT0_SA_PS5_SB_.num_named_barrier, 0
	.set _ZN2at6native12_GLOBAL__N_135GammaBetaBackwardCUDAKernelTemplateIN3c104HalfEfLj32ELj16ELj128ELb0ELb0ELb0EEEvllPKT_S7_PKT0_SA_PS5_SB_.private_seg_size, 0
	.set _ZN2at6native12_GLOBAL__N_135GammaBetaBackwardCUDAKernelTemplateIN3c104HalfEfLj32ELj16ELj128ELb0ELb0ELb0EEEvllPKT_S7_PKT0_SA_PS5_SB_.uses_vcc, 1
	.set _ZN2at6native12_GLOBAL__N_135GammaBetaBackwardCUDAKernelTemplateIN3c104HalfEfLj32ELj16ELj128ELb0ELb0ELb0EEEvllPKT_S7_PKT0_SA_PS5_SB_.uses_flat_scratch, 0
	.set _ZN2at6native12_GLOBAL__N_135GammaBetaBackwardCUDAKernelTemplateIN3c104HalfEfLj32ELj16ELj128ELb0ELb0ELb0EEEvllPKT_S7_PKT0_SA_PS5_SB_.has_dyn_sized_stack, 0
	.set _ZN2at6native12_GLOBAL__N_135GammaBetaBackwardCUDAKernelTemplateIN3c104HalfEfLj32ELj16ELj128ELb0ELb0ELb0EEEvllPKT_S7_PKT0_SA_PS5_SB_.has_recursion, 0
	.set _ZN2at6native12_GLOBAL__N_135GammaBetaBackwardCUDAKernelTemplateIN3c104HalfEfLj32ELj16ELj128ELb0ELb0ELb0EEEvllPKT_S7_PKT0_SA_PS5_SB_.has_indirect_call, 0
	.section	.AMDGPU.csdata,"",@progbits
; Kernel info:
; codeLenInByte = 7196
; TotalNumSgprs: 54
; NumVgprs: 106
; ScratchSize: 0
; MemoryBound: 0
; FloatMode: 240
; IeeeMode: 1
; LDSByteSize: 0 bytes/workgroup (compile time only)
; SGPRBlocks: 0
; VGPRBlocks: 6
; NumSGPRsForWavesPerEU: 54
; NumVGPRsForWavesPerEU: 106
; NamedBarCnt: 0
; Occupancy: 9
; WaveLimiterHint : 0
; COMPUTE_PGM_RSRC2:SCRATCH_EN: 0
; COMPUTE_PGM_RSRC2:USER_SGPR: 2
; COMPUTE_PGM_RSRC2:TRAP_HANDLER: 0
; COMPUTE_PGM_RSRC2:TGID_X_EN: 1
; COMPUTE_PGM_RSRC2:TGID_Y_EN: 1
; COMPUTE_PGM_RSRC2:TGID_Z_EN: 0
; COMPUTE_PGM_RSRC2:TIDIG_COMP_CNT: 1
	.section	.text._ZN2at6native12_GLOBAL__N_135GammaBetaBackwardCUDAKernelTemplateIN3c104HalfEfLj32ELj32ELj256ELb0ELb1ELb0EEEvllPKT_S7_PKT0_SA_PS5_SB_,"axG",@progbits,_ZN2at6native12_GLOBAL__N_135GammaBetaBackwardCUDAKernelTemplateIN3c104HalfEfLj32ELj32ELj256ELb0ELb1ELb0EEEvllPKT_S7_PKT0_SA_PS5_SB_,comdat
	.globl	_ZN2at6native12_GLOBAL__N_135GammaBetaBackwardCUDAKernelTemplateIN3c104HalfEfLj32ELj32ELj256ELb0ELb1ELb0EEEvllPKT_S7_PKT0_SA_PS5_SB_ ; -- Begin function _ZN2at6native12_GLOBAL__N_135GammaBetaBackwardCUDAKernelTemplateIN3c104HalfEfLj32ELj32ELj256ELb0ELb1ELb0EEEvllPKT_S7_PKT0_SA_PS5_SB_
	.p2align	8
	.type	_ZN2at6native12_GLOBAL__N_135GammaBetaBackwardCUDAKernelTemplateIN3c104HalfEfLj32ELj32ELj256ELb0ELb1ELb0EEEvllPKT_S7_PKT0_SA_PS5_SB_,@function
_ZN2at6native12_GLOBAL__N_135GammaBetaBackwardCUDAKernelTemplateIN3c104HalfEfLj32ELj32ELj256ELb0ELb1ELb0EEEvllPKT_S7_PKT0_SA_PS5_SB_: ; @_ZN2at6native12_GLOBAL__N_135GammaBetaBackwardCUDAKernelTemplateIN3c104HalfEfLj32ELj32ELj256ELb0ELb1ELb0EEEvllPKT_S7_PKT0_SA_PS5_SB_
; %bb.0:
	s_load_b128 s[12:15], s[0:1], 0x0
	s_bfe_u32 s2, ttmp6, 0x40010
	s_bfe_u32 s3, ttmp6, 0x40004
	s_add_co_i32 s2, s2, 1
	s_getreg_b32 s24, hwreg(HW_REG_IB_STS2, 6, 4)
	s_mul_i32 s2, ttmp7, s2
	s_mov_b32 s17, 0
	s_add_co_i32 s3, s3, s2
	s_cmp_eq_u32 s24, 0
	v_bfe_u32 v11, v0, 10, 10
	s_cselect_b32 s2, ttmp7, s3
	s_delay_alu instid0(SALU_CYCLE_1)
	s_lshl_b32 s16, s2, 8
	s_wait_kmcnt 0x0
	v_cmp_gt_i64_e64 s2, s[12:13], s[16:17]
	s_and_b32 vcc_lo, exec_lo, s2
	s_cbranch_vccnz .LBB91_2
; %bb.1:
	v_bfe_u32 v1, v0, 10, 10
	s_mov_b32 s2, s17
	s_branch .LBB91_3
.LBB91_2:
	s_mov_b32 s2, -1
                                        ; implicit-def: $vgpr1
.LBB91_3:
	v_mov_b32_e32 v9, 0
	v_and_b32_e32 v10, 0x3ff, v0
	s_and_not1_b32 vcc_lo, exec_lo, s2
	s_delay_alu instid0(VALU_DEP_2)
	v_mov_b32_e32 v8, v9
	s_cbranch_vccnz .LBB91_11
; %bb.4:
	v_dual_mov_b32 v1, 0 :: v_dual_lshlrev_b32 v0, 3, v11
	s_load_b32 s2, s[0:1], 0x4c
	s_bfe_u32 s20, ttmp6, 0x4000c
	s_clause 0x1
	s_load_b32 s3, s[0:1], 0x44
	s_load_b256 s[4:11], s[0:1], 0x10
	s_add_co_i32 s20, s20, 1
	v_add_nc_u64_e32 v[2:3], s[16:17], v[0:1]
	s_and_b32 s18, ttmp6, 15
	s_mul_i32 s20, ttmp9, s20
	v_dual_mov_b32 v13, 12 :: v_dual_mov_b32 v5, v1
	s_add_co_i32 s18, s18, s20
	s_mov_b32 s19, 0
	s_delay_alu instid0(VALU_DEP_2)
	v_mul_u64_e32 v[6:7], s[14:15], v[2:3]
	v_dual_mov_b32 v0, 4 :: v_dual_mov_b32 v12, 8
	v_dual_mov_b32 v14, 16 :: v_dual_mov_b32 v15, 20
	;; [unrolled: 1-line block ×3, first 2 shown]
	s_wait_kmcnt 0x0
	s_and_b32 s2, s2, 0xffff
	s_cmp_eq_u32 s24, 0
	v_mad_u32_u24 v4, v11, s2, v10
	v_mov_b32_e32 v9, v1
	s_cselect_b32 s2, ttmp9, s18
	s_lshl_b32 s18, s3, 8
	v_lshl_add_u32 v8, s2, 5, v10
	v_and_b32_e32 v4, 31, v4
	s_mul_u64 s[22:23], s[14:15], s[18:19]
	s_lshl_b64 s[20:21], s[18:19], 2
	s_lshl_b64 s[22:23], s[22:23], 1
	v_lshlrev_b64_e32 v[18:19], 1, v[8:9]
	v_add_nc_u64_e32 v[2:3], v[2:3], v[4:5]
	v_cmp_gt_u32_e64 s2, 8, v4
	v_mov_b32_e32 v8, 0
	s_lshl_b64 s[14:15], s[14:15], 1
	v_lshlrev_b64_e32 v[4:5], 2, v[2:3]
	v_lshl_add_u64 v[6:7], v[6:7], 1, v[18:19]
	s_branch .LBB91_7
.LBB91_5:                               ;   in Loop: Header=BB91_7 Depth=1
	s_wait_xcnt 0x0
	s_or_b32 exec_lo, exec_lo, s25
.LBB91_6:                               ;   in Loop: Header=BB91_7 Depth=1
	s_delay_alu instid0(SALU_CYCLE_1)
	s_or_b32 exec_lo, exec_lo, s3
	v_add_nc_u64_e32 v[20:21], s[6:7], v[6:7]
	v_add_nc_u64_e32 v[22:23], s[4:5], v[6:7]
	s_wait_loadcnt 0x1
	ds_bpermute_b32 v43, v12, v19
	ds_bpermute_b32 v45, v13, v19
	s_wait_loadcnt 0x0
	ds_bpermute_b32 v42, v12, v18
	ds_bpermute_b32 v46, v14, v19
	;; [unrolled: 1-line block ×3, first 2 shown]
	v_add_nc_u64_e32 v[24:25], s[14:15], v[20:21]
	v_add_nc_u64_e32 v[26:27], s[14:15], v[22:23]
	global_load_u16 v28, v[20:21], off
	global_load_u16 v29, v[22:23], off
	ds_bpermute_b32 v47, v15, v18
	ds_bpermute_b32 v48, v16, v18
	s_add_nc_u64 s[16:17], s[16:17], s[18:19]
	s_wait_xcnt 0x1
	v_add_nc_u64_e32 v[20:21], s[14:15], v[24:25]
	s_wait_xcnt 0x0
	v_add_nc_u64_e32 v[22:23], s[14:15], v[26:27]
	global_load_u16 v30, v[24:25], off
	global_load_u16 v31, v[26:27], off
	v_cmp_lt_i64_e64 s3, s[16:17], s[12:13]
	v_add_nc_u64_e32 v[4:5], s[20:21], v[4:5]
	v_add_nc_u64_e32 v[2:3], s[18:19], v[2:3]
	;; [unrolled: 1-line block ×3, first 2 shown]
	s_wait_xcnt 0x1
	v_add_nc_u64_e32 v[24:25], s[14:15], v[20:21]
	s_wait_xcnt 0x0
	v_add_nc_u64_e32 v[26:27], s[14:15], v[22:23]
	global_load_u16 v32, v[20:21], off
	global_load_u16 v33, v[22:23], off
	s_and_b32 vcc_lo, exec_lo, s3
	global_load_u16 v34, v[24:25], off
	global_load_u16 v35, v[26:27], off
	s_wait_xcnt 0x3
	v_add_nc_u64_e32 v[20:21], s[14:15], v[24:25]
	s_wait_xcnt 0x2
	v_add_nc_u64_e32 v[22:23], s[14:15], v[26:27]
	s_wait_xcnt 0x1
	s_delay_alu instid0(VALU_DEP_2)
	v_add_nc_u64_e32 v[24:25], s[14:15], v[20:21]
	global_load_u16 v26, v[20:21], off
	s_wait_xcnt 0x0
	v_add_nc_u64_e32 v[20:21], s[14:15], v[22:23]
	global_load_u16 v27, v[22:23], off
	global_load_u16 v36, v[24:25], off
	;; [unrolled: 1-line block ×3, first 2 shown]
	s_wait_xcnt 0x2
	v_add_nc_u64_e32 v[22:23], s[14:15], v[24:25]
	global_load_u16 v38, v[22:23], off
	s_wait_xcnt 0x2
	v_add_nc_u64_e32 v[24:25], s[14:15], v[20:21]
	s_wait_xcnt 0x1
	v_add_nc_u64_e32 v[20:21], s[14:15], v[22:23]
	s_wait_xcnt 0x0
	s_delay_alu instid0(VALU_DEP_2)
	v_add_nc_u64_e32 v[22:23], s[14:15], v[24:25]
	global_load_u16 v39, v[24:25], off
	global_load_u16 v40, v[20:21], off
	;; [unrolled: 1-line block ×3, first 2 shown]
	s_wait_xcnt 0x1
	ds_bpermute_b32 v21, v1, v19
	s_wait_xcnt 0x0
	ds_bpermute_b32 v23, v0, v19
	ds_bpermute_b32 v24, v1, v18
	;; [unrolled: 1-line block ×3, first 2 shown]
	s_wait_loadcnt 0xf
	v_cvt_f32_f16_e32 v22, v28
	s_wait_loadcnt 0xe
	v_cvt_f32_f16_e32 v20, v29
	ds_bpermute_b32 v28, v14, v18
	s_wait_loadcnt 0xd
	v_cvt_f32_f16_e32 v29, v30
	s_wait_dscnt 0x4
	v_sub_f32_e32 v21, v22, v21
	ds_bpermute_b32 v30, v15, v19
	s_wait_loadcnt 0xc
	v_cvt_f32_f16_e32 v22, v31
	s_wait_dscnt 0x4
	v_sub_f32_e32 v23, v29, v23
	v_mul_f32_e32 v21, v21, v20
	ds_bpermute_b32 v29, v16, v19
	s_wait_loadcnt 0xb
	v_cvt_f32_f16_e32 v31, v32
	ds_bpermute_b32 v32, v17, v19
	s_wait_dscnt 0x5
	v_dual_mul_f32 v19, v23, v22 :: v_dual_mul_f32 v21, v21, v24
	s_wait_loadcnt 0xa
	v_cvt_f32_f16_e32 v24, v33
	v_sub_f32_e32 v31, v31, v43
	s_wait_loadcnt 0x9
	v_cvt_f32_f16_e32 v33, v34
	s_wait_dscnt 0x4
	v_mul_f32_e32 v23, v19, v25
	v_pk_add_f32 v[8:9], v[8:9], v[20:21]
	s_wait_loadcnt 0x8
	v_cvt_f32_f16_e32 v20, v35
	v_dual_mul_f32 v19, v31, v24 :: v_dual_sub_f32 v21, v33, v45
	s_wait_loadcnt 0x7
	v_cvt_f32_f16_e32 v26, v26
	s_delay_alu instid0(VALU_DEP_2)
	v_mul_f32_e32 v25, v19, v42
	v_pk_add_f32 v[8:9], v[8:9], v[22:23]
	s_wait_loadcnt 0x6
	v_cvt_f32_f16_e32 v22, v27
	v_dual_mul_f32 v19, v21, v20 :: v_dual_sub_f32 v23, v26, v46
	s_wait_loadcnt 0x5
	v_cvt_f32_f16_e32 v27, v36
	ds_bpermute_b32 v26, v17, v18
	v_pk_add_f32 v[8:9], v[8:9], v[24:25]
	s_wait_loadcnt 0x4
	v_cvt_f32_f16_e32 v18, v37
	s_wait_dscnt 0x3
	v_sub_f32_e32 v24, v27, v30
	v_mul_f32_e32 v21, v19, v44
	s_wait_loadcnt 0x3
	v_cvt_f32_f16_e32 v25, v38
	v_mul_f32_e32 v19, v23, v22
	s_delay_alu instid0(VALU_DEP_1)
	v_dual_mul_f32 v23, v19, v28 :: v_dual_mul_f32 v19, v24, v18
	v_pk_add_f32 v[8:9], v[8:9], v[20:21]
	s_wait_dscnt 0x2
	v_sub_f32_e32 v21, v25, v29
	s_wait_loadcnt 0x2
	v_cvt_f32_f16_e32 v20, v39
	s_wait_loadcnt 0x1
	v_cvt_f32_f16_e32 v24, v40
	v_mul_f32_e32 v19, v19, v47
	v_pk_add_f32 v[8:9], v[8:9], v[22:23]
	s_wait_loadcnt 0x0
	v_cvt_f32_f16_e32 v22, v41
	v_mul_f32_e32 v21, v21, v20
	s_wait_dscnt 0x1
	v_sub_f32_e32 v23, v24, v32
	v_pk_add_f32 v[8:9], v[8:9], v[18:19]
	s_delay_alu instid0(VALU_DEP_2) | instskip(NEXT) | instid1(VALU_DEP_1)
	v_dual_mul_f32 v21, v21, v48 :: v_dual_mul_f32 v18, v23, v22
	v_pk_add_f32 v[8:9], v[8:9], v[20:21]
	s_wait_dscnt 0x0
	s_delay_alu instid0(VALU_DEP_2) | instskip(NEXT) | instid1(VALU_DEP_1)
	v_mul_f32_e32 v23, v18, v26
	v_pk_add_f32 v[8:9], v[8:9], v[22:23]
	s_cbranch_vccz .LBB91_10
.LBB91_7:                               ; =>This Inner Loop Header: Depth=1
	v_dual_mov_b32 v18, 0 :: v_dual_mov_b32 v19, 0
	s_and_saveexec_b32 s3, s2
	s_cbranch_execz .LBB91_6
; %bb.8:                                ;   in Loop: Header=BB91_7 Depth=1
	v_dual_mov_b32 v19, 0 :: v_dual_mov_b32 v18, 0
	s_mov_b32 s25, exec_lo
	v_cmpx_gt_i64_e64 s[12:13], v[2:3]
	s_cbranch_execz .LBB91_5
; %bb.9:                                ;   in Loop: Header=BB91_7 Depth=1
	v_add_nc_u64_e32 v[20:21], s[8:9], v[4:5]
	v_add_nc_u64_e32 v[22:23], s[10:11], v[4:5]
	global_load_b32 v19, v[20:21], off
	global_load_b32 v18, v[22:23], off
	s_branch .LBB91_5
.LBB91_10:
	v_mov_b32_e32 v1, v11
.LBB91_11:
	s_load_b128 s[0:3], s[0:1], 0x30
	s_delay_alu instid0(VALU_DEP_1) | instskip(SKIP_2) | instid1(VALU_DEP_2)
	v_mad_u32_u24 v0, v1, 33, v10
	v_lshrrev_b32_e32 v2, 5, v10
	s_mov_b32 s4, exec_lo
	v_lshl_add_u32 v3, v0, 2, 0
	s_delay_alu instid0(VALU_DEP_2)
	v_add_nc_u32_e32 v0, v2, v1
	ds_store_b32 v3, v9
	ds_store_b32 v3, v8 offset:4224
	s_wait_dscnt 0x0
	s_barrier_signal -1
	s_barrier_wait -1
	v_cmpx_gt_u32_e32 32, v0
	s_cbranch_execz .LBB91_17
; %bb.12:
	v_mbcnt_lo_u32_b32 v2, -1, 0
	s_delay_alu instid0(VALU_DEP_1) | instskip(SKIP_1) | instid1(VALU_DEP_2)
	v_xor_b32_e32 v4, 16, v2
	v_xor_b32_e32 v6, 8, v2
	v_cmp_gt_i32_e32 vcc_lo, 32, v4
	v_dual_cndmask_b32 v4, v2, v4, vcc_lo :: v_dual_bitop2_b32 v1, 31, v10 bitop3:0x40
	s_delay_alu instid0(VALU_DEP_1) | instskip(NEXT) | instid1(VALU_DEP_4)
	v_mad_u32_u24 v1, v1, 33, v0
	v_cmp_gt_i32_e32 vcc_lo, 32, v6
	s_delay_alu instid0(VALU_DEP_3) | instskip(NEXT) | instid1(VALU_DEP_3)
	v_lshlrev_b32_e32 v4, 2, v4
	v_lshl_add_u32 v1, v1, 2, 0
	ds_load_b32 v3, v1
	ds_load_b32 v1, v1 offset:4224
	s_wait_dscnt 0x1
	ds_bpermute_b32 v5, v4, v3
	s_wait_dscnt 0x1
	ds_bpermute_b32 v4, v4, v1
	s_wait_dscnt 0x1
	v_dual_cndmask_b32 v6, v2, v6 :: v_dual_add_f32 v3, v3, v5
	s_wait_dscnt 0x0
	s_delay_alu instid0(VALU_DEP_1)
	v_dual_add_f32 v1, v1, v4 :: v_dual_lshlrev_b32 v6, 2, v6
	ds_bpermute_b32 v4, v6, v3
	s_wait_dscnt 0x0
	v_add_f32_e32 v3, v3, v4
	ds_bpermute_b32 v5, v6, v1
	s_wait_dscnt 0x0
	v_dual_add_f32 v1, v1, v5 :: v_dual_bitop2_b32 v6, 4, v2 bitop3:0x14
	s_delay_alu instid0(VALU_DEP_1) | instskip(SKIP_1) | instid1(VALU_DEP_1)
	v_cmp_gt_i32_e32 vcc_lo, 32, v6
	v_cndmask_b32_e32 v6, v2, v6, vcc_lo
	v_lshlrev_b32_e32 v6, 2, v6
	ds_bpermute_b32 v5, v6, v1
	s_wait_dscnt 0x0
	v_add_f32_e32 v1, v1, v5
	ds_bpermute_b32 v4, v6, v3
	s_wait_dscnt 0x0
	v_dual_add_f32 v3, v3, v4 :: v_dual_bitop2_b32 v6, 2, v2 bitop3:0x14
	s_delay_alu instid0(VALU_DEP_1) | instskip(SKIP_1) | instid1(VALU_DEP_1)
	v_cmp_gt_i32_e32 vcc_lo, 32, v6
	v_cndmask_b32_e32 v6, v2, v6, vcc_lo
	v_lshlrev_b32_e32 v6, 2, v6
	ds_bpermute_b32 v4, v6, v3
	ds_bpermute_b32 v5, v6, v1
	v_xor_b32_e32 v6, 1, v2
	s_delay_alu instid0(VALU_DEP_1) | instskip(SKIP_3) | instid1(VALU_DEP_2)
	v_cmp_gt_i32_e32 vcc_lo, 32, v6
	v_cndmask_b32_e32 v2, v2, v6, vcc_lo
	v_cmp_eq_u32_e32 vcc_lo, 0, v10
	s_wait_dscnt 0x1
	v_dual_lshlrev_b32 v6, 2, v2 :: v_dual_add_f32 v4, v3, v4
	s_wait_dscnt 0x0
	v_add_f32_e32 v2, v1, v5
	ds_bpermute_b32 v5, v6, v4
	ds_bpermute_b32 v3, v6, v2
	s_and_b32 exec_lo, exec_lo, vcc_lo
	s_cbranch_execz .LBB91_17
; %bb.13:
	s_bfe_u32 s4, ttmp6, 0x4000c
	s_and_b32 s5, ttmp6, 15
	s_add_co_i32 s4, s4, 1
	s_delay_alu instid0(SALU_CYCLE_1) | instskip(NEXT) | instid1(SALU_CYCLE_1)
	s_mul_i32 s4, ttmp9, s4
	s_add_co_i32 s4, s5, s4
	s_cmp_eq_u32 s24, 0
	s_mov_b32 s5, 0
	s_cselect_b32 s4, ttmp9, s4
	s_delay_alu instid0(SALU_CYCLE_1)
	s_lshl_b64 s[4:5], s[4:5], 5
	s_wait_kmcnt 0x0
	s_cmp_eq_u64 s[0:1], 0
	v_dual_mov_b32 v1, s5 :: v_dual_bitop2_b32 v0, s4, v0 bitop3:0x54
	s_cbranch_scc1 .LBB91_15
; %bb.14:
	s_wait_dscnt 0x1
	v_add_f32_e32 v6, v4, v5
	s_delay_alu instid0(VALU_DEP_2) | instskip(NEXT) | instid1(VALU_DEP_2)
	v_lshl_add_u64 v[4:5], v[0:1], 1, s[0:1]
	v_cvt_f16_f32_e32 v6, v6
	global_store_b16 v[4:5], v6, off
.LBB91_15:
	s_cmp_eq_u64 s[2:3], 0
	s_cbranch_scc1 .LBB91_17
; %bb.16:
	s_wait_dscnt 0x0
	v_add_f32_e32 v2, v2, v3
	v_lshl_add_u64 v[0:1], v[0:1], 1, s[2:3]
	s_delay_alu instid0(VALU_DEP_2)
	v_cvt_f16_f32_e32 v2, v2
	global_store_b16 v[0:1], v2, off
.LBB91_17:
	s_endpgm
	.section	.rodata,"a",@progbits
	.p2align	6, 0x0
	.amdhsa_kernel _ZN2at6native12_GLOBAL__N_135GammaBetaBackwardCUDAKernelTemplateIN3c104HalfEfLj32ELj32ELj256ELb0ELb1ELb0EEEvllPKT_S7_PKT0_SA_PS5_SB_
		.amdhsa_group_segment_fixed_size 0
		.amdhsa_private_segment_fixed_size 0
		.amdhsa_kernarg_size 320
		.amdhsa_user_sgpr_count 2
		.amdhsa_user_sgpr_dispatch_ptr 0
		.amdhsa_user_sgpr_queue_ptr 0
		.amdhsa_user_sgpr_kernarg_segment_ptr 1
		.amdhsa_user_sgpr_dispatch_id 0
		.amdhsa_user_sgpr_kernarg_preload_length 0
		.amdhsa_user_sgpr_kernarg_preload_offset 0
		.amdhsa_user_sgpr_private_segment_size 0
		.amdhsa_wavefront_size32 1
		.amdhsa_uses_dynamic_stack 0
		.amdhsa_enable_private_segment 0
		.amdhsa_system_sgpr_workgroup_id_x 1
		.amdhsa_system_sgpr_workgroup_id_y 1
		.amdhsa_system_sgpr_workgroup_id_z 0
		.amdhsa_system_sgpr_workgroup_info 0
		.amdhsa_system_vgpr_workitem_id 1
		.amdhsa_next_free_vgpr 49
		.amdhsa_next_free_sgpr 26
		.amdhsa_named_barrier_count 0
		.amdhsa_reserve_vcc 1
		.amdhsa_float_round_mode_32 0
		.amdhsa_float_round_mode_16_64 0
		.amdhsa_float_denorm_mode_32 3
		.amdhsa_float_denorm_mode_16_64 3
		.amdhsa_fp16_overflow 0
		.amdhsa_memory_ordered 1
		.amdhsa_forward_progress 1
		.amdhsa_inst_pref_size 15
		.amdhsa_round_robin_scheduling 0
		.amdhsa_exception_fp_ieee_invalid_op 0
		.amdhsa_exception_fp_denorm_src 0
		.amdhsa_exception_fp_ieee_div_zero 0
		.amdhsa_exception_fp_ieee_overflow 0
		.amdhsa_exception_fp_ieee_underflow 0
		.amdhsa_exception_fp_ieee_inexact 0
		.amdhsa_exception_int_div_zero 0
	.end_amdhsa_kernel
	.section	.text._ZN2at6native12_GLOBAL__N_135GammaBetaBackwardCUDAKernelTemplateIN3c104HalfEfLj32ELj32ELj256ELb0ELb1ELb0EEEvllPKT_S7_PKT0_SA_PS5_SB_,"axG",@progbits,_ZN2at6native12_GLOBAL__N_135GammaBetaBackwardCUDAKernelTemplateIN3c104HalfEfLj32ELj32ELj256ELb0ELb1ELb0EEEvllPKT_S7_PKT0_SA_PS5_SB_,comdat
.Lfunc_end91:
	.size	_ZN2at6native12_GLOBAL__N_135GammaBetaBackwardCUDAKernelTemplateIN3c104HalfEfLj32ELj32ELj256ELb0ELb1ELb0EEEvllPKT_S7_PKT0_SA_PS5_SB_, .Lfunc_end91-_ZN2at6native12_GLOBAL__N_135GammaBetaBackwardCUDAKernelTemplateIN3c104HalfEfLj32ELj32ELj256ELb0ELb1ELb0EEEvllPKT_S7_PKT0_SA_PS5_SB_
                                        ; -- End function
	.set _ZN2at6native12_GLOBAL__N_135GammaBetaBackwardCUDAKernelTemplateIN3c104HalfEfLj32ELj32ELj256ELb0ELb1ELb0EEEvllPKT_S7_PKT0_SA_PS5_SB_.num_vgpr, 49
	.set _ZN2at6native12_GLOBAL__N_135GammaBetaBackwardCUDAKernelTemplateIN3c104HalfEfLj32ELj32ELj256ELb0ELb1ELb0EEEvllPKT_S7_PKT0_SA_PS5_SB_.num_agpr, 0
	.set _ZN2at6native12_GLOBAL__N_135GammaBetaBackwardCUDAKernelTemplateIN3c104HalfEfLj32ELj32ELj256ELb0ELb1ELb0EEEvllPKT_S7_PKT0_SA_PS5_SB_.numbered_sgpr, 26
	.set _ZN2at6native12_GLOBAL__N_135GammaBetaBackwardCUDAKernelTemplateIN3c104HalfEfLj32ELj32ELj256ELb0ELb1ELb0EEEvllPKT_S7_PKT0_SA_PS5_SB_.num_named_barrier, 0
	.set _ZN2at6native12_GLOBAL__N_135GammaBetaBackwardCUDAKernelTemplateIN3c104HalfEfLj32ELj32ELj256ELb0ELb1ELb0EEEvllPKT_S7_PKT0_SA_PS5_SB_.private_seg_size, 0
	.set _ZN2at6native12_GLOBAL__N_135GammaBetaBackwardCUDAKernelTemplateIN3c104HalfEfLj32ELj32ELj256ELb0ELb1ELb0EEEvllPKT_S7_PKT0_SA_PS5_SB_.uses_vcc, 1
	.set _ZN2at6native12_GLOBAL__N_135GammaBetaBackwardCUDAKernelTemplateIN3c104HalfEfLj32ELj32ELj256ELb0ELb1ELb0EEEvllPKT_S7_PKT0_SA_PS5_SB_.uses_flat_scratch, 0
	.set _ZN2at6native12_GLOBAL__N_135GammaBetaBackwardCUDAKernelTemplateIN3c104HalfEfLj32ELj32ELj256ELb0ELb1ELb0EEEvllPKT_S7_PKT0_SA_PS5_SB_.has_dyn_sized_stack, 0
	.set _ZN2at6native12_GLOBAL__N_135GammaBetaBackwardCUDAKernelTemplateIN3c104HalfEfLj32ELj32ELj256ELb0ELb1ELb0EEEvllPKT_S7_PKT0_SA_PS5_SB_.has_recursion, 0
	.set _ZN2at6native12_GLOBAL__N_135GammaBetaBackwardCUDAKernelTemplateIN3c104HalfEfLj32ELj32ELj256ELb0ELb1ELb0EEEvllPKT_S7_PKT0_SA_PS5_SB_.has_indirect_call, 0
	.section	.AMDGPU.csdata,"",@progbits
; Kernel info:
; codeLenInByte = 1856
; TotalNumSgprs: 28
; NumVgprs: 49
; ScratchSize: 0
; MemoryBound: 0
; FloatMode: 240
; IeeeMode: 1
; LDSByteSize: 0 bytes/workgroup (compile time only)
; SGPRBlocks: 0
; VGPRBlocks: 3
; NumSGPRsForWavesPerEU: 28
; NumVGPRsForWavesPerEU: 49
; NamedBarCnt: 0
; Occupancy: 16
; WaveLimiterHint : 0
; COMPUTE_PGM_RSRC2:SCRATCH_EN: 0
; COMPUTE_PGM_RSRC2:USER_SGPR: 2
; COMPUTE_PGM_RSRC2:TRAP_HANDLER: 0
; COMPUTE_PGM_RSRC2:TGID_X_EN: 1
; COMPUTE_PGM_RSRC2:TGID_Y_EN: 1
; COMPUTE_PGM_RSRC2:TGID_Z_EN: 0
; COMPUTE_PGM_RSRC2:TIDIG_COMP_CNT: 1
	.section	.text._ZN2at6native12_GLOBAL__N_135GammaBetaBackwardCUDAKernelTemplateIN3c104HalfEfLj32ELj32ELj256ELb0ELb0ELb0EEEvllPKT_S7_PKT0_SA_PS5_SB_,"axG",@progbits,_ZN2at6native12_GLOBAL__N_135GammaBetaBackwardCUDAKernelTemplateIN3c104HalfEfLj32ELj32ELj256ELb0ELb0ELb0EEEvllPKT_S7_PKT0_SA_PS5_SB_,comdat
	.globl	_ZN2at6native12_GLOBAL__N_135GammaBetaBackwardCUDAKernelTemplateIN3c104HalfEfLj32ELj32ELj256ELb0ELb0ELb0EEEvllPKT_S7_PKT0_SA_PS5_SB_ ; -- Begin function _ZN2at6native12_GLOBAL__N_135GammaBetaBackwardCUDAKernelTemplateIN3c104HalfEfLj32ELj32ELj256ELb0ELb0ELb0EEEvllPKT_S7_PKT0_SA_PS5_SB_
	.p2align	8
	.type	_ZN2at6native12_GLOBAL__N_135GammaBetaBackwardCUDAKernelTemplateIN3c104HalfEfLj32ELj32ELj256ELb0ELb0ELb0EEEvllPKT_S7_PKT0_SA_PS5_SB_,@function
_ZN2at6native12_GLOBAL__N_135GammaBetaBackwardCUDAKernelTemplateIN3c104HalfEfLj32ELj32ELj256ELb0ELb0ELb0EEEvllPKT_S7_PKT0_SA_PS5_SB_: ; @_ZN2at6native12_GLOBAL__N_135GammaBetaBackwardCUDAKernelTemplateIN3c104HalfEfLj32ELj32ELj256ELb0ELb0ELb0EEEvllPKT_S7_PKT0_SA_PS5_SB_
; %bb.0:
	s_load_b256 s[4:11], s[0:1], 0x0
	s_bfe_u32 s3, ttmp6, 0x4000c
	s_bfe_u32 s12, ttmp6, 0x40010
	s_add_co_i32 s3, s3, 1
	s_add_co_i32 s12, s12, 1
	s_and_b32 s2, ttmp6, 15
	s_bfe_u32 s13, ttmp6, 0x40004
	s_mul_i32 s3, ttmp9, s3
	s_mul_i32 s12, ttmp7, s12
	s_getreg_b32 s14, hwreg(HW_REG_IB_STS2, 6, 4)
	s_add_co_i32 s2, s2, s3
	s_add_co_i32 s3, s13, s12
	s_cmp_eq_u32 s14, 0
	s_mov_b32 s19, 0
	s_cselect_b32 s16, ttmp9, s2
	s_cselect_b32 s2, ttmp7, s3
	s_lshl_b32 s3, s16, 5
	s_load_b128 s[12:15], s[0:1], 0x20
	s_or_b32 s18, s3, 31
	s_wait_kmcnt 0x0
	v_cmp_le_i64_e64 s20, s[6:7], s[18:19]
	s_lshl_b32 s18, s2, 8
	s_delay_alu instid0(SALU_CYCLE_1) | instskip(SKIP_2) | instid1(VALU_DEP_1)
	v_cmp_gt_i64_e64 s17, s[4:5], s[18:19]
	s_and_b32 vcc_lo, exec_lo, s20
	v_cndmask_b32_e64 v1, 0, 1, s17
	v_cmp_ne_u32_e64 s2, 1, v1
	s_cbranch_vccz .LBB92_48
; %bb.1:
	v_mov_b32_e32 v33, 0
	s_and_b32 vcc_lo, exec_lo, s2
	s_delay_alu instid0(VALU_DEP_1)
	v_mov_b32_e32 v32, v33
	s_cbranch_vccnz .LBB92_49
; %bb.2:
	v_bfe_u32 v1, v0, 10, 10
	v_mov_b32_e32 v2, 0
	v_and_b32_e32 v62, 0x3ff, v0
	s_load_b32 s20, s[0:1], 0x44
	s_mov_b32 s21, 0
	s_delay_alu instid0(VALU_DEP_2) | instskip(NEXT) | instid1(VALU_DEP_2)
	v_dual_mov_b32 v21, v2 :: v_dual_lshlrev_b32 v20, 3, v1
	v_dual_mov_b32 v19, v2 :: v_dual_add_nc_u32 v18, s3, v62
	v_mov_b32_e32 v32, 0
	s_mov_b32 s37, s21
	s_delay_alu instid0(VALU_DEP_3)
	v_add_nc_u64_e32 v[4:5], s[18:19], v[20:21]
	v_mov_b32_e32 v33, v2
	v_cmp_gt_i64_e64 s2, s[6:7], v[18:19]
	v_lshlrev_b64_e32 v[22:23], 1, v[18:19]
	s_add_nc_u64 s[22:23], s[0:1], 64
	s_mov_b64 s[24:25], 0xffffffffffffff01
	s_mov_b64 s[26:27], 0xffffffffffffff02
	v_mul_u64_e32 v[6:7], s[6:7], v[4:5]
	v_add_nc_u64_e32 v[8:9], 7, v[4:5]
	v_add_nc_u64_e32 v[10:11], 6, v[4:5]
	v_add_nc_u64_e32 v[12:13], 5, v[4:5]
	v_add_nc_u64_e32 v[14:15], 4, v[4:5]
	v_add_nc_u64_e32 v[16:17], 3, v[4:5]
	v_add_nc_u64_e32 v[4:5], 2, v[4:5]
	s_wait_kmcnt 0x0
	s_lshl_b32 s36, s20, 8
	v_mul_u64_e32 v[8:9], s[6:7], v[8:9]
	v_mul_u64_e32 v[10:11], s[6:7], v[10:11]
	;; [unrolled: 1-line block ×6, first 2 shown]
	s_mul_u64 s[44:45], s[6:7], s[36:37]
	s_mov_b64 s[28:29], 0xffffffffffffff03
	s_mov_b64 s[30:31], 0xffffffffffffff04
	;; [unrolled: 1-line block ×6, first 2 shown]
	s_lshl_b64 s[44:45], s[44:45], 1
	s_add_nc_u64 s[46:47], s[18:19], 0xff
	s_mov_b64 s[48:49], s[18:19]
	v_lshlrev_b64_e32 v[26:27], 1, v[6:7]
	v_add_nc_u64_e32 v[6:7], s[6:7], v[6:7]
	s_delay_alu instid0(VALU_DEP_2)
	v_add_nc_u64_e32 v[24:25], s[8:9], v[26:27]
	v_lshlrev_b64_e32 v[8:9], 1, v[8:9]
	v_lshlrev_b64_e32 v[10:11], 1, v[10:11]
	;; [unrolled: 1-line block ×7, first 2 shown]
	v_add_nc_u64_e32 v[26:27], s[10:11], v[26:27]
	v_add_nc_u64_e32 v[28:29], s[8:9], v[8:9]
	;; [unrolled: 1-line block ×15, first 2 shown]
	s_branch .LBB92_5
.LBB92_3:                               ;   in Loop: Header=BB92_5 Depth=1
	s_or_b32 exec_lo, exec_lo, s20
	s_wait_loadcnt 0x1
	ds_bpermute_b32 v3, v2, v60
	ds_bpermute_b32 v59, v2, v60 offset:4
	ds_bpermute_b32 v63, v2, v60 offset:8
	s_wait_loadcnt 0x0
	ds_bpermute_b32 v64, v2, v61
	ds_bpermute_b32 v65, v2, v60 offset:12
	ds_bpermute_b32 v66, v2, v61 offset:4
	;; [unrolled: 1-line block ×9, first 2 shown]
	s_wait_dscnt 0xc
	v_dual_mov_b32 v58, v5 :: v_dual_sub_f32 v3, v12, v3
	s_wait_dscnt 0xb
	v_dual_mov_b32 v12, v4 :: v_dual_sub_f32 v13, v13, v59
	s_wait_dscnt 0xa
	v_sub_f32_e32 v59, v14, v63
	v_dual_mul_f32 v3, v4, v3 :: v_dual_mov_b32 v4, v6
	s_delay_alu instid0(VALU_DEP_3) | instskip(SKIP_1) | instid1(VALU_DEP_2)
	v_dual_mul_f32 v5, v5, v13 :: v_dual_mov_b32 v14, v7
	s_wait_dscnt 0x9
	v_dual_mul_f32 v6, v6, v59 :: v_dual_mul_f32 v13, v3, v64
	s_wait_dscnt 0x7
	s_delay_alu instid0(VALU_DEP_2) | instskip(SKIP_1) | instid1(VALU_DEP_2)
	v_dual_sub_f32 v3, v15, v65 :: v_dual_mul_f32 v59, v5, v66
	s_wait_dscnt 0x6
	v_mul_f32_e32 v5, v6, v67
	v_pk_add_f32 v[12:13], v[32:33], v[12:13]
	ds_bpermute_b32 v32, v2, v61 offset:24
	s_wait_dscnt 0x6
	v_dual_sub_f32 v15, v16, v69 :: v_dual_mul_f32 v3, v7, v3
	v_pk_add_f32 v[6:7], v[58:59], v[12:13]
	s_wait_dscnt 0x4
	v_dual_mov_b32 v12, v8 :: v_dual_sub_f32 v13, v17, v72
	s_delay_alu instid0(VALU_DEP_3) | instskip(NEXT) | instid1(VALU_DEP_3)
	v_dual_mul_f32 v8, v8, v15 :: v_dual_mul_f32 v15, v3, v68
	v_pk_add_f32 v[4:5], v[4:5], v[6:7]
	ds_bpermute_b32 v3, v2, v61 offset:28
	s_wait_dscnt 0x3
	v_sub_f32_e32 v16, v18, v73
	v_dual_mul_f32 v17, v9, v13 :: v_dual_mul_f32 v13, v8, v70
	v_pk_add_f32 v[6:7], v[14:15], v[4:5]
	ds_bpermute_b32 v4, v2, v60 offset:28
	v_dual_mov_b32 v8, v9 :: v_dual_mul_f32 v5, v10, v16
	s_wait_dscnt 0x3
	v_mul_f32_e32 v9, v17, v71
	v_pk_add_f32 v[6:7], v[12:13], v[6:7]
	s_wait_dscnt 0x2
	v_dual_mov_b32 v12, v10 :: v_dual_mul_f32 v13, v5, v32
	s_delay_alu instid0(VALU_DEP_2) | instskip(NEXT) | instid1(VALU_DEP_1)
	v_pk_add_f32 v[6:7], v[8:9], v[6:7]
	v_pk_add_f32 v[60:61], v[12:13], v[6:7]
.LBB92_4:                               ;   in Loop: Header=BB92_5 Depth=1
	s_wait_dscnt 0x0
	v_sub_f32_e32 v5, v19, v4
	v_mov_b32_e32 v4, v11
	s_add_nc_u64 s[48:49], s[48:49], s[36:37]
	v_add_nc_u64_e32 v[24:25], s[44:45], v[24:25]
	v_cmp_lt_i64_e64 s20, s[48:49], s[4:5]
	v_mul_f32_e32 v5, v11, v5
	v_add_nc_u64_e32 v[26:27], s[44:45], v[26:27]
	v_add_nc_u64_e32 v[28:29], s[44:45], v[28:29]
	;; [unrolled: 1-line block ×4, first 2 shown]
	v_mul_f32_e32 v5, v5, v3
	v_add_nc_u64_e32 v[36:37], s[44:45], v[36:37]
	v_add_nc_u64_e32 v[38:39], s[44:45], v[38:39]
	;; [unrolled: 1-line block ×11, first 2 shown]
	v_pk_add_f32 v[32:33], v[60:61], v[4:5]
	s_and_b32 vcc_lo, exec_lo, s20
	s_add_nc_u64 s[46:47], s[46:47], s[36:37]
	s_cbranch_vccz .LBB92_49
.LBB92_5:                               ; =>This Inner Loop Header: Depth=1
	v_cmp_ge_i64_e64 s20, s[46:47], s[4:5]
	v_add_nc_u64_e32 v[58:59], s[46:47], v[20:21]
                                        ; implicit-def: $vgpr4_vgpr5_vgpr6_vgpr7_vgpr8_vgpr9_vgpr10_vgpr11
                                        ; implicit-def: $vgpr60_vgpr61
                                        ; implicit-def: $vgpr3
                                        ; implicit-def: $vgpr12_vgpr13_vgpr14_vgpr15_vgpr16_vgpr17_vgpr18_vgpr19
                                        ; implicit-def: $vgpr4
	s_and_b32 vcc_lo, exec_lo, s20
	s_mov_b32 s20, -1
	s_cbranch_vccz .LBB92_27
; %bb.6:                                ;   in Loop: Header=BB92_5 Depth=1
	s_load_b32 s20, s[22:23], 0xc
	v_dual_mov_b32 v60, 0 :: v_dual_mov_b32 v61, 0
	s_wait_kmcnt 0x0
	s_and_b32 s20, s20, 0xffff
	s_delay_alu instid0(SALU_CYCLE_1) | instskip(SKIP_1) | instid1(VALU_DEP_1)
	v_mad_u32_u24 v3, v1, s20, v62
	s_mov_b32 s20, exec_lo
	v_and_b32_e32 v4, 31, v3
	s_delay_alu instid0(VALU_DEP_1)
	v_cmpx_gt_u32_e32 8, v4
	s_cbranch_execz .LBB92_10
; %bb.7:                                ;   in Loop: Header=BB92_5 Depth=1
	v_dual_mov_b32 v5, v2 :: v_dual_mov_b32 v60, 0
	v_mov_b32_e32 v61, 0
	s_mov_b32 s33, exec_lo
	s_delay_alu instid0(VALU_DEP_2) | instskip(NEXT) | instid1(VALU_DEP_1)
	v_add_nc_u64_e32 v[4:5], v[58:59], v[4:5]
	v_add_nc_u64_e32 v[4:5], s[24:25], v[4:5]
	s_delay_alu instid0(VALU_DEP_1)
	v_cmpx_gt_i64_e64 s[4:5], v[4:5]
	s_cbranch_execz .LBB92_9
; %bb.8:                                ;   in Loop: Header=BB92_5 Depth=1
	v_lshlrev_b64_e32 v[4:5], 2, v[4:5]
	s_delay_alu instid0(VALU_DEP_1)
	v_add_nc_u64_e32 v[6:7], s[12:13], v[4:5]
	v_add_nc_u64_e32 v[4:5], s[14:15], v[4:5]
	global_load_b32 v60, v[6:7], off
	global_load_b32 v61, v[4:5], off
.LBB92_9:                               ;   in Loop: Header=BB92_5 Depth=1
	s_wait_xcnt 0x0
	s_or_b32 exec_lo, exec_lo, s33
.LBB92_10:                              ;   in Loop: Header=BB92_5 Depth=1
	s_delay_alu instid0(SALU_CYCLE_1)
	s_or_b32 exec_lo, exec_lo, s20
	v_add_nc_u64_e32 v[10:11], s[24:25], v[58:59]
	v_dual_mov_b32 v7, v2 :: v_dual_mov_b32 v8, v2
	v_dual_mov_b32 v9, v2 :: v_dual_mov_b32 v3, v2
	v_dual_mov_b32 v4, v2 :: v_dual_mov_b32 v5, v2
	v_mov_b32_e32 v6, v2
	v_cmp_gt_i64_e32 vcc_lo, s[4:5], v[10:11]
	s_delay_alu instid0(VALU_DEP_4)
	v_mov_b64_e32 v[18:19], v[8:9]
	v_mov_b64_e32 v[12:13], v[2:3]
	v_mov_b64_e32 v[14:15], v[4:5]
	v_mov_b64_e32 v[16:17], v[6:7]
	v_mov_b64_e32 v[10:11], v[8:9]
	v_mov_b64_e32 v[8:9], v[6:7]
	v_mov_b64_e32 v[6:7], v[4:5]
	v_mov_b64_e32 v[4:5], v[2:3]
	s_and_b32 s33, s2, vcc_lo
	s_delay_alu instid0(SALU_CYCLE_1)
	s_and_saveexec_b32 s20, s33
	s_cbranch_execz .LBB92_12
; %bb.11:                               ;   in Loop: Header=BB92_5 Depth=1
	v_add_nc_u64_e32 v[4:5], v[24:25], v[22:23]
	v_add_nc_u64_e32 v[6:7], v[26:27], v[22:23]
	v_dual_mov_b32 v9, v2 :: v_dual_mov_b32 v10, v2
	v_dual_mov_b32 v11, v2 :: v_dual_mov_b32 v13, v2
	;; [unrolled: 1-line block ×3, first 2 shown]
	global_load_u16 v3, v[4:5], off
	global_load_u16 v12, v[6:7], off
	s_wait_xcnt 0x0
	v_dual_mov_b32 v5, v2 :: v_dual_mov_b32 v6, v2
	v_dual_mov_b32 v7, v2 :: v_dual_mov_b32 v8, v2
	;; [unrolled: 1-line block ×4, first 2 shown]
	s_wait_loadcnt 0x1
	v_cvt_f32_f16_e32 v4, v3
	s_wait_loadcnt 0x0
	v_cvt_f32_f16_e32 v12, v12
.LBB92_12:                              ;   in Loop: Header=BB92_5 Depth=1
	s_or_b32 exec_lo, exec_lo, s20
	v_add_nc_u64_e32 v[64:65], s[26:27], v[58:59]
	s_delay_alu instid0(VALU_DEP_1) | instskip(SKIP_1) | instid1(SALU_CYCLE_1)
	v_cmp_gt_i64_e32 vcc_lo, s[4:5], v[64:65]
	s_and_b32 s33, s2, vcc_lo
	s_and_saveexec_b32 s20, s33
	s_cbranch_execz .LBB92_14
; %bb.13:                               ;   in Loop: Header=BB92_5 Depth=1
	v_add_nc_u64_e32 v[64:65], v[54:55], v[22:23]
	v_add_nc_u64_e32 v[66:67], v[56:57], v[22:23]
	global_load_u16 v3, v[64:65], off
	global_load_u16 v13, v[66:67], off
	s_wait_loadcnt 0x1
	v_cvt_f32_f16_e32 v5, v3
	s_wait_loadcnt 0x0
	v_cvt_f32_f16_e32 v13, v13
.LBB92_14:                              ;   in Loop: Header=BB92_5 Depth=1
	s_or_b32 exec_lo, exec_lo, s20
	v_add_nc_u64_e32 v[64:65], s[28:29], v[58:59]
	s_delay_alu instid0(VALU_DEP_1) | instskip(SKIP_1) | instid1(SALU_CYCLE_1)
	v_cmp_gt_i64_e32 vcc_lo, s[4:5], v[64:65]
	s_and_b32 s33, s2, vcc_lo
	s_and_saveexec_b32 s20, s33
	s_cbranch_execz .LBB92_16
; %bb.15:                               ;   in Loop: Header=BB92_5 Depth=1
	v_add_nc_u64_e32 v[64:65], v[50:51], v[22:23]
	v_add_nc_u64_e32 v[66:67], v[52:53], v[22:23]
	global_load_u16 v3, v[64:65], off
	global_load_u16 v14, v[66:67], off
	s_wait_loadcnt 0x1
	v_cvt_f32_f16_e32 v6, v3
	s_wait_loadcnt 0x0
	v_cvt_f32_f16_e32 v14, v14
.LBB92_16:                              ;   in Loop: Header=BB92_5 Depth=1
	;; [unrolled: 17-line block ×7, first 2 shown]
	s_or_b32 exec_lo, exec_lo, s20
	s_wait_loadcnt 0x1
	ds_bpermute_b32 v3, v2, v60
	ds_bpermute_b32 v63, v2, v60 offset:4
	ds_bpermute_b32 v65, v2, v60 offset:8
	s_wait_loadcnt 0x0
	ds_bpermute_b32 v66, v2, v61
	ds_bpermute_b32 v67, v2, v60 offset:12
	ds_bpermute_b32 v68, v2, v61 offset:4
	;; [unrolled: 1-line block ×8, first 2 shown]
	s_mov_b32 s20, 0
	s_wait_dscnt 0xb
	v_dual_mov_b32 v64, v5 :: v_dual_sub_f32 v3, v12, v3
	s_wait_dscnt 0xa
	v_dual_mov_b32 v12, v4 :: v_dual_sub_f32 v13, v13, v63
	ds_bpermute_b32 v63, v2, v60 offset:24
	v_dual_mul_f32 v3, v4, v3 :: v_dual_mov_b32 v4, v6
	s_wait_dscnt 0xa
	v_sub_f32_e32 v65, v14, v65
	v_dual_mul_f32 v5, v5, v13 :: v_dual_mov_b32 v14, v7
	s_wait_dscnt 0x9
	v_mul_f32_e32 v13, v3, v66
	s_wait_dscnt 0x8
	v_dual_sub_f32 v3, v15, v67 :: v_dual_mul_f32 v6, v6, v65
	s_wait_dscnt 0x5
	v_dual_mul_f32 v65, v5, v68 :: v_dual_sub_f32 v15, v16, v71
	v_pk_add_f32 v[12:13], v[32:33], v[12:13]
	ds_bpermute_b32 v66, v2, v61 offset:24
	v_dual_mul_f32 v3, v7, v3 :: v_dual_mul_f32 v5, v6, v69
	v_pk_add_f32 v[6:7], v[64:65], v[12:13]
	s_wait_dscnt 0x4
	v_dual_mov_b32 v12, v8 :: v_dual_sub_f32 v13, v17, v74
	s_delay_alu instid0(VALU_DEP_3) | instskip(NEXT) | instid1(VALU_DEP_3)
	v_dual_mul_f32 v8, v8, v15 :: v_dual_mul_f32 v15, v3, v70
	v_pk_add_f32 v[4:5], v[4:5], v[6:7]
	ds_bpermute_b32 v3, v2, v61 offset:28
	s_wait_dscnt 0x2
	v_dual_sub_f32 v16, v18, v63 :: v_dual_mul_f32 v17, v9, v13
	v_dual_mul_f32 v13, v8, v72 :: v_dual_mov_b32 v8, v9
	v_pk_add_f32 v[6:7], v[14:15], v[4:5]
	ds_bpermute_b32 v4, v2, v60 offset:28
	v_dual_mul_f32 v5, v10, v16 :: v_dual_mul_f32 v9, v17, v73
	v_pk_add_f32 v[6:7], v[12:13], v[6:7]
	s_wait_dscnt 0x2
	s_delay_alu instid0(VALU_DEP_2) | instskip(NEXT) | instid1(VALU_DEP_2)
	v_dual_mov_b32 v12, v10 :: v_dual_mul_f32 v13, v5, v66
	v_pk_add_f32 v[6:7], v[8:9], v[6:7]
	s_delay_alu instid0(VALU_DEP_1)
	v_pk_add_f32 v[60:61], v[12:13], v[6:7]
.LBB92_27:                              ;   in Loop: Header=BB92_5 Depth=1
	s_and_b32 vcc_lo, exec_lo, s20
	s_cbranch_vccz .LBB92_4
; %bb.28:                               ;   in Loop: Header=BB92_5 Depth=1
	s_load_b32 s20, s[22:23], 0x0
	v_dual_mov_b32 v60, 0 :: v_dual_mov_b32 v61, 0
	s_wait_kmcnt 0x0
	s_cmp_lt_u32 s16, s20
	s_cselect_b32 s20, 12, 18
	s_delay_alu instid0(SALU_CYCLE_1)
	s_add_nc_u64 s[50:51], s[22:23], s[20:21]
	s_load_u16 s20, s[50:51], 0x0
	s_wait_dscnt 0x1
	s_wait_kmcnt 0x0
	v_mad_u32_u24 v3, v1, s20, v62
	s_mov_b32 s20, exec_lo
	s_wait_dscnt 0x0
	s_delay_alu instid0(VALU_DEP_1) | instskip(NEXT) | instid1(VALU_DEP_1)
	v_and_b32_e32 v4, 31, v3
	v_cmpx_gt_u32_e32 8, v4
	s_cbranch_execz .LBB92_32
; %bb.29:                               ;   in Loop: Header=BB92_5 Depth=1
	v_dual_mov_b32 v5, v2 :: v_dual_mov_b32 v60, 0
	v_mov_b32_e32 v61, 0
	s_mov_b32 s33, exec_lo
	s_delay_alu instid0(VALU_DEP_2) | instskip(NEXT) | instid1(VALU_DEP_1)
	v_add_nc_u64_e32 v[4:5], v[58:59], v[4:5]
	v_add_nc_u64_e32 v[4:5], s[24:25], v[4:5]
	s_delay_alu instid0(VALU_DEP_1)
	v_cmpx_gt_i64_e64 s[4:5], v[4:5]
	s_cbranch_execz .LBB92_31
; %bb.30:                               ;   in Loop: Header=BB92_5 Depth=1
	v_lshlrev_b64_e32 v[4:5], 2, v[4:5]
	s_delay_alu instid0(VALU_DEP_1)
	v_add_nc_u64_e32 v[6:7], s[12:13], v[4:5]
	v_add_nc_u64_e32 v[4:5], s[14:15], v[4:5]
	global_load_b32 v60, v[6:7], off
	global_load_b32 v61, v[4:5], off
.LBB92_31:                              ;   in Loop: Header=BB92_5 Depth=1
	s_wait_xcnt 0x0
	s_or_b32 exec_lo, exec_lo, s33
.LBB92_32:                              ;   in Loop: Header=BB92_5 Depth=1
	s_delay_alu instid0(SALU_CYCLE_1) | instskip(SKIP_4) | instid1(VALU_DEP_3)
	s_or_b32 exec_lo, exec_lo, s20
	v_dual_mov_b32 v7, v2 :: v_dual_mov_b32 v8, v2
	v_dual_mov_b32 v9, v2 :: v_dual_mov_b32 v3, v2
	;; [unrolled: 1-line block ×3, first 2 shown]
	v_mov_b32_e32 v6, v2
	v_mov_b64_e32 v[18:19], v[8:9]
	s_delay_alu instid0(VALU_DEP_4) | instskip(NEXT) | instid1(VALU_DEP_4)
	v_mov_b64_e32 v[12:13], v[2:3]
	v_mov_b64_e32 v[14:15], v[4:5]
	s_delay_alu instid0(VALU_DEP_4)
	v_mov_b64_e32 v[16:17], v[6:7]
	v_mov_b64_e32 v[10:11], v[8:9]
	;; [unrolled: 1-line block ×5, first 2 shown]
	s_and_saveexec_b32 s20, s2
	s_cbranch_execz .LBB92_40
; %bb.33:                               ;   in Loop: Header=BB92_5 Depth=1
	v_add_nc_u64_e32 v[4:5], v[24:25], v[22:23]
	v_add_nc_u64_e32 v[6:7], v[26:27], v[22:23]
	v_dual_mov_b32 v9, v2 :: v_dual_mov_b32 v10, v2
	v_dual_mov_b32 v11, v2 :: v_dual_mov_b32 v13, v2
	;; [unrolled: 1-line block ×3, first 2 shown]
	global_load_u16 v3, v[4:5], off
	global_load_u16 v12, v[6:7], off
	s_wait_xcnt 0x0
	v_dual_mov_b32 v5, v2 :: v_dual_mov_b32 v6, v2
	v_dual_mov_b32 v7, v2 :: v_dual_mov_b32 v8, v2
	;; [unrolled: 1-line block ×4, first 2 shown]
	s_wait_loadcnt 0x1
	v_cvt_f32_f16_e32 v4, v3
	s_wait_loadcnt 0x0
	v_cvt_f32_f16_e32 v12, v12
	s_or_b32 exec_lo, exec_lo, s20
	s_and_saveexec_b32 s20, s2
	s_cbranch_execnz .LBB92_41
.LBB92_34:                              ;   in Loop: Header=BB92_5 Depth=1
	s_or_b32 exec_lo, exec_lo, s20
	s_and_saveexec_b32 s20, s2
	s_cbranch_execz .LBB92_42
.LBB92_35:                              ;   in Loop: Header=BB92_5 Depth=1
	v_add_nc_u64_e32 v[58:59], v[50:51], v[22:23]
	v_add_nc_u64_e32 v[64:65], v[52:53], v[22:23]
	global_load_u16 v3, v[58:59], off
	global_load_u16 v14, v[64:65], off
	s_wait_loadcnt 0x1
	v_cvt_f32_f16_e32 v6, v3
	s_wait_loadcnt 0x0
	v_cvt_f32_f16_e32 v14, v14
	s_or_b32 exec_lo, exec_lo, s20
	s_and_saveexec_b32 s20, s2
	s_cbranch_execnz .LBB92_43
.LBB92_36:                              ;   in Loop: Header=BB92_5 Depth=1
	s_or_b32 exec_lo, exec_lo, s20
	s_and_saveexec_b32 s20, s2
	s_cbranch_execz .LBB92_44
.LBB92_37:                              ;   in Loop: Header=BB92_5 Depth=1
	v_add_nc_u64_e32 v[58:59], v[42:43], v[22:23]
	v_add_nc_u64_e32 v[64:65], v[44:45], v[22:23]
	global_load_u16 v3, v[58:59], off
	global_load_u16 v16, v[64:65], off
	s_wait_loadcnt 0x1
	v_cvt_f32_f16_e32 v8, v3
	s_wait_loadcnt 0x0
	v_cvt_f32_f16_e32 v16, v16
	s_or_b32 exec_lo, exec_lo, s20
	s_and_saveexec_b32 s20, s2
	s_cbranch_execnz .LBB92_45
.LBB92_38:                              ;   in Loop: Header=BB92_5 Depth=1
	s_or_b32 exec_lo, exec_lo, s20
	s_and_saveexec_b32 s20, s2
	s_cbranch_execz .LBB92_46
.LBB92_39:                              ;   in Loop: Header=BB92_5 Depth=1
	v_add_nc_u64_e32 v[58:59], v[34:35], v[22:23]
	v_add_nc_u64_e32 v[64:65], v[36:37], v[22:23]
	global_load_u16 v3, v[58:59], off
	global_load_u16 v18, v[64:65], off
	s_wait_loadcnt 0x1
	v_cvt_f32_f16_e32 v10, v3
	s_wait_loadcnt 0x0
	v_cvt_f32_f16_e32 v18, v18
	s_or_b32 exec_lo, exec_lo, s20
	s_and_saveexec_b32 s20, s2
	s_cbranch_execz .LBB92_3
	s_branch .LBB92_47
.LBB92_40:                              ;   in Loop: Header=BB92_5 Depth=1
	s_or_b32 exec_lo, exec_lo, s20
	s_and_saveexec_b32 s20, s2
	s_cbranch_execz .LBB92_34
.LBB92_41:                              ;   in Loop: Header=BB92_5 Depth=1
	v_add_nc_u64_e32 v[58:59], v[54:55], v[22:23]
	v_add_nc_u64_e32 v[64:65], v[56:57], v[22:23]
	global_load_u16 v3, v[58:59], off
	global_load_u16 v13, v[64:65], off
	s_wait_loadcnt 0x1
	v_cvt_f32_f16_e32 v5, v3
	s_wait_loadcnt 0x0
	v_cvt_f32_f16_e32 v13, v13
	s_or_b32 exec_lo, exec_lo, s20
	s_and_saveexec_b32 s20, s2
	s_cbranch_execnz .LBB92_35
.LBB92_42:                              ;   in Loop: Header=BB92_5 Depth=1
	s_or_b32 exec_lo, exec_lo, s20
	s_and_saveexec_b32 s20, s2
	s_cbranch_execz .LBB92_36
.LBB92_43:                              ;   in Loop: Header=BB92_5 Depth=1
	v_add_nc_u64_e32 v[58:59], v[46:47], v[22:23]
	v_add_nc_u64_e32 v[64:65], v[48:49], v[22:23]
	global_load_u16 v3, v[58:59], off
	global_load_u16 v15, v[64:65], off
	s_wait_loadcnt 0x1
	v_cvt_f32_f16_e32 v7, v3
	s_wait_loadcnt 0x0
	v_cvt_f32_f16_e32 v15, v15
	s_or_b32 exec_lo, exec_lo, s20
	s_and_saveexec_b32 s20, s2
	s_cbranch_execnz .LBB92_37
.LBB92_44:                              ;   in Loop: Header=BB92_5 Depth=1
	s_or_b32 exec_lo, exec_lo, s20
	s_and_saveexec_b32 s20, s2
	s_cbranch_execz .LBB92_38
.LBB92_45:                              ;   in Loop: Header=BB92_5 Depth=1
	v_add_nc_u64_e32 v[58:59], v[38:39], v[22:23]
	v_add_nc_u64_e32 v[64:65], v[40:41], v[22:23]
	global_load_u16 v3, v[58:59], off
	global_load_u16 v17, v[64:65], off
	s_wait_loadcnt 0x1
	v_cvt_f32_f16_e32 v9, v3
	s_wait_loadcnt 0x0
	v_cvt_f32_f16_e32 v17, v17
	s_or_b32 exec_lo, exec_lo, s20
	s_and_saveexec_b32 s20, s2
	s_cbranch_execnz .LBB92_39
.LBB92_46:                              ;   in Loop: Header=BB92_5 Depth=1
	s_or_b32 exec_lo, exec_lo, s20
	s_and_saveexec_b32 s20, s2
	s_cbranch_execz .LBB92_3
.LBB92_47:                              ;   in Loop: Header=BB92_5 Depth=1
	v_add_nc_u64_e32 v[58:59], v[28:29], v[22:23]
	v_add_nc_u64_e32 v[64:65], v[30:31], v[22:23]
	global_load_u16 v3, v[58:59], off
	global_load_u16 v19, v[64:65], off
	s_wait_loadcnt 0x1
	v_cvt_f32_f16_e32 v11, v3
	s_wait_loadcnt 0x0
	v_cvt_f32_f16_e32 v19, v19
	s_branch .LBB92_3
.LBB92_48:
                                        ; implicit-def: $vgpr33
	s_branch .LBB92_50
.LBB92_49:
	s_cbranch_execnz .LBB92_81
.LBB92_50:
	v_mov_b32_e32 v33, 0
	s_and_not1_b32 vcc_lo, exec_lo, s17
	s_delay_alu instid0(VALU_DEP_1)
	v_mov_b32_e32 v32, v33
	s_cbranch_vccnz .LBB92_81
; %bb.51:
	v_bfe_u32 v1, v0, 10, 10
	v_mov_b32_e32 v2, 0
	v_and_b32_e32 v90, 0x3ff, v0
	s_load_b32 s2, s[0:1], 0x44
	s_mov_b64 s[22:23], 0xffffffffffffff03
	s_delay_alu instid0(VALU_DEP_2) | instskip(SKIP_3) | instid1(VALU_DEP_2)
	v_dual_mov_b32 v5, v2 :: v_dual_lshlrev_b32 v4, 4, v1
	v_dual_mov_b32 v21, v2 :: v_dual_lshlrev_b32 v20, 3, v1
	s_mov_b64 s[24:25], 0xffffffffffffff04
	s_mov_b64 s[26:27], 0xffffffffffffff05
	v_lshl_add_u64 v[8:9], s[18:19], 1, v[4:5]
	s_mov_b64 s[28:29], 0xffffffffffffff06
	v_add_nc_u64_e32 v[4:5], s[18:19], v[20:21]
	s_mov_b64 s[30:31], 0xffffffffffffff07
	s_mov_b64 s[34:35], 0xffffffffffffff08
	v_add_nc_u64_e32 v[10:11], 2, v[8:9]
	v_add_nc_u64_e32 v[12:13], 4, v[8:9]
	;; [unrolled: 1-line block ×4, first 2 shown]
	v_mul_u64_e32 v[6:7], s[6:7], v[4:5]
	v_add_nc_u64_e32 v[44:45], 4, v[4:5]
	v_add_nc_u64_e32 v[18:19], 10, v[8:9]
	v_mad_nc_u64_u32 v[22:23], s6, v10, s[8:9]
	v_mul_lo_u32 v3, s6, v11
	v_mul_lo_u32 v42, s7, v10
	v_mad_nc_u64_u32 v[24:25], s6, v12, s[8:9]
	v_mul_lo_u32 v43, s6, v13
	v_mul_lo_u32 v46, s7, v12
	v_mad_nc_u64_u32 v[34:35], s6, v10, s[10:11]
	v_mad_nc_u64_u32 v[36:37], s6, v12, s[10:11]
	v_add_nc_u64_e32 v[10:11], 7, v[4:5]
	v_add_nc_u64_e32 v[12:13], 6, v[4:5]
	v_mad_nc_u64_u32 v[26:27], s6, v14, s[8:9]
	v_mul_lo_u32 v52, s6, v15
	v_mul_lo_u32 v53, s7, v14
	v_mad_nc_u64_u32 v[28:29], s6, v16, s[8:9]
	v_mul_lo_u32 v54, s6, v17
	v_mul_lo_u32 v55, s7, v16
	v_add3_u32 v23, v42, v23, v3
	v_add3_u32 v25, v46, v25, v43
	v_mad_nc_u64_u32 v[40:41], s6, v14, s[10:11]
	v_mul_u64_e32 v[10:11], s[6:7], v[10:11]
	v_add3_u32 v35, v42, v35, v3
	v_add_nc_u64_e32 v[14:15], 5, v[4:5]
	v_mul_u64_e32 v[12:13], s[6:7], v[12:13]
	v_add3_u32 v37, v46, v37, v43
	v_mad_nc_u64_u32 v[42:43], s6, v16, s[10:11]
	v_add_nc_u64_e32 v[16:17], 3, v[4:5]
	v_add_nc_u64_e32 v[4:5], 2, v[4:5]
	v_mul_u64_e32 v[62:63], s[6:7], v[44:45]
	v_mul_u64_e32 v[14:15], s[6:7], v[14:15]
	v_add_nc_u64_e32 v[32:33], 12, v[8:9]
	v_add_nc_u64_e32 v[8:9], 14, v[8:9]
	v_mad_nc_u64_u32 v[30:31], s6, v18, s[8:9]
	v_mul_u64_e32 v[16:17], s[6:7], v[16:17]
	v_mul_u64_e32 v[4:5], s[6:7], v[4:5]
	v_mul_lo_u32 v19, s6, v19
	v_mul_lo_u32 v56, s7, v18
	v_mad_nc_u64_u32 v[44:45], s6, v18, s[10:11]
	v_mad_nc_u64_u32 v[46:47], s6, v8, s[8:9]
	v_mul_lo_u32 v3, s6, v9
	v_mul_lo_u32 v18, s7, v8
	v_mad_nc_u64_u32 v[50:51], s6, v8, s[10:11]
	v_dual_mov_b32 v9, v2 :: v_dual_add_nc_u32 v8, s3, v90
	v_add3_u32 v27, v53, v27, v52
	v_mad_nc_u64_u32 v[38:39], s6, v32, s[8:9]
	v_mul_lo_u32 v57, s7, v32
	v_add3_u32 v31, v56, v31, v19
	v_mad_nc_u64_u32 v[48:49], s6, v32, s[10:11]
	v_add3_u32 v41, v53, v41, v52
	v_add3_u32 v45, v56, v45, v19
	;; [unrolled: 1-line block ×4, first 2 shown]
	v_lshlrev_b64_e32 v[18:19], 1, v[6:7]
	v_lshlrev_b64_e32 v[10:11], 1, v[10:11]
	v_add_nc_u64_e32 v[6:7], s[6:7], v[6:7]
	v_mov_b32_e32 v32, 0
	v_lshlrev_b64_e32 v[52:53], 1, v[8:9]
	v_lshlrev_b64_e32 v[8:9], 1, v[12:13]
	v_mul_lo_u32 v33, s6, v33
	v_lshlrev_b64_e32 v[12:13], 1, v[62:63]
	v_add_nc_u64_e32 v[58:59], s[8:9], v[10:11]
	v_add_nc_u64_e32 v[60:61], s[10:11], v[10:11]
	v_lshlrev_b64_e32 v[10:11], 1, v[14:15]
	v_lshlrev_b64_e32 v[6:7], 1, v[6:7]
	v_add_nc_u64_e32 v[62:63], s[8:9], v[8:9]
	v_add_nc_u64_e32 v[64:65], s[10:11], v[8:9]
	v_lshlrev_b64_e32 v[8:9], 1, v[16:17]
	v_lshlrev_b64_e32 v[4:5], 1, v[4:5]
	s_mov_b32 s3, 0
	v_add3_u32 v29, v55, v29, v54
	v_add3_u32 v43, v55, v43, v54
	v_add3_u32 v39, v57, v39, v33
	v_add3_u32 v49, v57, v49, v33
	v_add_nc_u64_e32 v[54:55], s[8:9], v[18:19]
	v_add_nc_u64_e32 v[56:57], s[10:11], v[18:19]
	;; [unrolled: 1-line block ×12, first 2 shown]
	s_wait_kmcnt 0x0
	s_lshl_b32 s20, s2, 8
	s_mov_b32 s21, s3
	v_mov_b32_e32 v33, v2
	s_mul_u64 s[38:39], s[6:7], s[20:21]
	s_mov_b64 s[8:9], 0xffffffffffffff01
	s_mov_b64 s[10:11], 0xffffffffffffff02
	s_add_nc_u64 s[36:37], s[0:1], 64
	s_lshl_b64 s[38:39], s[38:39], 1
	s_add_nc_u64 s[40:41], s[18:19], 0xff
	s_branch .LBB92_55
.LBB92_52:                              ;   in Loop: Header=BB92_55 Depth=1
	s_wait_xcnt 0x0
	s_or_b32 exec_lo, exec_lo, s17
.LBB92_53:                              ;   in Loop: Header=BB92_55 Depth=1
	s_delay_alu instid0(SALU_CYCLE_1)
	s_or_b32 exec_lo, exec_lo, s2
	v_add_nc_u64_e32 v[4:5], v[54:55], v[52:53]
	v_add_nc_u64_e32 v[8:9], v[56:57], v[52:53]
	;; [unrolled: 1-line block ×5, first 2 shown]
	s_wait_loadcnt 0x1
	ds_bpermute_b32 v94, v2, v3 offset:4
	ds_bpermute_b32 v96, v2, v3 offset:8
	global_load_u16 v7, v[4:5], off
	global_load_u16 v16, v[8:9], off
	;; [unrolled: 1-line block ×3, first 2 shown]
	s_wait_xcnt 0x2
	v_add_nc_u64_e32 v[4:5], v[36:37], v[52:53]
	s_wait_xcnt 0x1
	v_add_nc_u64_e32 v[8:9], v[26:27], v[52:53]
	global_load_u16 v18, v[12:13], off
	global_load_u16 v19, v[14:15], off
	s_wait_xcnt 0x2
	v_add_nc_u64_e32 v[10:11], v[40:41], v[52:53]
	s_wait_xcnt 0x1
	v_add_nc_u64_e32 v[12:13], v[28:29], v[52:53]
	s_wait_xcnt 0x0
	v_add_nc_u64_e32 v[14:15], v[42:43], v[52:53]
	global_load_u16 v32, v[4:5], off
	global_load_u16 v33, v[8:9], off
	;; [unrolled: 1-line block ×3, first 2 shown]
	s_wait_xcnt 0x2
	v_add_nc_u64_e32 v[4:5], v[30:31], v[52:53]
	s_wait_xcnt 0x1
	v_add_nc_u64_e32 v[8:9], v[44:45], v[52:53]
	global_load_u16 v12, v[12:13], off
	global_load_u16 v13, v[14:15], off
	v_add_nc_u64_e32 v[10:11], v[46:47], v[52:53]
	ds_bpermute_b32 v98, v2, v3 offset:12
	s_wait_loadcnt 0xa
	ds_bpermute_b32 v95, v2, v6 offset:8
	ds_bpermute_b32 v100, v2, v3 offset:16
	global_load_u16 v14, v[4:5], off
	s_wait_xcnt 0x0
	v_add_nc_u64_e32 v[4:5], v[48:49], v[52:53]
	global_load_u16 v15, v[8:9], off
	s_wait_xcnt 0x0
	v_add_nc_u64_e32 v[8:9], v[38:39], v[52:53]
	ds_bpermute_b32 v97, v2, v6 offset:12
	ds_bpermute_b32 v99, v2, v6 offset:16
	;; [unrolled: 1-line block ×4, first 2 shown]
	global_load_u16 v89, v[4:5], off
	s_wait_xcnt 0x0
	v_add_nc_u64_e32 v[4:5], v[50:51], v[52:53]
	global_load_u16 v91, v[8:9], off
	global_load_u16 v92, v[4:5], off
	;; [unrolled: 1-line block ×3, first 2 shown]
	s_wait_xcnt 0x2
	ds_bpermute_b32 v9, v2, v3
	s_wait_xcnt 0x1
	ds_bpermute_b32 v5, v2, v6
	s_wait_xcnt 0x0
	ds_bpermute_b32 v11, v2, v6 offset:4
	ds_bpermute_b32 v103, v2, v6 offset:24
	;; [unrolled: 1-line block ×5, first 2 shown]
	s_wait_loadcnt 0xf
	v_cvt_f32_f16_e32 v4, v7
	s_wait_loadcnt 0xe
	v_cvt_f32_f16_e32 v10, v16
	s_wait_loadcnt 0xd
	v_cvt_f32_f16_e32 v6, v17
	s_wait_loadcnt 0xc
	v_cvt_f32_f16_e32 v7, v18
	s_wait_loadcnt 0xb
	v_cvt_f32_f16_e32 v8, v19
	s_wait_dscnt 0x6
	s_delay_alu instid0(VALU_DEP_2) | instskip(SKIP_2) | instid1(VALU_DEP_2)
	v_dual_sub_f32 v9, v10, v9 :: v_dual_sub_f32 v7, v7, v94
	s_wait_loadcnt 0xa
	v_cvt_f32_f16_e32 v16, v32
	v_mul_f32_e32 v9, v9, v4
	s_wait_loadcnt 0x8
	v_cvt_f32_f16_e32 v17, v88
	v_cvt_f32_f16_e32 v10, v33
	v_dual_mul_f32 v7, v7, v6 :: v_dual_sub_f32 v16, v16, v96
	s_wait_dscnt 0x5
	v_mul_f32_e32 v5, v9, v5
	s_wait_loadcnt 0x6
	v_cvt_f32_f16_e32 v13, v13
	s_wait_dscnt 0x4
	v_dual_sub_f32 v9, v17, v98 :: v_dual_mul_f32 v7, v7, v11
	v_mul_f32_e32 v16, v16, v8
	v_pk_add_f32 v[4:5], v[86:87], v[4:5]
	v_cvt_f32_f16_e32 v12, v12
	s_wait_loadcnt 0x4
	v_cvt_f32_f16_e32 v11, v15
	v_sub_f32_e32 v13, v13, v100
	v_dual_mul_f32 v15, v9, v10 :: v_dual_mul_f32 v9, v16, v95
	v_pk_add_f32 v[4:5], v[4:5], v[6:7]
	v_cvt_f32_f16_e32 v14, v14
	s_wait_loadcnt 0x3
	v_cvt_f32_f16_e32 v7, v89
	v_dual_sub_f32 v16, v11, v102 :: v_dual_mul_f32 v13, v13, v12
	v_mul_f32_e32 v11, v15, v97
	v_pk_add_f32 v[4:5], v[4:5], v[8:9]
	s_wait_loadcnt 0x2
	v_cvt_f32_f16_e32 v6, v91
	s_wait_dscnt 0x1
	v_dual_sub_f32 v7, v7, v104 :: v_dual_mul_f32 v13, v13, v99
	v_mul_f32_e32 v9, v16, v14
	v_pk_add_f32 v[4:5], v[4:5], v[10:11]
	s_wait_loadcnt 0x1
	v_cvt_f32_f16_e32 v10, v92
	s_wait_loadcnt 0x0
	v_cvt_f32_f16_e32 v8, v93
	v_dual_mul_f32 v7, v7, v6 :: v_dual_mul_f32 v15, v9, v101
	v_pk_add_f32 v[4:5], v[4:5], v[12:13]
	s_wait_dscnt 0x0
	v_sub_f32_e32 v3, v10, v3
	s_delay_alu instid0(VALU_DEP_3) | instskip(NEXT) | instid1(VALU_DEP_3)
	v_mul_f32_e32 v7, v7, v103
	v_pk_add_f32 v[4:5], v[4:5], v[14:15]
	s_delay_alu instid0(VALU_DEP_3) | instskip(NEXT) | instid1(VALU_DEP_2)
	v_mul_f32_e32 v3, v3, v8
	v_pk_add_f32 v[4:5], v[4:5], v[6:7]
	s_delay_alu instid0(VALU_DEP_2) | instskip(NEXT) | instid1(VALU_DEP_1)
	v_mul_f32_e32 v9, v3, v105
	v_pk_add_f32 v[32:33], v[4:5], v[8:9]
.LBB92_54:                              ;   in Loop: Header=BB92_55 Depth=1
	s_add_nc_u64 s[18:19], s[18:19], s[20:21]
	v_add_nc_u64_e32 v[54:55], s[38:39], v[54:55]
	v_cmp_ge_i64_e64 s2, s[18:19], s[4:5]
	v_add_nc_u64_e32 v[56:57], s[38:39], v[56:57]
	v_add_nc_u64_e32 v[22:23], s[38:39], v[22:23]
	;; [unrolled: 1-line block ×29, first 2 shown]
	s_and_b32 vcc_lo, exec_lo, s2
	s_add_nc_u64 s[40:41], s[40:41], s[20:21]
	s_cbranch_vccnz .LBB92_81
.LBB92_55:                              ; =>This Inner Loop Header: Depth=1
	v_cmp_ge_i64_e64 s2, s[40:41], s[4:5]
	v_add_nc_u64_e32 v[88:89], s[40:41], v[20:21]
	v_dual_mov_b32 v86, v32 :: v_dual_mov_b32 v87, v33
                                        ; implicit-def: $vgpr33
	s_and_b32 vcc_lo, exec_lo, s2
	s_mov_b32 s2, -1
	s_cbranch_vccz .LBB92_77
; %bb.56:                               ;   in Loop: Header=BB92_55 Depth=1
	s_load_b32 s2, s[36:37], 0xc
	v_dual_mov_b32 v33, 0 :: v_dual_mov_b32 v32, 0
	s_wait_kmcnt 0x0
	s_and_b32 s2, s2, 0xffff
	s_delay_alu instid0(SALU_CYCLE_1) | instskip(SKIP_1) | instid1(VALU_DEP_1)
	v_mad_u32_u24 v3, v1, s2, v90
	s_mov_b32 s2, exec_lo
	v_and_b32_e32 v4, 31, v3
	s_delay_alu instid0(VALU_DEP_1)
	v_cmpx_gt_u32_e32 8, v4
	s_cbranch_execz .LBB92_60
; %bb.57:                               ;   in Loop: Header=BB92_55 Depth=1
	v_dual_mov_b32 v5, v2 :: v_dual_mov_b32 v33, 0
	v_mov_b32_e32 v32, 0
	s_mov_b32 s17, exec_lo
	s_delay_alu instid0(VALU_DEP_2) | instskip(NEXT) | instid1(VALU_DEP_1)
	v_add_nc_u64_e32 v[4:5], v[88:89], v[4:5]
	v_add_nc_u64_e32 v[4:5], s[8:9], v[4:5]
	s_delay_alu instid0(VALU_DEP_1)
	v_cmpx_gt_i64_e64 s[4:5], v[4:5]
	s_cbranch_execz .LBB92_59
; %bb.58:                               ;   in Loop: Header=BB92_55 Depth=1
	v_lshlrev_b64_e32 v[4:5], 2, v[4:5]
	s_delay_alu instid0(VALU_DEP_1)
	v_add_nc_u64_e32 v[6:7], s[12:13], v[4:5]
	v_add_nc_u64_e32 v[4:5], s[14:15], v[4:5]
	global_load_b32 v33, v[6:7], off
	global_load_b32 v32, v[4:5], off
.LBB92_59:                              ;   in Loop: Header=BB92_55 Depth=1
	s_wait_xcnt 0x0
	s_or_b32 exec_lo, exec_lo, s17
.LBB92_60:                              ;   in Loop: Header=BB92_55 Depth=1
	s_delay_alu instid0(SALU_CYCLE_1)
	s_or_b32 exec_lo, exec_lo, s2
	v_add_nc_u64_e32 v[10:11], s[8:9], v[88:89]
	v_dual_mov_b32 v7, v2 :: v_dual_mov_b32 v8, v2
	v_dual_mov_b32 v9, v2 :: v_dual_mov_b32 v3, v2
	v_dual_mov_b32 v4, v2 :: v_dual_mov_b32 v5, v2
	v_mov_b32_e32 v6, v2
	s_delay_alu instid0(VALU_DEP_3)
	v_mov_b64_e32 v[18:19], v[8:9]
	v_cmp_gt_i64_e32 vcc_lo, s[4:5], v[10:11]
	v_mov_b64_e32 v[12:13], v[2:3]
	v_mov_b64_e32 v[14:15], v[4:5]
	;; [unrolled: 1-line block ×7, first 2 shown]
	s_and_saveexec_b32 s2, vcc_lo
	s_cbranch_execz .LBB92_62
; %bb.61:                               ;   in Loop: Header=BB92_55 Depth=1
	v_add_nc_u64_e32 v[4:5], v[54:55], v[52:53]
	v_add_nc_u64_e32 v[6:7], v[56:57], v[52:53]
	v_dual_mov_b32 v9, v2 :: v_dual_mov_b32 v10, v2
	v_dual_mov_b32 v11, v2 :: v_dual_mov_b32 v13, v2
	;; [unrolled: 1-line block ×3, first 2 shown]
	global_load_u16 v3, v[4:5], off
	global_load_u16 v12, v[6:7], off
	s_wait_xcnt 0x0
	v_dual_mov_b32 v5, v2 :: v_dual_mov_b32 v6, v2
	v_dual_mov_b32 v7, v2 :: v_dual_mov_b32 v8, v2
	;; [unrolled: 1-line block ×4, first 2 shown]
	s_wait_loadcnt 0x1
	v_cvt_f32_f16_e32 v4, v3
	s_wait_loadcnt 0x0
	v_cvt_f32_f16_e32 v12, v12
.LBB92_62:                              ;   in Loop: Header=BB92_55 Depth=1
	s_or_b32 exec_lo, exec_lo, s2
	v_add_nc_u64_e32 v[92:93], s[10:11], v[88:89]
	s_mov_b32 s2, exec_lo
	s_delay_alu instid0(VALU_DEP_1)
	v_cmpx_gt_i64_e64 s[4:5], v[92:93]
	s_cbranch_execz .LBB92_64
; %bb.63:                               ;   in Loop: Header=BB92_55 Depth=1
	v_add_nc_u64_e32 v[92:93], v[82:83], v[52:53]
	v_add_nc_u64_e32 v[94:95], v[84:85], v[52:53]
	global_load_u16 v3, v[92:93], off
	global_load_u16 v13, v[94:95], off
	s_wait_loadcnt 0x1
	v_cvt_f32_f16_e32 v5, v3
	s_wait_loadcnt 0x0
	v_cvt_f32_f16_e32 v13, v13
.LBB92_64:                              ;   in Loop: Header=BB92_55 Depth=1
	s_or_b32 exec_lo, exec_lo, s2
	v_add_nc_u64_e32 v[92:93], s[22:23], v[88:89]
	s_mov_b32 s2, exec_lo
	s_delay_alu instid0(VALU_DEP_1)
	v_cmpx_gt_i64_e64 s[4:5], v[92:93]
	s_cbranch_execz .LBB92_66
; %bb.65:                               ;   in Loop: Header=BB92_55 Depth=1
	v_add_nc_u64_e32 v[92:93], v[78:79], v[52:53]
	v_add_nc_u64_e32 v[94:95], v[80:81], v[52:53]
	global_load_u16 v3, v[92:93], off
	global_load_u16 v14, v[94:95], off
	s_wait_loadcnt 0x1
	v_cvt_f32_f16_e32 v6, v3
	s_wait_loadcnt 0x0
	v_cvt_f32_f16_e32 v14, v14
.LBB92_66:                              ;   in Loop: Header=BB92_55 Depth=1
	;; [unrolled: 16-line block ×7, first 2 shown]
	s_or_b32 exec_lo, exec_lo, s2
	s_wait_loadcnt 0x1
	ds_bpermute_b32 v3, v2, v33
	ds_bpermute_b32 v91, v2, v33 offset:4
	ds_bpermute_b32 v93, v2, v33 offset:8
	s_wait_loadcnt 0x0
	ds_bpermute_b32 v94, v2, v32
	ds_bpermute_b32 v95, v2, v33 offset:12
	ds_bpermute_b32 v96, v2, v32 offset:4
	ds_bpermute_b32 v97, v2, v32 offset:8
	ds_bpermute_b32 v100, v2, v33 offset:16
	ds_bpermute_b32 v98, v2, v32 offset:12
	ds_bpermute_b32 v102, v2, v33 offset:20
	ds_bpermute_b32 v99, v2, v32 offset:16
	ds_bpermute_b32 v104, v2, v33 offset:24
	ds_bpermute_b32 v101, v2, v32 offset:20
	ds_bpermute_b32 v103, v2, v32 offset:24
	s_mov_b32 s2, 0
	s_wait_dscnt 0xd
	v_dual_mov_b32 v92, v6 :: v_dual_sub_f32 v3, v12, v3
	s_wait_dscnt 0xc
	v_dual_mov_b32 v12, v4 :: v_dual_sub_f32 v13, v13, v91
	s_wait_dscnt 0x9
	v_sub_f32_e32 v15, v15, v95
	v_dual_mul_f32 v3, v4, v3 :: v_dual_mov_b32 v4, v5
	v_sub_f32_e32 v14, v14, v93
	s_wait_dscnt 0x6
	v_dual_mul_f32 v5, v5, v13 :: v_dual_sub_f32 v16, v16, v100
	s_delay_alu instid0(VALU_DEP_3) | instskip(SKIP_4) | instid1(VALU_DEP_3)
	v_mul_f32_e32 v13, v3, v94
	ds_bpermute_b32 v3, v2, v33 offset:28
	v_dual_mul_f32 v14, v6, v14 :: v_dual_mul_f32 v5, v5, v96
	v_mov_b32_e32 v6, v7
	v_pk_add_f32 v[12:13], v[86:87], v[12:13]
	v_dual_mul_f32 v7, v7, v15 :: v_dual_mul_f32 v93, v14, v97
	ds_bpermute_b32 v14, v2, v32 offset:28
	v_mul_f32_e32 v15, v8, v16
	v_pk_add_f32 v[4:5], v[4:5], v[12:13]
	s_wait_dscnt 0x6
	v_sub_f32_e32 v13, v17, v102
	v_dual_mul_f32 v7, v7, v98 :: v_dual_mov_b32 v12, v8
	s_wait_dscnt 0x4
	v_sub_f32_e32 v8, v18, v104
	v_pk_add_f32 v[4:5], v[92:93], v[4:5]
	v_dual_mul_f32 v16, v9, v13 :: v_dual_mul_f32 v13, v15, v99
	s_delay_alu instid0(VALU_DEP_2) | instskip(SKIP_2) | instid1(VALU_DEP_3)
	v_pk_add_f32 v[4:5], v[6:7], v[4:5]
	s_wait_dscnt 0x1
	v_dual_mov_b32 v6, v9 :: v_dual_sub_f32 v3, v19, v3
	v_dual_mul_f32 v9, v10, v8 :: v_dual_mul_f32 v7, v16, v101
	v_mov_b32_e32 v8, v10
	v_pk_add_f32 v[4:5], v[12:13], v[4:5]
	s_delay_alu instid0(VALU_DEP_4) | instskip(NEXT) | instid1(VALU_DEP_2)
	v_mul_f32_e32 v3, v11, v3
	v_pk_add_f32 v[4:5], v[6:7], v[4:5]
	v_dual_mov_b32 v6, v11 :: v_dual_mul_f32 v9, v9, v103
	s_wait_dscnt 0x0
	s_delay_alu instid0(VALU_DEP_3) | instskip(NEXT) | instid1(VALU_DEP_2)
	v_mul_f32_e32 v7, v3, v14
	v_pk_add_f32 v[4:5], v[8:9], v[4:5]
	s_delay_alu instid0(VALU_DEP_1)
	v_pk_add_f32 v[32:33], v[6:7], v[4:5]
.LBB92_77:                              ;   in Loop: Header=BB92_55 Depth=1
	s_and_b32 vcc_lo, exec_lo, s2
	s_cbranch_vccz .LBB92_54
; %bb.78:                               ;   in Loop: Header=BB92_55 Depth=1
	s_load_b32 s2, s[36:37], 0x0
	v_mov_b32_e32 v6, 0
	s_wait_kmcnt 0x0
	s_cmp_lt_u32 s16, s2
	s_cselect_b32 s2, 12, 18
	s_delay_alu instid0(SALU_CYCLE_1) | instskip(SKIP_4) | instid1(VALU_DEP_1)
	s_add_nc_u64 s[42:43], s[36:37], s[2:3]
	s_load_u16 s2, s[42:43], 0x0
	s_wait_kmcnt 0x0
	v_mad_u32_u24 v3, v1, s2, v90
	s_mov_b32 s2, exec_lo
	v_dual_mov_b32 v3, 0 :: v_dual_bitop2_b32 v4, 31, v3 bitop3:0x40
	s_delay_alu instid0(VALU_DEP_1)
	v_cmpx_gt_u32_e32 8, v4
	s_cbranch_execz .LBB92_53
; %bb.79:                               ;   in Loop: Header=BB92_55 Depth=1
	v_dual_mov_b32 v5, v2 :: v_dual_mov_b32 v3, 0
	v_mov_b32_e32 v6, 0
	s_mov_b32 s17, exec_lo
	s_delay_alu instid0(VALU_DEP_2) | instskip(NEXT) | instid1(VALU_DEP_1)
	v_add_nc_u64_e32 v[4:5], v[88:89], v[4:5]
	v_add_nc_u64_e32 v[4:5], s[8:9], v[4:5]
	s_delay_alu instid0(VALU_DEP_1)
	v_cmpx_gt_i64_e64 s[4:5], v[4:5]
	s_cbranch_execz .LBB92_52
; %bb.80:                               ;   in Loop: Header=BB92_55 Depth=1
	v_lshlrev_b64_e32 v[4:5], 2, v[4:5]
	s_delay_alu instid0(VALU_DEP_1)
	v_add_nc_u64_e32 v[6:7], s[12:13], v[4:5]
	v_add_nc_u64_e32 v[4:5], s[14:15], v[4:5]
	global_load_b32 v3, v[6:7], off
	global_load_b32 v6, v[4:5], off
	s_branch .LBB92_52
.LBB92_81:
	v_and_b32_e32 v2, 0x3ff, v0
	v_bfe_u32 v1, v0, 10, 10
	v_bfe_u32 v0, v0, 5, 5
	s_mov_b32 s17, 0
	s_mov_b32 s2, exec_lo
	s_delay_alu instid0(VALU_DEP_2) | instskip(NEXT) | instid1(VALU_DEP_2)
	v_mad_u32_u24 v3, v1, 33, v2
	v_add_nc_u32_e32 v0, v0, v1
	s_delay_alu instid0(VALU_DEP_2)
	v_lshl_add_u32 v1, v3, 2, 0
	ds_store_b32 v1, v33
	ds_store_b32 v1, v32 offset:4224
	s_wait_dscnt 0x0
	s_barrier_signal -1
	s_barrier_wait -1
	v_cmpx_gt_u32_e32 32, v0
	s_cbranch_execz .LBB92_87
; %bb.82:
	v_mbcnt_lo_u32_b32 v3, -1, 0
	s_lshl_b64 s[2:3], s[16:17], 5
	s_delay_alu instid0(VALU_DEP_1) | instskip(SKIP_1) | instid1(VALU_DEP_2)
	v_xor_b32_e32 v5, 16, v3
	v_xor_b32_e32 v7, 8, v3
	v_cmp_gt_i32_e32 vcc_lo, 32, v5
	v_dual_cndmask_b32 v5, v3, v5, vcc_lo :: v_dual_bitop2_b32 v1, 31, v2 bitop3:0x40
	s_delay_alu instid0(VALU_DEP_1) | instskip(NEXT) | instid1(VALU_DEP_4)
	v_mad_u32_u24 v1, v1, 33, v0
	v_cmp_gt_i32_e32 vcc_lo, 32, v7
	v_or_b32_e32 v0, s2, v0
	v_cmp_eq_u32_e64 s2, 0, v2
	v_lshlrev_b32_e32 v5, 2, v5
	v_lshl_add_u32 v1, v1, 2, 0
	ds_load_b32 v4, v1
	ds_load_b32 v1, v1 offset:4224
	s_wait_dscnt 0x1
	ds_bpermute_b32 v6, v5, v4
	s_wait_dscnt 0x1
	ds_bpermute_b32 v5, v5, v1
	s_wait_dscnt 0x1
	v_dual_cndmask_b32 v7, v3, v7 :: v_dual_add_f32 v4, v4, v6
	s_wait_dscnt 0x0
	s_delay_alu instid0(VALU_DEP_1)
	v_dual_add_f32 v1, v1, v5 :: v_dual_lshlrev_b32 v7, 2, v7
	ds_bpermute_b32 v5, v7, v4
	s_wait_dscnt 0x0
	v_add_f32_e32 v4, v4, v5
	ds_bpermute_b32 v6, v7, v1
	s_wait_dscnt 0x0
	v_dual_add_f32 v1, v1, v6 :: v_dual_bitop2_b32 v7, 4, v3 bitop3:0x14
	s_delay_alu instid0(VALU_DEP_1) | instskip(SKIP_1) | instid1(VALU_DEP_1)
	v_cmp_gt_i32_e32 vcc_lo, 32, v7
	v_cndmask_b32_e32 v7, v3, v7, vcc_lo
	v_lshlrev_b32_e32 v7, 2, v7
	ds_bpermute_b32 v6, v7, v1
	s_wait_dscnt 0x0
	v_add_f32_e32 v1, v1, v6
	ds_bpermute_b32 v5, v7, v4
	s_wait_dscnt 0x0
	v_dual_add_f32 v4, v4, v5 :: v_dual_bitop2_b32 v7, 2, v3 bitop3:0x14
	s_delay_alu instid0(VALU_DEP_1) | instskip(SKIP_1) | instid1(VALU_DEP_1)
	v_cmp_gt_i32_e32 vcc_lo, 32, v7
	v_cndmask_b32_e32 v7, v3, v7, vcc_lo
	v_lshlrev_b32_e32 v7, 2, v7
	ds_bpermute_b32 v5, v7, v4
	ds_bpermute_b32 v6, v7, v1
	v_xor_b32_e32 v7, 1, v3
	s_delay_alu instid0(VALU_DEP_1) | instskip(SKIP_2) | instid1(VALU_DEP_1)
	v_cmp_gt_i32_e32 vcc_lo, 32, v7
	v_cndmask_b32_e32 v3, v3, v7, vcc_lo
	s_wait_dscnt 0x1
	v_dual_lshlrev_b32 v7, 2, v3 :: v_dual_add_f32 v5, v4, v5
	s_wait_dscnt 0x0
	v_dual_add_f32 v3, v1, v6 :: v_dual_mov_b32 v1, s3
	ds_bpermute_b32 v6, v7, v5
	ds_bpermute_b32 v4, v7, v3
	v_cmp_gt_i64_e32 vcc_lo, s[6:7], v[0:1]
	s_and_b32 s2, s2, vcc_lo
	s_delay_alu instid0(SALU_CYCLE_1)
	s_and_b32 exec_lo, exec_lo, s2
	s_cbranch_execz .LBB92_87
; %bb.83:
	s_load_b128 s[0:3], s[0:1], 0x30
	s_wait_kmcnt 0x0
	s_cmp_eq_u64 s[0:1], 0
	s_cbranch_scc1 .LBB92_85
; %bb.84:
	s_wait_dscnt 0x1
	v_add_f32_e32 v2, v5, v6
	v_lshl_add_u64 v[6:7], v[0:1], 1, s[0:1]
	s_delay_alu instid0(VALU_DEP_2)
	v_cvt_f16_f32_e32 v2, v2
	global_store_b16 v[6:7], v2, off
.LBB92_85:
	s_cmp_eq_u64 s[2:3], 0
	s_cbranch_scc1 .LBB92_87
; %bb.86:
	s_wait_dscnt 0x0
	s_wait_xcnt 0x0
	v_add_f32_e32 v2, v3, v4
	v_lshl_add_u64 v[0:1], v[0:1], 1, s[2:3]
	s_delay_alu instid0(VALU_DEP_2)
	v_cvt_f16_f32_e32 v2, v2
	global_store_b16 v[0:1], v2, off
.LBB92_87:
	s_sendmsg sendmsg(MSG_DEALLOC_VGPRS)
	s_endpgm
	.section	.rodata,"a",@progbits
	.p2align	6, 0x0
	.amdhsa_kernel _ZN2at6native12_GLOBAL__N_135GammaBetaBackwardCUDAKernelTemplateIN3c104HalfEfLj32ELj32ELj256ELb0ELb0ELb0EEEvllPKT_S7_PKT0_SA_PS5_SB_
		.amdhsa_group_segment_fixed_size 0
		.amdhsa_private_segment_fixed_size 0
		.amdhsa_kernarg_size 320
		.amdhsa_user_sgpr_count 2
		.amdhsa_user_sgpr_dispatch_ptr 0
		.amdhsa_user_sgpr_queue_ptr 0
		.amdhsa_user_sgpr_kernarg_segment_ptr 1
		.amdhsa_user_sgpr_dispatch_id 0
		.amdhsa_user_sgpr_kernarg_preload_length 0
		.amdhsa_user_sgpr_kernarg_preload_offset 0
		.amdhsa_user_sgpr_private_segment_size 0
		.amdhsa_wavefront_size32 1
		.amdhsa_uses_dynamic_stack 0
		.amdhsa_enable_private_segment 0
		.amdhsa_system_sgpr_workgroup_id_x 1
		.amdhsa_system_sgpr_workgroup_id_y 1
		.amdhsa_system_sgpr_workgroup_id_z 0
		.amdhsa_system_sgpr_workgroup_info 0
		.amdhsa_system_vgpr_workitem_id 1
		.amdhsa_next_free_vgpr 106
		.amdhsa_next_free_sgpr 52
		.amdhsa_named_barrier_count 0
		.amdhsa_reserve_vcc 1
		.amdhsa_float_round_mode_32 0
		.amdhsa_float_round_mode_16_64 0
		.amdhsa_float_denorm_mode_32 3
		.amdhsa_float_denorm_mode_16_64 3
		.amdhsa_fp16_overflow 0
		.amdhsa_memory_ordered 1
		.amdhsa_forward_progress 1
		.amdhsa_inst_pref_size 55
		.amdhsa_round_robin_scheduling 0
		.amdhsa_exception_fp_ieee_invalid_op 0
		.amdhsa_exception_fp_denorm_src 0
		.amdhsa_exception_fp_ieee_div_zero 0
		.amdhsa_exception_fp_ieee_overflow 0
		.amdhsa_exception_fp_ieee_underflow 0
		.amdhsa_exception_fp_ieee_inexact 0
		.amdhsa_exception_int_div_zero 0
	.end_amdhsa_kernel
	.section	.text._ZN2at6native12_GLOBAL__N_135GammaBetaBackwardCUDAKernelTemplateIN3c104HalfEfLj32ELj32ELj256ELb0ELb0ELb0EEEvllPKT_S7_PKT0_SA_PS5_SB_,"axG",@progbits,_ZN2at6native12_GLOBAL__N_135GammaBetaBackwardCUDAKernelTemplateIN3c104HalfEfLj32ELj32ELj256ELb0ELb0ELb0EEEvllPKT_S7_PKT0_SA_PS5_SB_,comdat
.Lfunc_end92:
	.size	_ZN2at6native12_GLOBAL__N_135GammaBetaBackwardCUDAKernelTemplateIN3c104HalfEfLj32ELj32ELj256ELb0ELb0ELb0EEEvllPKT_S7_PKT0_SA_PS5_SB_, .Lfunc_end92-_ZN2at6native12_GLOBAL__N_135GammaBetaBackwardCUDAKernelTemplateIN3c104HalfEfLj32ELj32ELj256ELb0ELb0ELb0EEEvllPKT_S7_PKT0_SA_PS5_SB_
                                        ; -- End function
	.set _ZN2at6native12_GLOBAL__N_135GammaBetaBackwardCUDAKernelTemplateIN3c104HalfEfLj32ELj32ELj256ELb0ELb0ELb0EEEvllPKT_S7_PKT0_SA_PS5_SB_.num_vgpr, 106
	.set _ZN2at6native12_GLOBAL__N_135GammaBetaBackwardCUDAKernelTemplateIN3c104HalfEfLj32ELj32ELj256ELb0ELb0ELb0EEEvllPKT_S7_PKT0_SA_PS5_SB_.num_agpr, 0
	.set _ZN2at6native12_GLOBAL__N_135GammaBetaBackwardCUDAKernelTemplateIN3c104HalfEfLj32ELj32ELj256ELb0ELb0ELb0EEEvllPKT_S7_PKT0_SA_PS5_SB_.numbered_sgpr, 52
	.set _ZN2at6native12_GLOBAL__N_135GammaBetaBackwardCUDAKernelTemplateIN3c104HalfEfLj32ELj32ELj256ELb0ELb0ELb0EEEvllPKT_S7_PKT0_SA_PS5_SB_.num_named_barrier, 0
	.set _ZN2at6native12_GLOBAL__N_135GammaBetaBackwardCUDAKernelTemplateIN3c104HalfEfLj32ELj32ELj256ELb0ELb0ELb0EEEvllPKT_S7_PKT0_SA_PS5_SB_.private_seg_size, 0
	.set _ZN2at6native12_GLOBAL__N_135GammaBetaBackwardCUDAKernelTemplateIN3c104HalfEfLj32ELj32ELj256ELb0ELb0ELb0EEEvllPKT_S7_PKT0_SA_PS5_SB_.uses_vcc, 1
	.set _ZN2at6native12_GLOBAL__N_135GammaBetaBackwardCUDAKernelTemplateIN3c104HalfEfLj32ELj32ELj256ELb0ELb0ELb0EEEvllPKT_S7_PKT0_SA_PS5_SB_.uses_flat_scratch, 0
	.set _ZN2at6native12_GLOBAL__N_135GammaBetaBackwardCUDAKernelTemplateIN3c104HalfEfLj32ELj32ELj256ELb0ELb0ELb0EEEvllPKT_S7_PKT0_SA_PS5_SB_.has_dyn_sized_stack, 0
	.set _ZN2at6native12_GLOBAL__N_135GammaBetaBackwardCUDAKernelTemplateIN3c104HalfEfLj32ELj32ELj256ELb0ELb0ELb0EEEvllPKT_S7_PKT0_SA_PS5_SB_.has_recursion, 0
	.set _ZN2at6native12_GLOBAL__N_135GammaBetaBackwardCUDAKernelTemplateIN3c104HalfEfLj32ELj32ELj256ELb0ELb0ELb0EEEvllPKT_S7_PKT0_SA_PS5_SB_.has_indirect_call, 0
	.section	.AMDGPU.csdata,"",@progbits
; Kernel info:
; codeLenInByte = 6928
; TotalNumSgprs: 54
; NumVgprs: 106
; ScratchSize: 0
; MemoryBound: 0
; FloatMode: 240
; IeeeMode: 1
; LDSByteSize: 0 bytes/workgroup (compile time only)
; SGPRBlocks: 0
; VGPRBlocks: 6
; NumSGPRsForWavesPerEU: 54
; NumVGPRsForWavesPerEU: 106
; NamedBarCnt: 0
; Occupancy: 9
; WaveLimiterHint : 0
; COMPUTE_PGM_RSRC2:SCRATCH_EN: 0
; COMPUTE_PGM_RSRC2:USER_SGPR: 2
; COMPUTE_PGM_RSRC2:TRAP_HANDLER: 0
; COMPUTE_PGM_RSRC2:TGID_X_EN: 1
; COMPUTE_PGM_RSRC2:TGID_Y_EN: 1
; COMPUTE_PGM_RSRC2:TGID_Z_EN: 0
; COMPUTE_PGM_RSRC2:TIDIG_COMP_CNT: 1
	.section	.text._ZN2at6native12_GLOBAL__N_118cuComputeGradInputIN3c108BFloat16EfLb0EEEvPKT_S7_llPKT0_SA_S7_PS5_,"axG",@progbits,_ZN2at6native12_GLOBAL__N_118cuComputeGradInputIN3c108BFloat16EfLb0EEEvPKT_S7_llPKT0_SA_S7_PS5_,comdat
	.globl	_ZN2at6native12_GLOBAL__N_118cuComputeGradInputIN3c108BFloat16EfLb0EEEvPKT_S7_llPKT0_SA_S7_PS5_ ; -- Begin function _ZN2at6native12_GLOBAL__N_118cuComputeGradInputIN3c108BFloat16EfLb0EEEvPKT_S7_llPKT0_SA_S7_PS5_
	.p2align	8
	.type	_ZN2at6native12_GLOBAL__N_118cuComputeGradInputIN3c108BFloat16EfLb0EEEvPKT_S7_llPKT0_SA_S7_PS5_,@function
_ZN2at6native12_GLOBAL__N_118cuComputeGradInputIN3c108BFloat16EfLb0EEEvPKT_S7_llPKT0_SA_S7_PS5_: ; @_ZN2at6native12_GLOBAL__N_118cuComputeGradInputIN3c108BFloat16EfLb0EEEvPKT_S7_llPKT0_SA_S7_PS5_
; %bb.0:
	s_load_b128 s[16:19], s[0:1], 0x10
	s_bfe_u32 s2, ttmp6, 0x40010
	s_bfe_u32 s3, ttmp6, 0x40004
	s_add_co_i32 s2, s2, 1
	s_getreg_b32 s4, hwreg(HW_REG_IB_STS2, 6, 4)
	s_mul_i32 s2, ttmp7, s2
	s_delay_alu instid0(SALU_CYCLE_1) | instskip(SKIP_2) | instid1(SALU_CYCLE_1)
	s_add_co_i32 s3, s3, s2
	s_cmp_eq_u32 s4, 0
	s_cselect_b32 s6, ttmp7, s3
	s_ashr_i32 s7, s6, 31
	s_wait_kmcnt 0x0
	v_cmp_le_i64_e64 s2, s[16:17], s[6:7]
	s_and_b32 vcc_lo, exec_lo, s2
	s_cbranch_vccnz .LBB93_49
; %bb.1:
	s_clause 0x1
	s_load_b32 s2, s[0:1], 0x4c
	s_load_b256 s[8:15], s[0:1], 0x20
	s_cls_i32 s3, s19
	v_and_b32_e32 v10, 0x3ff, v0
	v_bfe_u32 v11, v0, 10, 10
	s_clause 0x1
	s_load_b32 s36, s[0:1], 0x44
	s_load_b128 s[20:23], s[0:1], 0x0
	v_cmp_gt_i64_e64 s37, s[18:19], 0
	v_mbcnt_lo_u32_b32 v13, -1, 0
	v_lshlrev_b32_e32 v7, 3, v10
	s_wait_xcnt 0x0
	v_cmp_eq_u32_e64 s0, 0, v11
	v_cmp_ne_u32_e64 s1, 0, v11
	v_cndmask_b32_e64 v12, 0, 1, s37
	v_add_nc_u32_e32 v17, 0, v7
	s_wait_kmcnt 0x0
	s_lshr_b32 s30, s2, 16
	s_and_b32 s31, s2, 0xffff
	s_cmp_lg_u64 s[12:13], 0
	s_mul_i32 s38, s30, s31
	s_cselect_b32 s33, -1, 0
	s_cmp_gt_u32 s31, 1
	s_cselect_b32 s34, -1, 0
	s_cmp_gt_u32 s30, 1
	s_cselect_b32 s35, -1, 0
	s_xor_b32 s2, s18, s19
	s_add_co_i32 s3, s3, -1
	s_ashr_i32 s2, s2, 31
	s_delay_alu instid0(SALU_CYCLE_1) | instskip(NEXT) | instid1(SALU_CYCLE_1)
	s_add_co_i32 s2, s2, 32
	s_min_u32 s4, s3, s2
	s_delay_alu instid0(SALU_CYCLE_1) | instskip(NEXT) | instid1(SALU_CYCLE_1)
	s_lshl_b64 s[2:3], s[18:19], s4
	s_min_u32 s2, s2, 1
	s_delay_alu instid0(SALU_CYCLE_1) | instskip(SKIP_2) | instid1(SALU_CYCLE_3)
	s_or_b32 s2, s3, s2
	s_sub_co_i32 s3, 32, s4
	s_cvt_f32_i32 s2, s2
	v_ldexp_f32 v2, s2, s3
	s_delay_alu instid0(VALU_DEP_1) | instskip(SKIP_1) | instid1(VALU_DEP_2)
	v_div_scale_f32 v1, null, v2, v2, 1.0
	v_div_scale_f32 v5, vcc_lo, 1.0, v2, 1.0
	v_rcp_f32_e32 v3, v1
	v_xor_b32_e32 v4, 0x80000000, v1
	s_delay_alu instid0(TRANS32_DEP_1) | instid1(VALU_DEP_1)
	v_fma_f32 v1, v4, v3, 1.0
	s_delay_alu instid0(VALU_DEP_1) | instskip(NEXT) | instid1(VALU_DEP_1)
	v_dual_fmac_f32 v3, v1, v3 :: v_dual_mov_b32 v1, 0
	v_mul_f32_e32 v6, v5, v3
	s_delay_alu instid0(VALU_DEP_1) | instskip(NEXT) | instid1(VALU_DEP_1)
	v_fma_f32 v0, v4, v6, v5
	v_fmac_f32_e32 v6, v0, v3
	v_mad_u32_u24 v0, v11, s31, v10
	s_delay_alu instid0(VALU_DEP_1) | instskip(SKIP_2) | instid1(VALU_DEP_3)
	v_dual_fmac_f32 v5, v4, v6 :: v_dual_lshlrev_b32 v4, 3, v0
	v_cmp_gt_i64_e64 s2, s[18:19], v[0:1]
	v_add_nc_u32_e32 v14, s38, v0
	v_div_fmas_f32 v3, v5, v3, v6
	s_delay_alu instid0(VALU_DEP_4) | instskip(NEXT) | instid1(VALU_DEP_2)
	v_add_nc_u32_e32 v15, 0, v4
	v_div_fixup_f32 v16, v3, v2, 1.0
	s_branch .LBB93_4
.LBB93_2:                               ;   in Loop: Header=BB93_4 Depth=1
	s_or_b32 exec_lo, exec_lo, s7
.LBB93_3:                               ;   in Loop: Header=BB93_4 Depth=1
	s_add_co_i32 s6, s36, s6
	s_wait_storecnt_dscnt 0x0
	s_ashr_i32 s7, s6, 31
	s_barrier_signal -1
	v_cmp_le_i64_e64 s3, s[16:17], s[6:7]
	s_barrier_wait -1
	s_and_b32 vcc_lo, exec_lo, s3
	s_cbranch_vccnz .LBB93_49
.LBB93_4:                               ; =>This Loop Header: Depth=1
                                        ;     Child Loop BB93_8 Depth 2
                                        ;     Child Loop BB93_20 Depth 2
	;; [unrolled: 1-line block ×6, first 2 shown]
	s_lshl_b64 s[4:5], s[6:7], 2
	v_cmp_ne_u32_e64 s3, 1, v12
	s_add_nc_u64 s[24:25], s[8:9], s[4:5]
	s_add_nc_u64 s[4:5], s[10:11], s[4:5]
	s_load_b32 s39, s[24:25], 0x0
	s_load_b32 s40, s[4:5], 0x0
	s_wait_xcnt 0x0
	s_mul_u64 s[4:5], s[6:7], s[18:19]
	s_and_not1_b32 vcc_lo, exec_lo, s33
	s_lshl_b64 s[28:29], s[4:5], 1
	s_mov_b32 s4, -1
	s_add_nc_u64 s[24:25], s[22:23], s[28:29]
	s_add_nc_u64 s[26:27], s[20:21], s[28:29]
                                        ; implicit-def: $vgpr4_vgpr5
	s_cbranch_vccnz .LBB93_16
; %bb.5:                                ;   in Loop: Header=BB93_4 Depth=1
	s_and_b32 vcc_lo, exec_lo, s3
	s_cbranch_vccnz .LBB93_14
; %bb.6:                                ;   in Loop: Header=BB93_4 Depth=1
	v_mov_b32_e32 v4, 0
	s_mov_b32 s4, 0
	s_delay_alu instid0(VALU_DEP_1)
	v_mov_b32_e32 v5, v4
	s_branch .LBB93_8
.LBB93_7:                               ;   in Loop: Header=BB93_8 Depth=2
	s_or_b32 exec_lo, exec_lo, s3
	s_wait_kmcnt 0x0
	s_delay_alu instid0(VALU_DEP_1) | instskip(SKIP_1) | instid1(SALU_CYCLE_1)
	v_dual_subrev_f32 v7, s39, v9 :: v_dual_mul_f32 v6, v3, v8
	s_add_co_i32 s4, s4, s38
	s_ashr_i32 s5, s4, 31
	s_delay_alu instid0(VALU_DEP_1) | instskip(SKIP_1) | instid1(VALU_DEP_2)
	v_mul_f32_e32 v3, v7, v6
	v_cmp_le_i64_e64 s3, s[18:19], s[4:5]
	v_mul_f32_e32 v7, s40, v3
	s_and_b32 vcc_lo, exec_lo, s3
	s_delay_alu instid0(VALU_DEP_1)
	v_pk_add_f32 v[4:5], v[4:5], v[6:7]
	s_cbranch_vccnz .LBB93_15
.LBB93_8:                               ;   Parent Loop BB93_4 Depth=1
                                        ; =>  This Inner Loop Header: Depth=2
	v_dual_mov_b32 v3, 0 :: v_dual_add_nc_u32 v6, s4, v0
	s_delay_alu instid0(VALU_DEP_1) | instskip(NEXT) | instid1(VALU_DEP_1)
	v_ashrrev_i32_e32 v7, 31, v6
	v_cmp_gt_i64_e32 vcc_lo, s[18:19], v[6:7]
	s_and_saveexec_b32 s3, vcc_lo
	s_cbranch_execz .LBB93_10
; %bb.9:                                ;   in Loop: Header=BB93_8 Depth=2
	v_lshl_add_u64 v[8:9], v[6:7], 1, s[12:13]
	global_load_u16 v3, v[8:9], off
	s_wait_loadcnt 0x0
	v_lshlrev_b32_e32 v3, 16, v3
.LBB93_10:                              ;   in Loop: Header=BB93_8 Depth=2
	s_or_b32 exec_lo, exec_lo, s3
	v_dual_mov_b32 v8, 0 :: v_dual_mov_b32 v9, 0
	s_and_saveexec_b32 s3, vcc_lo
	s_cbranch_execz .LBB93_12
; %bb.11:                               ;   in Loop: Header=BB93_8 Depth=2
	v_lshl_add_u64 v[18:19], v[6:7], 1, s[24:25]
	global_load_u16 v9, v[18:19], off
	s_wait_loadcnt 0x0
	v_lshlrev_b32_e32 v9, 16, v9
.LBB93_12:                              ;   in Loop: Header=BB93_8 Depth=2
	s_or_b32 exec_lo, exec_lo, s3
	s_and_saveexec_b32 s3, vcc_lo
	s_cbranch_execz .LBB93_7
; %bb.13:                               ;   in Loop: Header=BB93_8 Depth=2
	v_lshl_add_u64 v[6:7], v[6:7], 1, s[26:27]
	global_load_u16 v6, v[6:7], off
	s_wait_loadcnt 0x0
	v_lshlrev_b32_e32 v8, 16, v6
	s_branch .LBB93_7
.LBB93_14:                              ;   in Loop: Header=BB93_4 Depth=1
	v_mov_b64_e32 v[4:5], 0
.LBB93_15:                              ;   in Loop: Header=BB93_4 Depth=1
	s_mov_b32 s4, 0
.LBB93_16:                              ;   in Loop: Header=BB93_4 Depth=1
	s_delay_alu instid0(SALU_CYCLE_1)
	s_and_not1_b32 vcc_lo, exec_lo, s4
	s_cbranch_vccnz .LBB93_25
; %bb.17:                               ;   in Loop: Header=BB93_4 Depth=1
	s_and_not1_b32 vcc_lo, exec_lo, s37
	s_cbranch_vccnz .LBB93_24
; %bb.18:                               ;   in Loop: Header=BB93_4 Depth=1
	v_mov_b32_e32 v4, 0
	s_mov_b32 s4, 0
	s_delay_alu instid0(VALU_DEP_1)
	v_mov_b32_e32 v5, v4
	s_branch .LBB93_20
.LBB93_19:                              ;   in Loop: Header=BB93_20 Depth=2
	s_or_b32 exec_lo, exec_lo, s3
	s_wait_kmcnt 0x0
	v_subrev_f32_e32 v3, s39, v3
	s_add_co_i32 s4, s4, s38
	s_delay_alu instid0(SALU_CYCLE_1) | instskip(NEXT) | instid1(SALU_CYCLE_1)
	s_ashr_i32 s5, s4, 31
	v_cmp_le_i64_e64 s3, s[18:19], s[4:5]
	s_delay_alu instid0(VALU_DEP_2) | instskip(NEXT) | instid1(VALU_DEP_1)
	v_mul_f32_e32 v3, v3, v8
	v_mul_f32_e32 v9, s40, v3
	s_and_b32 vcc_lo, exec_lo, s3
	s_delay_alu instid0(VALU_DEP_1)
	v_pk_add_f32 v[4:5], v[4:5], v[8:9]
	s_cbranch_vccnz .LBB93_25
.LBB93_20:                              ;   Parent Loop BB93_4 Depth=1
                                        ; =>  This Inner Loop Header: Depth=2
	v_dual_mov_b32 v3, 0 :: v_dual_add_nc_u32 v6, s4, v0
	s_delay_alu instid0(VALU_DEP_1) | instskip(NEXT) | instid1(VALU_DEP_1)
	v_ashrrev_i32_e32 v7, 31, v6
	v_cmp_gt_i64_e32 vcc_lo, s[18:19], v[6:7]
	s_and_saveexec_b32 s3, vcc_lo
	s_cbranch_execz .LBB93_22
; %bb.21:                               ;   in Loop: Header=BB93_20 Depth=2
	v_lshl_add_u64 v[8:9], v[6:7], 1, s[24:25]
	global_load_u16 v3, v[8:9], off
	s_wait_loadcnt 0x0
	v_lshlrev_b32_e32 v3, 16, v3
.LBB93_22:                              ;   in Loop: Header=BB93_20 Depth=2
	s_or_b32 exec_lo, exec_lo, s3
	v_mov_b32_e32 v8, 0
	s_and_saveexec_b32 s3, vcc_lo
	s_cbranch_execz .LBB93_19
; %bb.23:                               ;   in Loop: Header=BB93_20 Depth=2
	v_lshl_add_u64 v[6:7], v[6:7], 1, s[26:27]
	global_load_u16 v6, v[6:7], off
	s_wait_loadcnt 0x0
	v_lshlrev_b32_e32 v8, 16, v6
	s_branch .LBB93_19
.LBB93_24:                              ;   in Loop: Header=BB93_4 Depth=1
	v_mov_b64_e32 v[4:5], 0
.LBB93_25:                              ;   in Loop: Header=BB93_4 Depth=1
	s_and_not1_b32 vcc_lo, exec_lo, s34
	s_cbranch_vccnz .LBB93_28
; %bb.26:                               ;   in Loop: Header=BB93_4 Depth=1
	s_mov_b32 s3, s31
.LBB93_27:                              ;   Parent Loop BB93_4 Depth=1
                                        ; =>  This Inner Loop Header: Depth=2
	s_delay_alu instid0(SALU_CYCLE_1) | instskip(SKIP_3) | instid1(VALU_DEP_1)
	s_lshr_b32 s4, s3, 1
	s_cmp_lt_u32 s3, 4
	v_xor_b32_e32 v3, s4, v13
	s_mov_b32 s3, s4
	v_cmp_gt_i32_e32 vcc_lo, 32, v3
	v_cndmask_b32_e32 v3, v13, v3, vcc_lo
	s_delay_alu instid0(VALU_DEP_1)
	v_lshlrev_b32_e32 v3, 2, v3
	ds_bpermute_b32 v6, v3, v4
	ds_bpermute_b32 v7, v3, v5
	s_wait_dscnt 0x0
	v_pk_add_f32 v[4:5], v[4:5], v[6:7]
	s_cbranch_scc0 .LBB93_27
.LBB93_28:                              ;   in Loop: Header=BB93_4 Depth=1
	s_and_not1_b32 vcc_lo, exec_lo, s35
	s_mov_b32 s5, s30
	s_cbranch_vccnz .LBB93_40
.LBB93_29:                              ;   Parent Loop BB93_4 Depth=1
                                        ; =>  This Inner Loop Header: Depth=2
	s_lshr_b32 s7, s5, 1
	s_and_b32 s4, s5, 0xfffe
	v_cmp_le_u32_e64 s3, s7, v11
	v_cmp_gt_u32_e64 s4, s4, v11
	v_cmp_gt_u32_e32 vcc_lo, s7, v11
	s_and_b32 s4, s3, s4
	s_delay_alu instid0(SALU_CYCLE_1)
	s_and_saveexec_b32 s3, s4
	s_cbranch_execz .LBB93_31
; %bb.30:                               ;   in Loop: Header=BB93_29 Depth=2
	v_subrev_nc_u32_e32 v3, s7, v11
	s_delay_alu instid0(VALU_DEP_1) | instskip(NEXT) | instid1(VALU_DEP_1)
	v_mad_u32_u24 v3, v3, s31, v10
	v_lshl_add_u32 v3, v3, 3, 0
	ds_store_b64 v3, v[4:5]
.LBB93_31:                              ;   in Loop: Header=BB93_29 Depth=2
	s_or_b32 exec_lo, exec_lo, s3
	s_wait_dscnt 0x0
	s_barrier_signal -1
	s_barrier_wait -1
	s_and_saveexec_b32 s3, vcc_lo
	s_cbranch_execz .LBB93_33
; %bb.32:                               ;   in Loop: Header=BB93_29 Depth=2
	ds_load_b64 v[6:7], v15
	s_wait_dscnt 0x0
	v_pk_add_f32 v[4:5], v[4:5], v[6:7]
.LBB93_33:                              ;   in Loop: Header=BB93_29 Depth=2
	s_or_b32 exec_lo, exec_lo, s3
	s_cmp_lt_u32 s5, 4
	s_barrier_signal -1
	s_barrier_wait -1
	s_cbranch_scc1 .LBB93_35
; %bb.34:                               ;   in Loop: Header=BB93_29 Depth=2
	s_mov_b32 s5, s7
	s_branch .LBB93_29
.LBB93_35:                              ;   in Loop: Header=BB93_4 Depth=1
	s_and_saveexec_b32 s3, s0
; %bb.36:                               ;   in Loop: Header=BB93_4 Depth=1
	ds_store_b64 v17, v[4:5]
; %bb.37:                               ;   in Loop: Header=BB93_4 Depth=1
	s_or_b32 exec_lo, exec_lo, s3
	s_wait_dscnt 0x0
	s_barrier_signal -1
	s_barrier_wait -1
	s_and_saveexec_b32 s3, s1
; %bb.38:                               ;   in Loop: Header=BB93_4 Depth=1
	ds_load_b64 v[4:5], v17
; %bb.39:                               ;   in Loop: Header=BB93_4 Depth=1
	s_or_b32 exec_lo, exec_lo, s3
.LBB93_40:                              ;   in Loop: Header=BB93_4 Depth=1
	s_wait_kmcnt 0x0
	v_mul_f32_e32 v18, s40, v16
	s_and_not1_b32 vcc_lo, exec_lo, s33
	s_add_nc_u64 s[4:5], s[14:15], s[28:29]
	s_cbranch_vccnz .LBB93_45
; %bb.41:                               ;   in Loop: Header=BB93_4 Depth=1
	s_and_saveexec_b32 s7, s2
	s_cbranch_execz .LBB93_44
; %bb.42:                               ;   in Loop: Header=BB93_4 Depth=1
	v_mov_b64_e32 v[8:9], v[0:1]
	v_dual_mov_b32 v3, s39 :: v_dual_mov_b32 v6, v14
	s_mov_b32 s28, 0
.LBB93_43:                              ;   Parent Loop BB93_4 Depth=1
                                        ; =>  This Inner Loop Header: Depth=2
	s_delay_alu instid0(VALU_DEP_2) | instskip(SKIP_1) | instid1(VALU_DEP_2)
	v_lshlrev_b64_e32 v[20:21], 1, v[8:9]
	v_mov_b32_e32 v25, s40
	v_add_nc_u64_e32 v[8:9], s[24:25], v[20:21]
	v_add_nc_u64_e32 v[22:23], s[26:27], v[20:21]
	global_load_u16 v7, v[8:9], off
	global_load_u16 v19, v[22:23], off
	s_wait_xcnt 0x1
	v_add_nc_u64_e32 v[8:9], s[12:13], v[20:21]
	v_add_nc_u64_e32 v[20:21], s[4:5], v[20:21]
	global_load_u16 v24, v[8:9], off
	s_wait_loadcnt 0x2
	s_wait_xcnt 0x0
	v_lshlrev_b32_e32 v9, 16, v7
	s_wait_loadcnt 0x0
	v_dual_lshlrev_b32 v8, 16, v19 :: v_dual_lshlrev_b32 v24, 16, v24
	s_delay_alu instid0(VALU_DEP_1) | instskip(SKIP_1) | instid1(VALU_DEP_2)
	v_pk_add_f32 v[22:23], v[8:9], v[2:3] neg_lo:[0,1] neg_hi:[0,1]
	v_pk_mul_f32 v[8:9], v[2:3], v[8:9]
	v_mov_b32_e32 v9, v23
	s_delay_alu instid0(VALU_DEP_1) | instskip(SKIP_1) | instid1(VALU_DEP_1)
	v_pk_mul_f32 v[8:9], v[8:9], v[24:25]
	s_wait_dscnt 0x0
	v_sub_f32_e32 v7, v8, v4
	s_delay_alu instid0(VALU_DEP_1) | instskip(NEXT) | instid1(VALU_DEP_1)
	v_fma_f32 v7, -v9, v5, v7
	v_mul_f32_e32 v19, v18, v7
	s_delay_alu instid0(VALU_DEP_1) | instskip(NEXT) | instid1(VALU_DEP_1)
	v_bfe_u32 v7, v19, 16, 1
	v_add3_u32 v8, v19, v7, 0x7fff
	v_ashrrev_i32_e32 v7, 31, v6
	v_cmp_o_f32_e64 s3, v19, v19
	s_delay_alu instid0(VALU_DEP_3) | instskip(NEXT) | instid1(VALU_DEP_3)
	v_lshrrev_b32_e32 v22, 16, v8
	v_cmp_le_i64_e32 vcc_lo, s[18:19], v[6:7]
	v_mov_b64_e32 v[8:9], v[6:7]
	v_add_nc_u32_e32 v6, s38, v6
	s_delay_alu instid0(VALU_DEP_4)
	v_cndmask_b32_e64 v7, 0x7fc0, v22, s3
	s_or_b32 s28, vcc_lo, s28
	global_store_b16 v[20:21], v7, off
	s_wait_xcnt 0x0
	s_and_not1_b32 exec_lo, exec_lo, s28
	s_cbranch_execnz .LBB93_43
.LBB93_44:                              ;   in Loop: Header=BB93_4 Depth=1
	s_or_b32 exec_lo, exec_lo, s7
	s_cbranch_execnz .LBB93_3
	s_branch .LBB93_46
.LBB93_45:                              ;   in Loop: Header=BB93_4 Depth=1
.LBB93_46:                              ;   in Loop: Header=BB93_4 Depth=1
	s_and_saveexec_b32 s7, s2
	s_cbranch_execz .LBB93_2
; %bb.47:                               ;   in Loop: Header=BB93_4 Depth=1
	v_mov_b64_e32 v[8:9], v[0:1]
	v_dual_mov_b32 v3, s40 :: v_dual_mov_b32 v6, v14
	s_mov_b32 s28, 0
.LBB93_48:                              ;   Parent Loop BB93_4 Depth=1
                                        ; =>  This Inner Loop Header: Depth=2
	s_delay_alu instid0(VALU_DEP_2) | instskip(NEXT) | instid1(VALU_DEP_1)
	v_lshlrev_b64_e32 v[20:21], 1, v[8:9]
	v_add_nc_u64_e32 v[8:9], s[24:25], v[20:21]
	v_add_nc_u64_e32 v[22:23], s[26:27], v[20:21]
	;; [unrolled: 1-line block ×3, first 2 shown]
	global_load_u16 v7, v[8:9], off
	global_load_u16 v19, v[22:23], off
	s_wait_loadcnt 0x1
	v_lshlrev_b32_e32 v7, 16, v7
	s_wait_loadcnt 0x0
	s_wait_xcnt 0x1
	v_lshlrev_b32_e32 v8, 16, v19
	s_delay_alu instid0(VALU_DEP_2) | instskip(NEXT) | instid1(VALU_DEP_1)
	v_subrev_f32_e32 v9, s39, v7
	v_pk_mul_f32 v[8:9], v[2:3], v[8:9]
	s_wait_dscnt 0x0
	s_delay_alu instid0(VALU_DEP_1) | instskip(NEXT) | instid1(VALU_DEP_1)
	v_sub_f32_e32 v7, v8, v4
	v_fma_f32 v7, -v9, v5, v7
	s_delay_alu instid0(VALU_DEP_1) | instskip(NEXT) | instid1(VALU_DEP_1)
	v_mul_f32_e32 v19, v18, v7
	v_bfe_u32 v7, v19, 16, 1
	s_delay_alu instid0(VALU_DEP_1) | instskip(SKIP_3) | instid1(VALU_DEP_3)
	v_add3_u32 v8, v19, v7, 0x7fff
	v_ashrrev_i32_e32 v7, 31, v6
	v_cmp_o_f32_e64 s3, v19, v19
	s_wait_xcnt 0x0
	v_lshrrev_b32_e32 v22, 16, v8
	s_delay_alu instid0(VALU_DEP_3) | instskip(SKIP_2) | instid1(VALU_DEP_4)
	v_cmp_le_i64_e32 vcc_lo, s[18:19], v[6:7]
	v_mov_b64_e32 v[8:9], v[6:7]
	v_add_nc_u32_e32 v6, s38, v6
	v_cndmask_b32_e64 v7, 0x7fc0, v22, s3
	s_or_b32 s28, vcc_lo, s28
	global_store_b16 v[20:21], v7, off
	s_wait_xcnt 0x0
	s_and_not1_b32 exec_lo, exec_lo, s28
	s_cbranch_execnz .LBB93_48
	s_branch .LBB93_2
.LBB93_49:
	s_endpgm
	.section	.rodata,"a",@progbits
	.p2align	6, 0x0
	.amdhsa_kernel _ZN2at6native12_GLOBAL__N_118cuComputeGradInputIN3c108BFloat16EfLb0EEEvPKT_S7_llPKT0_SA_S7_PS5_
		.amdhsa_group_segment_fixed_size 0
		.amdhsa_private_segment_fixed_size 0
		.amdhsa_kernarg_size 320
		.amdhsa_user_sgpr_count 2
		.amdhsa_user_sgpr_dispatch_ptr 0
		.amdhsa_user_sgpr_queue_ptr 0
		.amdhsa_user_sgpr_kernarg_segment_ptr 1
		.amdhsa_user_sgpr_dispatch_id 0
		.amdhsa_user_sgpr_kernarg_preload_length 0
		.amdhsa_user_sgpr_kernarg_preload_offset 0
		.amdhsa_user_sgpr_private_segment_size 0
		.amdhsa_wavefront_size32 1
		.amdhsa_uses_dynamic_stack 0
		.amdhsa_enable_private_segment 0
		.amdhsa_system_sgpr_workgroup_id_x 1
		.amdhsa_system_sgpr_workgroup_id_y 1
		.amdhsa_system_sgpr_workgroup_id_z 0
		.amdhsa_system_sgpr_workgroup_info 0
		.amdhsa_system_vgpr_workitem_id 1
		.amdhsa_next_free_vgpr 26
		.amdhsa_next_free_sgpr 41
		.amdhsa_named_barrier_count 0
		.amdhsa_reserve_vcc 1
		.amdhsa_float_round_mode_32 0
		.amdhsa_float_round_mode_16_64 0
		.amdhsa_float_denorm_mode_32 3
		.amdhsa_float_denorm_mode_16_64 3
		.amdhsa_fp16_overflow 0
		.amdhsa_memory_ordered 1
		.amdhsa_forward_progress 1
		.amdhsa_inst_pref_size 15
		.amdhsa_round_robin_scheduling 0
		.amdhsa_exception_fp_ieee_invalid_op 0
		.amdhsa_exception_fp_denorm_src 0
		.amdhsa_exception_fp_ieee_div_zero 0
		.amdhsa_exception_fp_ieee_overflow 0
		.amdhsa_exception_fp_ieee_underflow 0
		.amdhsa_exception_fp_ieee_inexact 0
		.amdhsa_exception_int_div_zero 0
	.end_amdhsa_kernel
	.section	.text._ZN2at6native12_GLOBAL__N_118cuComputeGradInputIN3c108BFloat16EfLb0EEEvPKT_S7_llPKT0_SA_S7_PS5_,"axG",@progbits,_ZN2at6native12_GLOBAL__N_118cuComputeGradInputIN3c108BFloat16EfLb0EEEvPKT_S7_llPKT0_SA_S7_PS5_,comdat
.Lfunc_end93:
	.size	_ZN2at6native12_GLOBAL__N_118cuComputeGradInputIN3c108BFloat16EfLb0EEEvPKT_S7_llPKT0_SA_S7_PS5_, .Lfunc_end93-_ZN2at6native12_GLOBAL__N_118cuComputeGradInputIN3c108BFloat16EfLb0EEEvPKT_S7_llPKT0_SA_S7_PS5_
                                        ; -- End function
	.set _ZN2at6native12_GLOBAL__N_118cuComputeGradInputIN3c108BFloat16EfLb0EEEvPKT_S7_llPKT0_SA_S7_PS5_.num_vgpr, 26
	.set _ZN2at6native12_GLOBAL__N_118cuComputeGradInputIN3c108BFloat16EfLb0EEEvPKT_S7_llPKT0_SA_S7_PS5_.num_agpr, 0
	.set _ZN2at6native12_GLOBAL__N_118cuComputeGradInputIN3c108BFloat16EfLb0EEEvPKT_S7_llPKT0_SA_S7_PS5_.numbered_sgpr, 41
	.set _ZN2at6native12_GLOBAL__N_118cuComputeGradInputIN3c108BFloat16EfLb0EEEvPKT_S7_llPKT0_SA_S7_PS5_.num_named_barrier, 0
	.set _ZN2at6native12_GLOBAL__N_118cuComputeGradInputIN3c108BFloat16EfLb0EEEvPKT_S7_llPKT0_SA_S7_PS5_.private_seg_size, 0
	.set _ZN2at6native12_GLOBAL__N_118cuComputeGradInputIN3c108BFloat16EfLb0EEEvPKT_S7_llPKT0_SA_S7_PS5_.uses_vcc, 1
	.set _ZN2at6native12_GLOBAL__N_118cuComputeGradInputIN3c108BFloat16EfLb0EEEvPKT_S7_llPKT0_SA_S7_PS5_.uses_flat_scratch, 0
	.set _ZN2at6native12_GLOBAL__N_118cuComputeGradInputIN3c108BFloat16EfLb0EEEvPKT_S7_llPKT0_SA_S7_PS5_.has_dyn_sized_stack, 0
	.set _ZN2at6native12_GLOBAL__N_118cuComputeGradInputIN3c108BFloat16EfLb0EEEvPKT_S7_llPKT0_SA_S7_PS5_.has_recursion, 0
	.set _ZN2at6native12_GLOBAL__N_118cuComputeGradInputIN3c108BFloat16EfLb0EEEvPKT_S7_llPKT0_SA_S7_PS5_.has_indirect_call, 0
	.section	.AMDGPU.csdata,"",@progbits
; Kernel info:
; codeLenInByte = 1844
; TotalNumSgprs: 43
; NumVgprs: 26
; ScratchSize: 0
; MemoryBound: 0
; FloatMode: 240
; IeeeMode: 1
; LDSByteSize: 0 bytes/workgroup (compile time only)
; SGPRBlocks: 0
; VGPRBlocks: 1
; NumSGPRsForWavesPerEU: 43
; NumVGPRsForWavesPerEU: 26
; NamedBarCnt: 0
; Occupancy: 16
; WaveLimiterHint : 0
; COMPUTE_PGM_RSRC2:SCRATCH_EN: 0
; COMPUTE_PGM_RSRC2:USER_SGPR: 2
; COMPUTE_PGM_RSRC2:TRAP_HANDLER: 0
; COMPUTE_PGM_RSRC2:TGID_X_EN: 1
; COMPUTE_PGM_RSRC2:TGID_Y_EN: 1
; COMPUTE_PGM_RSRC2:TGID_Z_EN: 0
; COMPUTE_PGM_RSRC2:TIDIG_COMP_CNT: 1
	.section	.text._ZN2at6native12_GLOBAL__N_128layer_norm_grad_input_kernelIN3c108BFloat16EfLb0EEEvPKT_S7_PKT0_SA_S7_PS5_i,"axG",@progbits,_ZN2at6native12_GLOBAL__N_128layer_norm_grad_input_kernelIN3c108BFloat16EfLb0EEEvPKT_S7_PKT0_SA_S7_PS5_i,comdat
	.globl	_ZN2at6native12_GLOBAL__N_128layer_norm_grad_input_kernelIN3c108BFloat16EfLb0EEEvPKT_S7_PKT0_SA_S7_PS5_i ; -- Begin function _ZN2at6native12_GLOBAL__N_128layer_norm_grad_input_kernelIN3c108BFloat16EfLb0EEEvPKT_S7_PKT0_SA_S7_PS5_i
	.p2align	8
	.type	_ZN2at6native12_GLOBAL__N_128layer_norm_grad_input_kernelIN3c108BFloat16EfLb0EEEvPKT_S7_PKT0_SA_S7_PS5_i,@function
_ZN2at6native12_GLOBAL__N_128layer_norm_grad_input_kernelIN3c108BFloat16EfLb0EEEvPKT_S7_PKT0_SA_S7_PS5_i: ; @_ZN2at6native12_GLOBAL__N_128layer_norm_grad_input_kernelIN3c108BFloat16EfLb0EEEvPKT_S7_PKT0_SA_S7_PS5_i
; %bb.0:
	s_load_b256 s[4:11], s[0:1], 0x0
	s_bfe_u32 s2, ttmp6, 0x4000c
	s_load_b32 s12, s[0:1], 0x30
	s_add_co_i32 s2, s2, 1
	s_and_b32 s3, ttmp6, 15
	s_mul_i32 s2, ttmp9, s2
	s_getreg_b32 s13, hwreg(HW_REG_IB_STS2, 6, 4)
	s_add_co_i32 s3, s3, s2
	s_cmp_eq_u32 s13, 0
	v_lshlrev_b32_e32 v4, 2, v0
	s_cselect_b32 s18, ttmp9, s3
	s_mov_b32 s19, 0
	v_mov_b64_e32 v[2:3], 0
	s_load_b64 s[14:15], s[0:1], 0x20
	s_wait_kmcnt 0x0
	s_load_b32 s20, s[8:9], s18 offset:0x0 scale_offset
	s_load_b32 s21, s[10:11], s18 offset:0x0 scale_offset
	v_or_b32_e32 v1, 3, v4
	s_ashr_i32 s13, s12, 31
	s_delay_alu instid0(SALU_CYCLE_1)
	s_mul_u64 s[2:3], s[12:13], s[18:19]
	s_mov_b32 s13, exec_lo
	s_lshl_b64 s[16:17], s[2:3], 1
	s_wait_xcnt 0x0
	s_add_nc_u64 s[8:9], s[6:7], s[16:17]
	s_add_nc_u64 s[10:11], s[4:5], s[16:17]
	v_cmpx_gt_u32_e64 s12, v1
	s_cbranch_execz .LBB94_12
; %bb.1:
	s_load_b32 s22, s[0:1], 0x44
	v_mov_b32_e32 v5, 0
	s_cmp_lg_u64 s[14:15], 0
	s_cselect_b32 s18, -1, 0
	s_delay_alu instid0(VALU_DEP_1) | instskip(SKIP_2) | instid1(SALU_CYCLE_1)
	v_dual_mov_b32 v2, v5 :: v_dual_mov_b32 v3, v5
	s_wait_kmcnt 0x0
	s_and_b32 s22, s22, 0xffff
	s_lshl_b32 s22, s22, 2
	s_branch .LBB94_3
.LBB94_2:                               ;   in Loop: Header=BB94_3 Depth=1
	global_load_u16 v10, v[6:7], off offset:6
	global_load_u16 v21, v[8:9], off offset:6
	s_wait_loadcnt 0x6
	s_wait_xcnt 0x1
	v_dual_lshlrev_b32 v6, 16, v14 :: v_dual_lshlrev_b32 v7, 16, v15
	s_wait_loadcnt 0x4
	s_wait_xcnt 0x0
	v_dual_lshlrev_b32 v8, 16, v17 :: v_dual_lshlrev_b32 v9, 16, v18
	s_wait_loadcnt 0x3
	v_dual_subrev_f32 v6, s20, v6 :: v_dual_lshlrev_b32 v11, 16, v19
	s_wait_loadcnt 0x2
	v_dual_mul_f32 v7, v12, v7 :: v_dual_lshlrev_b32 v12, 16, v20
	v_dual_subrev_f32 v8, s20, v8 :: v_dual_mul_f32 v9, v1, v9
	s_delay_alu instid0(VALU_DEP_3) | instskip(NEXT) | instid1(VALU_DEP_3)
	v_subrev_f32_e32 v14, s20, v11
	v_dual_mul_f32 v1, v6, v7 :: v_dual_mul_f32 v11, v16, v12
	s_delay_alu instid0(VALU_DEP_3) | instskip(NEXT) | instid1(VALU_DEP_2)
	v_dual_add_nc_u32 v4, s22, v4 :: v_dual_mul_f32 v8, v8, v9
	v_dual_mul_f32 v6, s21, v1 :: v_dual_mul_f32 v12, v14, v11
	s_wait_loadcnt 0x0
	v_dual_lshlrev_b32 v1, 16, v10 :: v_dual_lshlrev_b32 v10, 16, v21
	s_delay_alu instid0(VALU_DEP_3) | instskip(NEXT) | instid1(VALU_DEP_3)
	v_mul_f32_e32 v8, s21, v8
	v_pk_add_f32 v[2:3], v[2:3], v[6:7]
	s_delay_alu instid0(VALU_DEP_3) | instskip(SKIP_1) | instid1(VALU_DEP_3)
	v_dual_subrev_f32 v1, s20, v1 :: v_dual_mul_f32 v7, v13, v10
	v_mul_f32_e32 v10, s21, v12
	v_pk_add_f32 v[2:3], v[2:3], v[8:9]
	s_delay_alu instid0(VALU_DEP_3) | instskip(NEXT) | instid1(VALU_DEP_2)
	v_dual_mul_f32 v1, v1, v7 :: v_dual_add_nc_u32 v8, 3, v4
	v_pk_add_f32 v[2:3], v[2:3], v[10:11]
	s_delay_alu instid0(VALU_DEP_2) | instskip(NEXT) | instid1(VALU_DEP_3)
	v_mul_f32_e32 v6, s21, v1
	v_cmp_le_u32_e32 vcc_lo, s12, v8
	s_delay_alu instid0(VALU_DEP_2) | instskip(SKIP_1) | instid1(SALU_CYCLE_1)
	v_pk_add_f32 v[2:3], v[2:3], v[6:7]
	s_or_b32 s19, vcc_lo, s19
	s_and_not1_b32 exec_lo, exec_lo, s19
	s_cbranch_execz .LBB94_11
.LBB94_3:                               ; =>This Inner Loop Header: Depth=1
	v_dual_mov_b32 v1, 1.0 :: v_dual_mov_b32 v12, 1.0
	v_lshl_add_u64 v[10:11], v[4:5], 1, s[14:15]
	s_and_b32 vcc_lo, exec_lo, s18
	s_cbranch_vccz .LBB94_5
; %bb.4:                                ;   in Loop: Header=BB94_3 Depth=1
	global_load_u16 v6, v[10:11], off
	s_wait_loadcnt 0x0
	v_lshlrev_b32_e32 v12, 16, v6
.LBB94_5:                               ;   in Loop: Header=BB94_3 Depth=1
	v_lshlrev_b64_e32 v[8:9], 1, v[4:5]
	s_and_not1_b32 vcc_lo, exec_lo, s18
	s_delay_alu instid0(VALU_DEP_1)
	v_add_nc_u64_e32 v[6:7], s[8:9], v[8:9]
	v_add_nc_u64_e32 v[8:9], s[10:11], v[8:9]
	global_load_u16 v14, v[6:7], off
	global_load_u16 v15, v[8:9], off
	s_cbranch_vccnz .LBB94_7
; %bb.6:                                ;   in Loop: Header=BB94_3 Depth=1
	global_load_u16 v1, v[10:11], off offset:2
	s_wait_loadcnt 0x0
	v_lshlrev_b32_e32 v1, 16, v1
.LBB94_7:                               ;   in Loop: Header=BB94_3 Depth=1
	global_load_u16 v17, v[6:7], off offset:2
	global_load_u16 v18, v[8:9], off offset:2
	v_dual_mov_b32 v13, 1.0 :: v_dual_mov_b32 v16, 1.0
	s_and_not1_b32 vcc_lo, exec_lo, s18
	s_cbranch_vccnz .LBB94_9
; %bb.8:                                ;   in Loop: Header=BB94_3 Depth=1
	global_load_u16 v16, v[10:11], off offset:4
	s_wait_loadcnt 0x0
	v_lshlrev_b32_e32 v16, 16, v16
.LBB94_9:                               ;   in Loop: Header=BB94_3 Depth=1
	global_load_u16 v19, v[6:7], off offset:4
	global_load_u16 v20, v[8:9], off offset:4
	s_and_not1_b32 vcc_lo, exec_lo, s18
	s_cbranch_vccnz .LBB94_2
; %bb.10:                               ;   in Loop: Header=BB94_3 Depth=1
	global_load_u16 v10, v[10:11], off offset:6
	s_wait_loadcnt 0x0
	v_lshlrev_b32_e32 v13, 16, v10
	s_branch .LBB94_2
.LBB94_11:
	s_or_b32 exec_lo, exec_lo, s19
.LBB94_12:
	s_delay_alu instid0(SALU_CYCLE_1) | instskip(NEXT) | instid1(SALU_CYCLE_1)
	s_or_b32 exec_lo, exec_lo, s13
	s_mov_b32 s13, exec_lo
	v_cmpx_gt_u32_e64 s12, v4
	s_cbranch_execz .LBB94_19
; %bb.13:
	v_mov_b32_e32 v5, 0
	s_cmp_lg_u64 s[14:15], 0
	s_delay_alu instid0(VALU_DEP_1) | instskip(NEXT) | instid1(VALU_DEP_1)
	v_lshlrev_b64_e32 v[6:7], 1, v[4:5]
	v_lshl_add_u64 v[10:11], s[2:3], 1, v[6:7]
	v_add_nc_u64_e32 v[6:7], s[14:15], v[6:7]
	s_cselect_b32 s2, -1, 0
	s_mov_b32 s3, 0
	s_delay_alu instid0(VALU_DEP_2)
	v_add_nc_u64_e32 v[8:9], s[6:7], v[10:11]
	v_add_nc_u64_e32 v[10:11], s[4:5], v[10:11]
	s_branch .LBB94_16
.LBB94_14:                              ;   in Loop: Header=BB94_16 Depth=1
	global_load_u16 v1, v[6:7], off
	s_wait_loadcnt 0x0
	v_lshlrev_b32_e32 v1, 16, v1
.LBB94_15:                              ;   in Loop: Header=BB94_16 Depth=1
	global_load_u16 v5, v[8:9], off
	global_load_u16 v12, v[10:11], off
	v_add_nc_u64_e32 v[6:7], 2, v[6:7]
	s_wait_xcnt 0x1
	v_add_nc_u64_e32 v[8:9], 2, v[8:9]
	s_wait_xcnt 0x0
	v_add_nc_u64_e32 v[10:11], 2, v[10:11]
	v_add_nc_u32_e32 v4, 1, v4
	s_delay_alu instid0(VALU_DEP_1) | instskip(SKIP_4) | instid1(VALU_DEP_1)
	v_cmp_le_u32_e32 vcc_lo, s12, v4
	s_or_b32 s3, vcc_lo, s3
	s_wait_loadcnt 0x0
	v_dual_lshlrev_b32 v5, 16, v5 :: v_dual_lshlrev_b32 v12, 16, v12
	s_wait_kmcnt 0x0
	v_dual_subrev_f32 v5, s20, v5 :: v_dual_mul_f32 v13, v1, v12
	s_delay_alu instid0(VALU_DEP_1) | instskip(NEXT) | instid1(VALU_DEP_1)
	v_mul_f32_e32 v1, v5, v13
	v_mul_f32_e32 v12, s21, v1
	s_delay_alu instid0(VALU_DEP_1)
	v_pk_add_f32 v[2:3], v[2:3], v[12:13]
	s_and_not1_b32 exec_lo, exec_lo, s3
	s_cbranch_execz .LBB94_18
.LBB94_16:                              ; =>This Inner Loop Header: Depth=1
	s_and_not1_b32 vcc_lo, exec_lo, s2
	s_cbranch_vccz .LBB94_14
; %bb.17:                               ;   in Loop: Header=BB94_16 Depth=1
	v_mov_b32_e32 v1, 1.0
	s_branch .LBB94_15
.LBB94_18:
	s_or_b32 exec_lo, exec_lo, s3
.LBB94_19:
	s_delay_alu instid0(SALU_CYCLE_1) | instskip(SKIP_3) | instid1(VALU_DEP_1)
	s_or_b32 exec_lo, exec_lo, s13
	v_mbcnt_lo_u32_b32 v4, -1, 0
	s_barrier_signal -1
	s_barrier_wait -1
	v_lshl_or_b32 v1, v4, 2, 64
	v_cmp_gt_u32_e32 vcc_lo, 24, v4
	ds_bpermute_b32 v5, v1, v3
	v_cndmask_b32_e64 v6, 0, 8, vcc_lo
	v_cmp_gt_u32_e32 vcc_lo, 28, v4
	s_delay_alu instid0(VALU_DEP_2)
	v_add_lshl_u32 v6, v6, v4, 2
	s_wait_dscnt 0x0
	v_add_f32_e32 v5, v3, v5
	v_cndmask_b32_e64 v3, 0, 4, vcc_lo
	v_cmp_gt_u32_e32 vcc_lo, 30, v4
	ds_bpermute_b32 v7, v6, v5
	v_add_lshl_u32 v3, v3, v4, 2
	s_wait_dscnt 0x0
	v_add_f32_e32 v5, v5, v7
	v_cndmask_b32_e64 v7, 0, 2, vcc_lo
	v_cmp_ne_u32_e32 vcc_lo, 31, v4
	ds_bpermute_b32 v8, v3, v5
	v_add_lshl_u32 v7, v7, v4, 2
	v_add_co_ci_u32_e64 v9, null, 0, v4, vcc_lo
	s_wait_dscnt 0x0
	v_add_f32_e32 v5, v5, v8
	ds_bpermute_b32 v8, v7, v5
	s_wait_dscnt 0x0
	v_dual_add_f32 v4, v5, v8 :: v_dual_lshlrev_b32 v8, 2, v9
	v_dual_lshrrev_b32 v5, 3, v0 :: v_dual_bitop2_b32 v9, 31, v0 bitop3:0x40
	ds_bpermute_b32 v10, v8, v4
	v_cmp_eq_u32_e32 vcc_lo, 0, v9
	s_and_saveexec_b32 s2, vcc_lo
	s_cbranch_execz .LBB94_21
; %bb.20:
	s_wait_dscnt 0x0
	v_dual_add_f32 v4, v4, v10 :: v_dual_add_nc_u32 v11, 0, v5
	ds_store_b32 v11, v4
.LBB94_21:
	s_or_b32 exec_lo, exec_lo, s2
	s_wait_dscnt 0x0
	s_barrier_signal -1
	s_barrier_wait -1
	s_load_b32 s4, s[0:1], 0x44
	v_mov_b32_e32 v4, 0
	v_lshl_add_u32 v9, v9, 2, 0
	s_wait_kmcnt 0x0
	s_bfe_u32 s2, s4, 0xb0005
	s_delay_alu instid0(SALU_CYCLE_1)
	v_cmp_gt_u32_e64 s2, s2, v0
	s_and_saveexec_b32 s3, s2
; %bb.22:
	ds_load_b32 v4, v9
; %bb.23:
	s_or_b32 exec_lo, exec_lo, s3
	v_cmp_gt_u32_e64 s3, 32, v0
	s_and_saveexec_b32 s5, s3
	s_cbranch_execz .LBB94_25
; %bb.24:
	s_wait_dscnt 0x0
	ds_bpermute_b32 v10, v1, v4
	s_wait_dscnt 0x0
	v_add_f32_e32 v4, v4, v10
	ds_bpermute_b32 v10, v6, v4
	s_wait_dscnt 0x0
	v_add_f32_e32 v4, v4, v10
	;; [unrolled: 3-line block ×5, first 2 shown]
.LBB94_25:
	s_or_b32 exec_lo, exec_lo, s5
	ds_bpermute_b32 v10, v1, v2
	s_wait_dscnt 0x0
	s_barrier_signal -1
	s_barrier_wait -1
	v_add_f32_e32 v2, v2, v10
	ds_bpermute_b32 v10, v6, v2
	s_wait_dscnt 0x0
	v_add_f32_e32 v2, v2, v10
	ds_bpermute_b32 v10, v3, v2
	s_wait_dscnt 0x0
	;; [unrolled: 3-line block ×3, first 2 shown]
	v_add_f32_e32 v2, v2, v10
	ds_bpermute_b32 v10, v8, v2
	s_and_saveexec_b32 s5, vcc_lo
	s_cbranch_execz .LBB94_27
; %bb.26:
	s_wait_dscnt 0x0
	v_dual_add_f32 v2, v2, v10 :: v_dual_add_nc_u32 v5, 0, v5
	ds_store_b32 v5, v2
.LBB94_27:
	s_or_b32 exec_lo, exec_lo, s5
	v_mov_b32_e32 v5, 0
	s_wait_dscnt 0x0
	s_barrier_signal -1
	s_barrier_wait -1
	s_and_saveexec_b32 s5, s2
; %bb.28:
	ds_load_b32 v5, v9
; %bb.29:
	s_or_b32 exec_lo, exec_lo, s5
	s_and_saveexec_b32 s2, s3
	s_cbranch_execz .LBB94_31
; %bb.30:
	s_wait_dscnt 0x0
	ds_bpermute_b32 v1, v1, v5
	s_wait_dscnt 0x0
	v_add_f32_e32 v1, v5, v1
	ds_bpermute_b32 v2, v6, v1
	s_wait_dscnt 0x0
	v_add_f32_e32 v1, v1, v2
	;; [unrolled: 3-line block ×5, first 2 shown]
.LBB94_31:
	s_or_b32 exec_lo, exec_lo, s2
	s_delay_alu instid0(SALU_CYCLE_1)
	s_mov_b32 s2, exec_lo
	v_cmpx_eq_u32_e32 0, v0
	s_cbranch_execz .LBB94_33
; %bb.32:
	v_mov_b32_e32 v1, 0
	s_wait_dscnt 0x0
	ds_store_b64 v1, v[4:5]
.LBB94_33:
	s_or_b32 exec_lo, exec_lo, s2
	s_wait_dscnt 0x0
	s_barrier_signal -1
	s_barrier_wait -1
	s_mov_b32 s2, exec_lo
	v_cmpx_gt_i32_e64 s12, v0
	s_cbranch_execz .LBB94_39
; %bb.34:
	s_cvt_f32_i32 s5, s12
	s_load_b64 s[2:3], s[0:1], 0x28
	s_wait_xcnt 0x0
	s_and_b32 s1, 0xffff, s4
	s_cmp_lg_u64 s[14:15], 0
	v_div_scale_f32 v1, null, s5, s5, 1.0
	v_div_scale_f32 v4, vcc_lo, 1.0, s5, 1.0
	s_cselect_b32 s4, -1, 0
	v_rcp_f32_e32 v2, v1
	v_nop
	v_xor_b32_e32 v1, 0x80000000, v1
	s_mov_b32 s6, 0
	s_delay_alu instid0(TRANS32_DEP_1) | instid1(VALU_DEP_1)
	v_fma_f32 v3, v1, v2, 1.0
	s_wait_kmcnt 0x0
	s_add_nc_u64 s[2:3], s[2:3], s[16:17]
	s_delay_alu instid0(VALU_DEP_1) | instskip(NEXT) | instid1(VALU_DEP_1)
	v_fmac_f32_e32 v2, v3, v2
	v_mul_f32_e32 v5, v4, v2
	s_delay_alu instid0(VALU_DEP_1) | instskip(NEXT) | instid1(VALU_DEP_1)
	v_fma_f32 v3, v1, v5, v4
	v_dual_fmac_f32 v5, v3, v2 :: v_dual_mov_b32 v3, 0
	ds_load_b32 v6, v3
	ds_load_b32 v3, v3 offset:4
	v_fmac_f32_e32 v4, v1, v5
	s_delay_alu instid0(VALU_DEP_1) | instskip(NEXT) | instid1(VALU_DEP_1)
	v_div_fmas_f32 v1, v4, v2, v5
	v_div_fixup_f32 v1, v1, s5, 1.0
	s_delay_alu instid0(VALU_DEP_1)
	v_mul_f32_e32 v7, s21, v1
	s_branch .LBB94_37
.LBB94_35:                              ;   in Loop: Header=BB94_37 Depth=1
	s_delay_alu instid0(VALU_DEP_1)
	v_lshl_add_u64 v[8:9], v[0:1], 1, s[14:15]
	global_load_u16 v4, v[8:9], off
	s_wait_loadcnt 0x0
	v_lshlrev_b32_e32 v4, 16, v4
.LBB94_36:                              ;   in Loop: Header=BB94_37 Depth=1
	s_wait_loadcnt 0x1
	s_wait_xcnt 0x0
	v_dual_mov_b32 v5, s21 :: v_dual_lshlrev_b32 v8, 16, v5
	s_wait_loadcnt 0x0
	s_delay_alu instid0(VALU_DEP_1) | instskip(SKIP_1) | instid1(VALU_DEP_1)
	v_dual_subrev_f32 v9, s20, v8 :: v_dual_lshlrev_b32 v2, 16, v2
	v_mov_b32_e32 v8, s5
	v_pk_mul_f32 v[4:5], v[4:5], v[8:9]
	s_wait_dscnt 0x0
	s_delay_alu instid0(VALU_DEP_1) | instskip(NEXT) | instid1(VALU_DEP_1)
	v_pk_mul_f32 v[4:5], v[4:5], v[2:3]
	v_sub_f32_e32 v2, v4, v5
	s_delay_alu instid0(VALU_DEP_1) | instskip(NEXT) | instid1(VALU_DEP_1)
	v_sub_f32_e32 v2, v2, v6
	v_mul_f32_e32 v2, v7, v2
	s_delay_alu instid0(VALU_DEP_1) | instskip(SKIP_1) | instid1(VALU_DEP_2)
	v_bfe_u32 v4, v2, 16, 1
	v_cmp_o_f32_e64 s0, v2, v2
	v_add3_u32 v8, v2, v4, 0x7fff
	v_lshl_add_u64 v[4:5], v[0:1], 1, s[2:3]
	v_add_nc_u32_e32 v0, s1, v0
	s_delay_alu instid0(VALU_DEP_3) | instskip(NEXT) | instid1(VALU_DEP_2)
	v_lshrrev_b32_e32 v1, 16, v8
	v_cmp_le_i32_e32 vcc_lo, s12, v0
	s_delay_alu instid0(VALU_DEP_2)
	v_cndmask_b32_e64 v1, 0x7fc0, v1, s0
	s_or_b32 s6, vcc_lo, s6
	global_store_b16 v[4:5], v1, off
	s_wait_xcnt 0x0
	s_and_not1_b32 exec_lo, exec_lo, s6
	s_cbranch_execz .LBB94_39
.LBB94_37:                              ; =>This Inner Loop Header: Depth=1
	s_clause 0x1
	global_load_u16 v5, v0, s[8:9] scale_offset
	global_load_u16 v2, v0, s[10:11] scale_offset
	v_ashrrev_i32_e32 v1, 31, v0
	s_and_not1_b32 vcc_lo, exec_lo, s4
	s_cbranch_vccz .LBB94_35
; %bb.38:                               ;   in Loop: Header=BB94_37 Depth=1
	v_mov_b32_e32 v4, 1.0
	s_branch .LBB94_36
.LBB94_39:
	s_endpgm
	.section	.rodata,"a",@progbits
	.p2align	6, 0x0
	.amdhsa_kernel _ZN2at6native12_GLOBAL__N_128layer_norm_grad_input_kernelIN3c108BFloat16EfLb0EEEvPKT_S7_PKT0_SA_S7_PS5_i
		.amdhsa_group_segment_fixed_size 0
		.amdhsa_private_segment_fixed_size 0
		.amdhsa_kernarg_size 312
		.amdhsa_user_sgpr_count 2
		.amdhsa_user_sgpr_dispatch_ptr 0
		.amdhsa_user_sgpr_queue_ptr 0
		.amdhsa_user_sgpr_kernarg_segment_ptr 1
		.amdhsa_user_sgpr_dispatch_id 0
		.amdhsa_user_sgpr_kernarg_preload_length 0
		.amdhsa_user_sgpr_kernarg_preload_offset 0
		.amdhsa_user_sgpr_private_segment_size 0
		.amdhsa_wavefront_size32 1
		.amdhsa_uses_dynamic_stack 0
		.amdhsa_enable_private_segment 0
		.amdhsa_system_sgpr_workgroup_id_x 1
		.amdhsa_system_sgpr_workgroup_id_y 0
		.amdhsa_system_sgpr_workgroup_id_z 0
		.amdhsa_system_sgpr_workgroup_info 0
		.amdhsa_system_vgpr_workitem_id 0
		.amdhsa_next_free_vgpr 22
		.amdhsa_next_free_sgpr 23
		.amdhsa_named_barrier_count 0
		.amdhsa_reserve_vcc 1
		.amdhsa_float_round_mode_32 0
		.amdhsa_float_round_mode_16_64 0
		.amdhsa_float_denorm_mode_32 3
		.amdhsa_float_denorm_mode_16_64 3
		.amdhsa_fp16_overflow 0
		.amdhsa_memory_ordered 1
		.amdhsa_forward_progress 1
		.amdhsa_inst_pref_size 17
		.amdhsa_round_robin_scheduling 0
		.amdhsa_exception_fp_ieee_invalid_op 0
		.amdhsa_exception_fp_denorm_src 0
		.amdhsa_exception_fp_ieee_div_zero 0
		.amdhsa_exception_fp_ieee_overflow 0
		.amdhsa_exception_fp_ieee_underflow 0
		.amdhsa_exception_fp_ieee_inexact 0
		.amdhsa_exception_int_div_zero 0
	.end_amdhsa_kernel
	.section	.text._ZN2at6native12_GLOBAL__N_128layer_norm_grad_input_kernelIN3c108BFloat16EfLb0EEEvPKT_S7_PKT0_SA_S7_PS5_i,"axG",@progbits,_ZN2at6native12_GLOBAL__N_128layer_norm_grad_input_kernelIN3c108BFloat16EfLb0EEEvPKT_S7_PKT0_SA_S7_PS5_i,comdat
.Lfunc_end94:
	.size	_ZN2at6native12_GLOBAL__N_128layer_norm_grad_input_kernelIN3c108BFloat16EfLb0EEEvPKT_S7_PKT0_SA_S7_PS5_i, .Lfunc_end94-_ZN2at6native12_GLOBAL__N_128layer_norm_grad_input_kernelIN3c108BFloat16EfLb0EEEvPKT_S7_PKT0_SA_S7_PS5_i
                                        ; -- End function
	.set _ZN2at6native12_GLOBAL__N_128layer_norm_grad_input_kernelIN3c108BFloat16EfLb0EEEvPKT_S7_PKT0_SA_S7_PS5_i.num_vgpr, 22
	.set _ZN2at6native12_GLOBAL__N_128layer_norm_grad_input_kernelIN3c108BFloat16EfLb0EEEvPKT_S7_PKT0_SA_S7_PS5_i.num_agpr, 0
	.set _ZN2at6native12_GLOBAL__N_128layer_norm_grad_input_kernelIN3c108BFloat16EfLb0EEEvPKT_S7_PKT0_SA_S7_PS5_i.numbered_sgpr, 23
	.set _ZN2at6native12_GLOBAL__N_128layer_norm_grad_input_kernelIN3c108BFloat16EfLb0EEEvPKT_S7_PKT0_SA_S7_PS5_i.num_named_barrier, 0
	.set _ZN2at6native12_GLOBAL__N_128layer_norm_grad_input_kernelIN3c108BFloat16EfLb0EEEvPKT_S7_PKT0_SA_S7_PS5_i.private_seg_size, 0
	.set _ZN2at6native12_GLOBAL__N_128layer_norm_grad_input_kernelIN3c108BFloat16EfLb0EEEvPKT_S7_PKT0_SA_S7_PS5_i.uses_vcc, 1
	.set _ZN2at6native12_GLOBAL__N_128layer_norm_grad_input_kernelIN3c108BFloat16EfLb0EEEvPKT_S7_PKT0_SA_S7_PS5_i.uses_flat_scratch, 0
	.set _ZN2at6native12_GLOBAL__N_128layer_norm_grad_input_kernelIN3c108BFloat16EfLb0EEEvPKT_S7_PKT0_SA_S7_PS5_i.has_dyn_sized_stack, 0
	.set _ZN2at6native12_GLOBAL__N_128layer_norm_grad_input_kernelIN3c108BFloat16EfLb0EEEvPKT_S7_PKT0_SA_S7_PS5_i.has_recursion, 0
	.set _ZN2at6native12_GLOBAL__N_128layer_norm_grad_input_kernelIN3c108BFloat16EfLb0EEEvPKT_S7_PKT0_SA_S7_PS5_i.has_indirect_call, 0
	.section	.AMDGPU.csdata,"",@progbits
; Kernel info:
; codeLenInByte = 2076
; TotalNumSgprs: 25
; NumVgprs: 22
; ScratchSize: 0
; MemoryBound: 0
; FloatMode: 240
; IeeeMode: 1
; LDSByteSize: 0 bytes/workgroup (compile time only)
; SGPRBlocks: 0
; VGPRBlocks: 1
; NumSGPRsForWavesPerEU: 25
; NumVGPRsForWavesPerEU: 22
; NamedBarCnt: 0
; Occupancy: 16
; WaveLimiterHint : 0
; COMPUTE_PGM_RSRC2:SCRATCH_EN: 0
; COMPUTE_PGM_RSRC2:USER_SGPR: 2
; COMPUTE_PGM_RSRC2:TRAP_HANDLER: 0
; COMPUTE_PGM_RSRC2:TGID_X_EN: 1
; COMPUTE_PGM_RSRC2:TGID_Y_EN: 0
; COMPUTE_PGM_RSRC2:TGID_Z_EN: 0
; COMPUTE_PGM_RSRC2:TIDIG_COMP_CNT: 0
	.section	.text._ZN2at6native12_GLOBAL__N_133GammaBetaBackwardSimpleCUDAKernelIN3c108BFloat16EfLb0EEEvllPKT_S7_PKT0_SA_PS5_SB_,"axG",@progbits,_ZN2at6native12_GLOBAL__N_133GammaBetaBackwardSimpleCUDAKernelIN3c108BFloat16EfLb0EEEvllPKT_S7_PKT0_SA_PS5_SB_,comdat
	.globl	_ZN2at6native12_GLOBAL__N_133GammaBetaBackwardSimpleCUDAKernelIN3c108BFloat16EfLb0EEEvllPKT_S7_PKT0_SA_PS5_SB_ ; -- Begin function _ZN2at6native12_GLOBAL__N_133GammaBetaBackwardSimpleCUDAKernelIN3c108BFloat16EfLb0EEEvllPKT_S7_PKT0_SA_PS5_SB_
	.p2align	8
	.type	_ZN2at6native12_GLOBAL__N_133GammaBetaBackwardSimpleCUDAKernelIN3c108BFloat16EfLb0EEEvllPKT_S7_PKT0_SA_PS5_SB_,@function
_ZN2at6native12_GLOBAL__N_133GammaBetaBackwardSimpleCUDAKernelIN3c108BFloat16EfLb0EEEvllPKT_S7_PKT0_SA_PS5_SB_: ; @_ZN2at6native12_GLOBAL__N_133GammaBetaBackwardSimpleCUDAKernelIN3c108BFloat16EfLb0EEEvllPKT_S7_PKT0_SA_PS5_SB_
; %bb.0:
	s_load_b32 s2, s[0:1], 0x4c
	s_bfe_u32 s20, ttmp6, 0x4000c
	s_load_b512 s[4:19], s[0:1], 0x0
	s_add_co_i32 s20, s20, 1
	s_and_b32 s3, ttmp6, 15
	s_wait_xcnt 0x0
	s_mul_i32 s1, ttmp9, s20
	s_getreg_b32 s0, hwreg(HW_REG_IB_STS2, 6, 4)
	v_mov_b32_e32 v1, 0
	s_add_co_i32 s3, s3, s1
	s_wait_kmcnt 0x0
	s_and_b32 s2, s2, 0xffff
	s_cmp_eq_u32 s0, 0
	s_cselect_b32 s0, ttmp9, s3
	s_delay_alu instid0(SALU_CYCLE_1) | instskip(SKIP_1) | instid1(VALU_DEP_1)
	v_mad_nc_u64_u32 v[2:3], s2, s0, v[0:1]
	s_mov_b32 s0, exec_lo
	v_cmpx_gt_i64_e64 s[6:7], v[2:3]
	s_cbranch_execz .LBB95_13
; %bb.1:
	v_cmp_lt_i64_e64 s0, s[4:5], 1
	v_mov_b32_e32 v0, 0
	s_and_b32 vcc_lo, exec_lo, s0
	s_cbranch_vccnz .LBB95_9
; %bb.2:
	v_lshlrev_b64_e32 v[4:5], 1, v[2:3]
	s_cmp_lg_u64 s[16:17], 0
	v_dual_mov_b32 v1, 0 :: v_dual_mov_b32 v0, 0
	s_cselect_b32 s2, -1, 0
	s_cmp_lg_u64 s[18:19], 0
	s_cselect_b32 s3, -1, 0
	s_lshl_b64 s[0:1], s[6:7], 1
	s_branch .LBB95_5
.LBB95_3:                               ;   in Loop: Header=BB95_5 Depth=1
	global_load_u16 v6, v[6:7], off
	s_wait_loadcnt 0x0
	v_lshlrev_b32_e32 v6, 16, v6
.LBB95_4:                               ;   in Loop: Header=BB95_5 Depth=1
	v_add_nc_u64_e32 v[4:5], s[0:1], v[4:5]
	s_delay_alu instid0(VALU_DEP_2)
	v_dual_add_f32 v1, v1, v8 :: v_dual_add_f32 v0, v0, v6
	s_add_nc_u64 s[4:5], s[4:5], -1
	s_add_nc_u64 s[14:15], s[14:15], 4
	s_cmp_eq_u64 s[4:5], 0
	s_add_nc_u64 s[12:13], s[12:13], 4
	s_cbranch_scc1 .LBB95_9
.LBB95_5:                               ; =>This Inner Loop Header: Depth=1
	v_add_nc_u64_e32 v[6:7], s[8:9], v[4:5]
	v_mov_b32_e32 v8, 0
	s_and_not1_b32 vcc_lo, exec_lo, s2
	s_cbranch_vccnz .LBB95_7
; %bb.6:                                ;   in Loop: Header=BB95_5 Depth=1
	v_add_nc_u64_e32 v[8:9], s[10:11], v[4:5]
	global_load_u16 v10, v[8:9], off
	global_load_u16 v11, v[6:7], off
	s_load_b32 s6, s[12:13], 0x0
	s_load_b32 s7, s[14:15], 0x0
	s_wait_loadcnt 0x0
	v_dual_lshlrev_b32 v8, 16, v10 :: v_dual_lshlrev_b32 v9, 16, v11
	s_wait_kmcnt 0x0
	s_delay_alu instid0(VALU_DEP_1) | instskip(NEXT) | instid1(VALU_DEP_1)
	v_subrev_f32_e32 v8, s6, v8
	v_mul_f32_e32 v8, v8, v9
	s_delay_alu instid0(VALU_DEP_1)
	v_mul_f32_e32 v8, s7, v8
.LBB95_7:                               ;   in Loop: Header=BB95_5 Depth=1
	s_and_not1_b32 vcc_lo, exec_lo, s3
	s_cbranch_vccz .LBB95_3
; %bb.8:                                ;   in Loop: Header=BB95_5 Depth=1
	v_mov_b32_e32 v6, 0
	s_branch .LBB95_4
.LBB95_9:
	s_cmp_lg_u64 s[16:17], 0
	s_cbranch_scc0 .LBB95_11
; %bb.10:
	v_bfe_u32 v4, v1, 16, 1
	v_cmp_o_f32_e32 vcc_lo, v1, v1
	s_delay_alu instid0(VALU_DEP_2) | instskip(NEXT) | instid1(VALU_DEP_1)
	v_add3_u32 v4, v1, v4, 0x7fff
	v_lshrrev_b32_e32 v4, 16, v4
	s_delay_alu instid0(VALU_DEP_1)
	v_cndmask_b32_e32 v1, 0x7fc0, v4, vcc_lo
	v_lshl_add_u64 v[4:5], v[2:3], 1, s[16:17]
	global_store_b16 v[4:5], v1, off
.LBB95_11:
	s_cmp_eq_u64 s[18:19], 0
	s_cbranch_scc1 .LBB95_13
; %bb.12:
	s_wait_xcnt 0x0
	v_bfe_u32 v1, v0, 16, 1
	v_cmp_o_f32_e32 vcc_lo, v0, v0
	s_delay_alu instid0(VALU_DEP_2) | instskip(NEXT) | instid1(VALU_DEP_1)
	v_add3_u32 v1, v0, v1, 0x7fff
	v_lshrrev_b32_e32 v1, 16, v1
	s_delay_alu instid0(VALU_DEP_1)
	v_cndmask_b32_e32 v4, 0x7fc0, v1, vcc_lo
	v_lshl_add_u64 v[0:1], v[2:3], 1, s[18:19]
	global_store_b16 v[0:1], v4, off
.LBB95_13:
	s_endpgm
	.section	.rodata,"a",@progbits
	.p2align	6, 0x0
	.amdhsa_kernel _ZN2at6native12_GLOBAL__N_133GammaBetaBackwardSimpleCUDAKernelIN3c108BFloat16EfLb0EEEvllPKT_S7_PKT0_SA_PS5_SB_
		.amdhsa_group_segment_fixed_size 0
		.amdhsa_private_segment_fixed_size 0
		.amdhsa_kernarg_size 320
		.amdhsa_user_sgpr_count 2
		.amdhsa_user_sgpr_dispatch_ptr 0
		.amdhsa_user_sgpr_queue_ptr 0
		.amdhsa_user_sgpr_kernarg_segment_ptr 1
		.amdhsa_user_sgpr_dispatch_id 0
		.amdhsa_user_sgpr_kernarg_preload_length 0
		.amdhsa_user_sgpr_kernarg_preload_offset 0
		.amdhsa_user_sgpr_private_segment_size 0
		.amdhsa_wavefront_size32 1
		.amdhsa_uses_dynamic_stack 0
		.amdhsa_enable_private_segment 0
		.amdhsa_system_sgpr_workgroup_id_x 1
		.amdhsa_system_sgpr_workgroup_id_y 0
		.amdhsa_system_sgpr_workgroup_id_z 0
		.amdhsa_system_sgpr_workgroup_info 0
		.amdhsa_system_vgpr_workitem_id 0
		.amdhsa_next_free_vgpr 12
		.amdhsa_next_free_sgpr 21
		.amdhsa_named_barrier_count 0
		.amdhsa_reserve_vcc 1
		.amdhsa_float_round_mode_32 0
		.amdhsa_float_round_mode_16_64 0
		.amdhsa_float_denorm_mode_32 3
		.amdhsa_float_denorm_mode_16_64 3
		.amdhsa_fp16_overflow 0
		.amdhsa_memory_ordered 1
		.amdhsa_forward_progress 1
		.amdhsa_inst_pref_size 4
		.amdhsa_round_robin_scheduling 0
		.amdhsa_exception_fp_ieee_invalid_op 0
		.amdhsa_exception_fp_denorm_src 0
		.amdhsa_exception_fp_ieee_div_zero 0
		.amdhsa_exception_fp_ieee_overflow 0
		.amdhsa_exception_fp_ieee_underflow 0
		.amdhsa_exception_fp_ieee_inexact 0
		.amdhsa_exception_int_div_zero 0
	.end_amdhsa_kernel
	.section	.text._ZN2at6native12_GLOBAL__N_133GammaBetaBackwardSimpleCUDAKernelIN3c108BFloat16EfLb0EEEvllPKT_S7_PKT0_SA_PS5_SB_,"axG",@progbits,_ZN2at6native12_GLOBAL__N_133GammaBetaBackwardSimpleCUDAKernelIN3c108BFloat16EfLb0EEEvllPKT_S7_PKT0_SA_PS5_SB_,comdat
.Lfunc_end95:
	.size	_ZN2at6native12_GLOBAL__N_133GammaBetaBackwardSimpleCUDAKernelIN3c108BFloat16EfLb0EEEvllPKT_S7_PKT0_SA_PS5_SB_, .Lfunc_end95-_ZN2at6native12_GLOBAL__N_133GammaBetaBackwardSimpleCUDAKernelIN3c108BFloat16EfLb0EEEvllPKT_S7_PKT0_SA_PS5_SB_
                                        ; -- End function
	.set _ZN2at6native12_GLOBAL__N_133GammaBetaBackwardSimpleCUDAKernelIN3c108BFloat16EfLb0EEEvllPKT_S7_PKT0_SA_PS5_SB_.num_vgpr, 12
	.set _ZN2at6native12_GLOBAL__N_133GammaBetaBackwardSimpleCUDAKernelIN3c108BFloat16EfLb0EEEvllPKT_S7_PKT0_SA_PS5_SB_.num_agpr, 0
	.set _ZN2at6native12_GLOBAL__N_133GammaBetaBackwardSimpleCUDAKernelIN3c108BFloat16EfLb0EEEvllPKT_S7_PKT0_SA_PS5_SB_.numbered_sgpr, 21
	.set _ZN2at6native12_GLOBAL__N_133GammaBetaBackwardSimpleCUDAKernelIN3c108BFloat16EfLb0EEEvllPKT_S7_PKT0_SA_PS5_SB_.num_named_barrier, 0
	.set _ZN2at6native12_GLOBAL__N_133GammaBetaBackwardSimpleCUDAKernelIN3c108BFloat16EfLb0EEEvllPKT_S7_PKT0_SA_PS5_SB_.private_seg_size, 0
	.set _ZN2at6native12_GLOBAL__N_133GammaBetaBackwardSimpleCUDAKernelIN3c108BFloat16EfLb0EEEvllPKT_S7_PKT0_SA_PS5_SB_.uses_vcc, 1
	.set _ZN2at6native12_GLOBAL__N_133GammaBetaBackwardSimpleCUDAKernelIN3c108BFloat16EfLb0EEEvllPKT_S7_PKT0_SA_PS5_SB_.uses_flat_scratch, 0
	.set _ZN2at6native12_GLOBAL__N_133GammaBetaBackwardSimpleCUDAKernelIN3c108BFloat16EfLb0EEEvllPKT_S7_PKT0_SA_PS5_SB_.has_dyn_sized_stack, 0
	.set _ZN2at6native12_GLOBAL__N_133GammaBetaBackwardSimpleCUDAKernelIN3c108BFloat16EfLb0EEEvllPKT_S7_PKT0_SA_PS5_SB_.has_recursion, 0
	.set _ZN2at6native12_GLOBAL__N_133GammaBetaBackwardSimpleCUDAKernelIN3c108BFloat16EfLb0EEEvllPKT_S7_PKT0_SA_PS5_SB_.has_indirect_call, 0
	.section	.AMDGPU.csdata,"",@progbits
; Kernel info:
; codeLenInByte = 480
; TotalNumSgprs: 23
; NumVgprs: 12
; ScratchSize: 0
; MemoryBound: 0
; FloatMode: 240
; IeeeMode: 1
; LDSByteSize: 0 bytes/workgroup (compile time only)
; SGPRBlocks: 0
; VGPRBlocks: 0
; NumSGPRsForWavesPerEU: 23
; NumVGPRsForWavesPerEU: 12
; NamedBarCnt: 0
; Occupancy: 16
; WaveLimiterHint : 0
; COMPUTE_PGM_RSRC2:SCRATCH_EN: 0
; COMPUTE_PGM_RSRC2:USER_SGPR: 2
; COMPUTE_PGM_RSRC2:TRAP_HANDLER: 0
; COMPUTE_PGM_RSRC2:TGID_X_EN: 1
; COMPUTE_PGM_RSRC2:TGID_Y_EN: 0
; COMPUTE_PGM_RSRC2:TGID_Z_EN: 0
; COMPUTE_PGM_RSRC2:TIDIG_COMP_CNT: 0
	.section	.text._ZN2at6native12_GLOBAL__N_135GammaBetaBackwardCUDAKernelTemplateIN3c108BFloat16EfLj64ELj1ELj32ELb1ELb1ELb0EEEvllPKT_S7_PKT0_SA_PS5_SB_,"axG",@progbits,_ZN2at6native12_GLOBAL__N_135GammaBetaBackwardCUDAKernelTemplateIN3c108BFloat16EfLj64ELj1ELj32ELb1ELb1ELb0EEEvllPKT_S7_PKT0_SA_PS5_SB_,comdat
	.globl	_ZN2at6native12_GLOBAL__N_135GammaBetaBackwardCUDAKernelTemplateIN3c108BFloat16EfLj64ELj1ELj32ELb1ELb1ELb0EEEvllPKT_S7_PKT0_SA_PS5_SB_ ; -- Begin function _ZN2at6native12_GLOBAL__N_135GammaBetaBackwardCUDAKernelTemplateIN3c108BFloat16EfLj64ELj1ELj32ELb1ELb1ELb0EEEvllPKT_S7_PKT0_SA_PS5_SB_
	.p2align	8
	.type	_ZN2at6native12_GLOBAL__N_135GammaBetaBackwardCUDAKernelTemplateIN3c108BFloat16EfLj64ELj1ELj32ELb1ELb1ELb0EEEvllPKT_S7_PKT0_SA_PS5_SB_,@function
_ZN2at6native12_GLOBAL__N_135GammaBetaBackwardCUDAKernelTemplateIN3c108BFloat16EfLj64ELj1ELj32ELb1ELb1ELb0EEEvllPKT_S7_PKT0_SA_PS5_SB_: ; @_ZN2at6native12_GLOBAL__N_135GammaBetaBackwardCUDAKernelTemplateIN3c108BFloat16EfLj64ELj1ELj32ELb1ELb1ELb0EEEvllPKT_S7_PKT0_SA_PS5_SB_
; %bb.0:
	s_load_b128 s[12:15], s[0:1], 0x0
	s_bfe_u32 s3, ttmp6, 0x4000c
	s_bfe_u32 s4, ttmp6, 0x40010
	s_add_co_i32 s3, s3, 1
	s_add_co_i32 s4, s4, 1
	s_and_b32 s2, ttmp6, 15
	s_bfe_u32 s5, ttmp6, 0x40004
	s_mul_i32 s3, ttmp9, s3
	s_mul_i32 s4, ttmp7, s4
	s_getreg_b32 s6, hwreg(HW_REG_IB_STS2, 6, 4)
	s_add_co_i32 s2, s2, s3
	s_add_co_i32 s5, s5, s4
	s_cmp_eq_u32 s6, 0
	s_mov_b32 s3, 0
	s_cselect_b32 s17, ttmp7, s5
	s_cselect_b32 s16, ttmp9, s2
	s_lshl_b32 s2, s17, 5
	v_bfe_u32 v1, v0, 10, 10
	s_add_nc_u64 s[18:19], s[0:1], 64
	s_wait_kmcnt 0x0
	v_cmp_gt_i64_e64 s4, s[12:13], s[2:3]
	s_and_b32 vcc_lo, exec_lo, s4
	s_cbranch_vccnz .LBB96_2
; %bb.1:
	v_bfe_u32 v2, v0, 10, 10
	s_add_nc_u64 s[4:5], s[0:1], 64
	s_mov_b32 s6, s3
	s_branch .LBB96_3
.LBB96_2:
	s_mov_b32 s6, -1
                                        ; implicit-def: $sgpr4_sgpr5
                                        ; implicit-def: $vgpr2
.LBB96_3:
	v_mov_b32_e32 v11, 0
	v_and_b32_e32 v0, 0x3ff, v0
	s_and_not1_b32 vcc_lo, exec_lo, s6
	s_delay_alu instid0(VALU_DEP_2)
	v_mov_b32_e32 v10, v11
	s_cbranch_vccnz .LBB96_9
; %bb.4:
	v_dual_mov_b32 v3, 0 :: v_dual_lshlrev_b32 v2, 5, v1
	s_clause 0x2
	s_load_b32 s20, s[0:1], 0x4c
	s_load_b32 s22, s[0:1], 0x44
	s_load_b256 s[4:11], s[0:1], 0x10
	v_lshl_add_u32 v4, s16, 6, v0
	s_mov_b32 s21, 0
	v_dual_mov_b32 v12, 4 :: v_dual_mov_b32 v13, 8
	v_add_nc_u64_e32 v[6:7], s[2:3], v[2:3]
	v_dual_mov_b32 v11, v3 :: v_dual_mov_b32 v5, v3
	v_dual_mov_b32 v2, 12 :: v_dual_mov_b32 v14, 16
	;; [unrolled: 1-line block ×3, first 2 shown]
	s_delay_alu instid0(VALU_DEP_4) | instskip(NEXT) | instid1(VALU_DEP_4)
	v_mul_u64_e32 v[8:9], s[14:15], v[6:7]
	v_lshlrev_b64_e32 v[42:43], 1, v[4:5]
	v_dual_mov_b32 v17, 28 :: v_dual_mov_b32 v18, 32
	v_dual_mov_b32 v19, 36 :: v_dual_mov_b32 v20, 40
	s_wait_kmcnt 0x0
	s_and_b32 s20, s20, 0xffff
	v_dual_mov_b32 v21, 44 :: v_dual_mov_b32 v22, 48
	v_mad_u32_u24 v10, v1, s20, v0
	s_lshl_b32 s20, s22, 5
	v_dual_mov_b32 v25, 60 :: v_dual_mov_b32 v23, 52
	s_delay_alu instid0(VALU_DEP_2) | instskip(SKIP_3) | instid1(VALU_DEP_4)
	v_dual_mov_b32 v24, 56 :: v_dual_bitop2_b32 v10, 31, v10 bitop3:0x40
	v_dual_mov_b32 v26, 64 :: v_dual_mov_b32 v27, 0x44
	v_mov_b32_e32 v28, 0x48
	v_mov_b32_e32 v29, 0x4c
	v_add_nc_u64_e32 v[4:5], v[6:7], v[10:11]
	v_mov_b32_e32 v30, 0x50
	v_mov_b32_e32 v31, 0x54
	;; [unrolled: 1-line block ×12, first 2 shown]
	v_lshl_add_u64 v[6:7], v[8:9], 1, v[42:43]
	v_lshlrev_b64_e32 v[8:9], 2, v[4:5]
	v_mov_b32_e32 v10, 0
	s_mul_u64 s[22:23], s[14:15], s[20:21]
	s_lshl_b64 s[24:25], s[20:21], 2
	s_lshl_b64 s[22:23], s[22:23], 1
	;; [unrolled: 1-line block ×3, first 2 shown]
	s_branch .LBB96_6
.LBB96_5:                               ;   in Loop: Header=BB96_6 Depth=1
	s_wait_xcnt 0x0
	s_or_b32 exec_lo, exec_lo, s28
	v_add_nc_u64_e32 v[44:45], s[6:7], v[6:7]
	v_add_nc_u64_e32 v[46:47], s[4:5], v[6:7]
	s_wait_loadcnt 0x1
	ds_bpermute_b32 v58, v3, v43
	s_wait_loadcnt 0x0
	ds_bpermute_b32 v59, v3, v42
	s_add_nc_u64 s[2:3], s[2:3], s[20:21]
	v_add_nc_u64_e32 v[6:7], s[22:23], v[6:7]
	v_cmp_lt_i64_e64 s28, s[2:3], s[12:13]
	global_load_u16 v48, v[44:45], off
	global_load_u16 v49, v[46:47], off
	s_wait_xcnt 0x1
	v_add_nc_u64_e32 v[44:45], s[26:27], v[44:45]
	s_wait_xcnt 0x0
	v_add_nc_u64_e32 v[46:47], s[26:27], v[46:47]
	v_add_nc_u64_e32 v[8:9], s[24:25], v[8:9]
	v_add_nc_u64_e32 v[4:5], s[20:21], v[4:5]
	global_load_u16 v50, v[44:45], off
	global_load_u16 v51, v[46:47], off
	s_wait_xcnt 0x1
	v_add_nc_u64_e32 v[44:45], s[26:27], v[44:45]
	s_wait_xcnt 0x0
	v_add_nc_u64_e32 v[46:47], s[26:27], v[46:47]
	s_and_b32 vcc_lo, exec_lo, s28
	global_load_u16 v52, v[44:45], off
	global_load_u16 v53, v[46:47], off
	s_wait_xcnt 0x1
	v_add_nc_u64_e32 v[44:45], s[26:27], v[44:45]
	s_wait_xcnt 0x0
	v_add_nc_u64_e32 v[46:47], s[26:27], v[46:47]
	global_load_u16 v54, v[44:45], off
	global_load_u16 v55, v[46:47], off
	s_wait_xcnt 0x1
	v_add_nc_u64_e32 v[44:45], s[26:27], v[44:45]
	s_wait_xcnt 0x0
	v_add_nc_u64_e32 v[46:47], s[26:27], v[46:47]
	;; [unrolled: 6-line block ×3, first 2 shown]
	global_load_u16 v61, v[46:47], off
	s_wait_xcnt 0x0
	v_add_nc_u64_e32 v[46:47], s[26:27], v[46:47]
	s_wait_loadcnt 0x9
	v_dual_lshlrev_b32 v60, 16, v48 :: v_dual_lshlrev_b32 v48, 16, v49
	s_wait_dscnt 0x1
	s_delay_alu instid0(VALU_DEP_1)
	v_sub_f32_e32 v49, v60, v58
	global_load_u16 v60, v[44:45], off
	ds_bpermute_b32 v58, v12, v43
	s_wait_xcnt 0x0
	v_add_nc_u64_e32 v[44:45], s[26:27], v[44:45]
	v_mul_f32_e32 v49, v49, v48
	s_wait_dscnt 0x1
	s_delay_alu instid0(VALU_DEP_1)
	v_mul_f32_e32 v49, v49, v59
	ds_bpermute_b32 v59, v12, v42
	s_wait_loadcnt 0x5
	v_lshlrev_b32_e32 v54, 16, v54
	v_pk_add_f32 v[10:11], v[10:11], v[48:49]
	v_dual_lshlrev_b32 v49, 16, v50 :: v_dual_lshlrev_b32 v48, 16, v51
	global_load_u16 v51, v[44:45], off
	ds_bpermute_b32 v50, v13, v43
	s_wait_xcnt 0x0
	v_add_nc_u64_e32 v[44:45], s[26:27], v[44:45]
	s_wait_dscnt 0x2
	v_sub_f32_e32 v49, v49, v58
	ds_bpermute_b32 v58, v13, v42
	s_wait_loadcnt 0x4
	v_lshlrev_b32_e32 v56, 16, v56
	v_mul_f32_e32 v49, v49, v48
	s_wait_dscnt 0x2
	s_delay_alu instid0(VALU_DEP_1)
	v_mul_f32_e32 v49, v49, v59
	global_load_u16 v59, v[46:47], off
	s_wait_xcnt 0x0
	v_add_nc_u64_e32 v[46:47], s[26:27], v[46:47]
	v_pk_add_f32 v[10:11], v[10:11], v[48:49]
	v_dual_lshlrev_b32 v49, 16, v52 :: v_dual_lshlrev_b32 v48, 16, v53
	global_load_u16 v52, v[44:45], off
	global_load_u16 v53, v[46:47], off
	s_wait_xcnt 0x1
	v_add_nc_u64_e32 v[44:45], s[26:27], v[44:45]
	s_wait_xcnt 0x0
	v_add_nc_u64_e32 v[46:47], s[26:27], v[46:47]
	s_wait_dscnt 0x1
	v_sub_f32_e32 v49, v49, v50
	ds_bpermute_b32 v50, v2, v43
	v_mul_f32_e32 v49, v49, v48
	s_wait_dscnt 0x1
	s_delay_alu instid0(VALU_DEP_1)
	v_mul_f32_e32 v49, v49, v58
	s_wait_dscnt 0x0
	v_sub_f32_e32 v50, v54, v50
	global_load_u16 v54, v[44:45], off
	s_wait_xcnt 0x0
	v_add_nc_u64_e32 v[44:45], s[26:27], v[44:45]
	s_wait_loadcnt 0x5
	v_lshlrev_b32_e32 v58, 16, v60
	v_pk_add_f32 v[10:11], v[10:11], v[48:49]
	ds_bpermute_b32 v49, v2, v42
	v_lshlrev_b32_e32 v48, 16, v55
	global_load_u16 v55, v[46:47], off
	s_wait_xcnt 0x0
	v_add_nc_u64_e32 v[46:47], s[26:27], v[46:47]
	v_mul_f32_e32 v50, v50, v48
	s_wait_dscnt 0x0
	s_delay_alu instid0(VALU_DEP_1)
	v_mul_f32_e32 v49, v50, v49
	ds_bpermute_b32 v50, v14, v43
	v_pk_add_f32 v[10:11], v[10:11], v[48:49]
	ds_bpermute_b32 v49, v14, v42
	v_lshlrev_b32_e32 v48, 16, v57
	ds_bpermute_b32 v57, v15, v43
	s_wait_dscnt 0x2
	v_sub_f32_e32 v50, v56, v50
	global_load_u16 v56, v[44:45], off
	s_wait_xcnt 0x0
	v_add_nc_u64_e32 v[44:45], s[26:27], v[44:45]
	v_mul_f32_e32 v50, v50, v48
	s_wait_dscnt 0x0
	v_sub_f32_e32 v57, v58, v57
	ds_bpermute_b32 v58, v16, v43
	global_load_u16 v60, v[44:45], off
	v_mul_f32_e32 v49, v50, v49
	global_load_u16 v50, v[46:47], off
	s_wait_xcnt 0x0
	v_add_nc_u64_e32 v[46:47], s[26:27], v[46:47]
	v_add_nc_u64_e32 v[44:45], s[26:27], v[44:45]
	v_pk_add_f32 v[10:11], v[10:11], v[48:49]
	ds_bpermute_b32 v49, v15, v42
	v_lshlrev_b32_e32 v48, 16, v61
	global_load_u16 v61, v[46:47], off
	s_wait_xcnt 0x0
	v_add_nc_u64_e32 v[46:47], s[26:27], v[46:47]
	v_mul_f32_e32 v57, v57, v48
	s_wait_dscnt 0x0
	s_delay_alu instid0(VALU_DEP_1)
	v_mul_f32_e32 v49, v57, v49
	ds_bpermute_b32 v57, v16, v42
	v_pk_add_f32 v[10:11], v[10:11], v[48:49]
	s_wait_loadcnt 0x9
	v_lshlrev_b32_e32 v49, 16, v51
	s_wait_loadcnt 0x8
	v_lshlrev_b32_e32 v48, 16, v59
	global_load_u16 v59, v[46:47], off
	ds_bpermute_b32 v51, v17, v43
	s_wait_xcnt 0x0
	v_add_nc_u64_e32 v[46:47], s[26:27], v[46:47]
	v_sub_f32_e32 v49, v49, v58
	ds_bpermute_b32 v58, v17, v42
	v_mul_f32_e32 v49, v49, v48
	s_wait_dscnt 0x2
	s_delay_alu instid0(VALU_DEP_1)
	v_mul_f32_e32 v49, v49, v57
	global_load_u16 v57, v[44:45], off
	s_wait_xcnt 0x0
	v_add_nc_u64_e32 v[44:45], s[26:27], v[44:45]
	v_pk_add_f32 v[10:11], v[10:11], v[48:49]
	s_wait_loadcnt 0x8
	v_dual_lshlrev_b32 v49, 16, v52 :: v_dual_lshlrev_b32 v48, 16, v53
	ds_bpermute_b32 v53, v18, v42
	global_load_u16 v52, v[44:45], off
	s_wait_xcnt 0x0
	v_add_nc_u64_e32 v[44:45], s[26:27], v[44:45]
	s_wait_dscnt 0x2
	v_sub_f32_e32 v49, v49, v51
	ds_bpermute_b32 v51, v18, v43
	v_mul_f32_e32 v49, v49, v48
	s_wait_dscnt 0x2
	s_delay_alu instid0(VALU_DEP_1)
	v_mul_f32_e32 v49, v49, v58
	global_load_u16 v58, v[46:47], off
	s_wait_xcnt 0x0
	v_add_nc_u64_e32 v[46:47], s[26:27], v[46:47]
	v_pk_add_f32 v[10:11], v[10:11], v[48:49]
	s_wait_loadcnt 0x9
	v_lshlrev_b32_e32 v49, 16, v54
	s_wait_dscnt 0x0
	s_delay_alu instid0(VALU_DEP_1)
	v_sub_f32_e32 v49, v49, v51
	ds_bpermute_b32 v51, v19, v43
	s_wait_loadcnt 0x7
	v_dual_lshlrev_b32 v48, 16, v55 :: v_dual_lshlrev_b32 v55, 16, v56
	s_wait_loadcnt 0x6
	v_lshlrev_b32_e32 v56, 16, v60
	s_delay_alu instid0(VALU_DEP_2) | instskip(NEXT) | instid1(VALU_DEP_1)
	v_mul_f32_e32 v49, v49, v48
	v_mul_f32_e32 v49, v49, v53
	global_load_u16 v53, v[44:45], off
	global_load_u16 v54, v[46:47], off
	s_wait_xcnt 0x1
	v_add_nc_u64_e32 v[44:45], s[26:27], v[44:45]
	s_wait_xcnt 0x0
	v_add_nc_u64_e32 v[46:47], s[26:27], v[46:47]
	v_pk_add_f32 v[10:11], v[10:11], v[48:49]
	s_wait_loadcnt_dscnt 0x700
	v_dual_lshlrev_b32 v48, 16, v50 :: v_dual_sub_f32 v50, v55, v51
	ds_bpermute_b32 v49, v19, v42
	global_load_u16 v51, v[44:45], off
	ds_bpermute_b32 v55, v20, v43
	s_wait_xcnt 0x0
	v_add_nc_u64_e32 v[44:45], s[26:27], v[44:45]
	v_mul_f32_e32 v50, v50, v48
	global_load_u16 v60, v[44:45], off
	s_wait_xcnt 0x0
	v_add_nc_u64_e32 v[44:45], s[26:27], v[44:45]
	s_wait_dscnt 0x1
	v_mul_f32_e32 v49, v50, v49
	global_load_u16 v50, v[46:47], off
	s_wait_dscnt 0x0
	v_sub_f32_e32 v55, v56, v55
	ds_bpermute_b32 v56, v21, v43
	s_wait_xcnt 0x0
	v_add_nc_u64_e32 v[46:47], s[26:27], v[46:47]
	v_pk_add_f32 v[10:11], v[10:11], v[48:49]
	ds_bpermute_b32 v49, v20, v42
	s_wait_loadcnt 0x9
	v_lshlrev_b32_e32 v48, 16, v61
	global_load_u16 v61, v[46:47], off
	v_mul_f32_e32 v55, v55, v48
	s_wait_xcnt 0x0
	v_add_nc_u64_e32 v[46:47], s[26:27], v[46:47]
	s_wait_dscnt 0x0
	s_delay_alu instid0(VALU_DEP_2)
	v_mul_f32_e32 v49, v55, v49
	ds_bpermute_b32 v55, v21, v42
	v_pk_add_f32 v[10:11], v[10:11], v[48:49]
	s_wait_loadcnt 0x8
	v_dual_lshlrev_b32 v48, 16, v59 :: v_dual_lshlrev_b32 v57, 16, v57
	global_load_u16 v59, v[46:47], off
	s_wait_xcnt 0x0
	v_add_nc_u64_e32 v[46:47], s[26:27], v[46:47]
	v_sub_f32_e32 v49, v57, v56
	global_load_u16 v57, v[44:45], off
	ds_bpermute_b32 v56, v22, v43
	s_wait_xcnt 0x0
	v_add_nc_u64_e32 v[44:45], s[26:27], v[44:45]
	s_wait_loadcnt 0x5
	v_dual_lshlrev_b32 v51, 16, v51 :: v_dual_mul_f32 v49, v49, v48
	s_wait_dscnt 0x1
	s_delay_alu instid0(VALU_DEP_1)
	v_mul_f32_e32 v49, v49, v55
	ds_bpermute_b32 v55, v22, v42
	v_pk_add_f32 v[10:11], v[10:11], v[48:49]
	v_dual_lshlrev_b32 v49, 16, v52 :: v_dual_lshlrev_b32 v48, 16, v58
	ds_bpermute_b32 v52, v23, v43
	global_load_u16 v58, v[46:47], off
	s_wait_xcnt 0x0
	v_add_nc_u64_e32 v[46:47], s[26:27], v[46:47]
	s_wait_dscnt 0x2
	v_sub_f32_e32 v49, v49, v56
	global_load_u16 v56, v[44:45], off
	s_wait_xcnt 0x0
	v_add_nc_u64_e32 v[44:45], s[26:27], v[44:45]
	v_mul_f32_e32 v49, v49, v48
	s_wait_dscnt 0x1
	s_delay_alu instid0(VALU_DEP_1)
	v_mul_f32_e32 v49, v49, v55
	ds_bpermute_b32 v55, v23, v42
	v_pk_add_f32 v[10:11], v[10:11], v[48:49]
	v_dual_lshlrev_b32 v49, 16, v53 :: v_dual_lshlrev_b32 v48, 16, v54
	global_load_u16 v53, v[44:45], off
	global_load_u16 v54, v[46:47], off
	s_wait_xcnt 0x1
	v_add_nc_u64_e32 v[44:45], s[26:27], v[44:45]
	s_wait_xcnt 0x0
	v_add_nc_u64_e32 v[46:47], s[26:27], v[46:47]
	s_wait_dscnt 0x1
	v_sub_f32_e32 v49, v49, v52
	ds_bpermute_b32 v52, v24, v43
	s_wait_loadcnt 0x4
	v_dual_lshlrev_b32 v57, 16, v57 :: v_dual_mul_f32 v49, v49, v48
	s_wait_dscnt 0x1
	s_delay_alu instid0(VALU_DEP_1)
	v_mul_f32_e32 v49, v49, v55
	global_load_u16 v55, v[46:47], off
	s_wait_xcnt 0x0
	v_add_nc_u64_e32 v[46:47], s[26:27], v[46:47]
	v_pk_add_f32 v[10:11], v[10:11], v[48:49]
	s_wait_dscnt 0x0
	v_dual_lshlrev_b32 v48, 16, v50 :: v_dual_sub_f32 v50, v51, v52
	global_load_u16 v52, v[44:45], off
	ds_bpermute_b32 v49, v24, v42
	v_lshlrev_b32_e32 v51, 16, v60
	ds_bpermute_b32 v60, v26, v42
	v_mul_f32_e32 v50, v50, v48
	s_wait_xcnt 0x0
	v_add_nc_u64_e32 v[44:45], s[26:27], v[44:45]
	s_wait_dscnt 0x1
	s_delay_alu instid0(VALU_DEP_2)
	v_mul_f32_e32 v49, v50, v49
	ds_bpermute_b32 v50, v25, v43
	v_pk_add_f32 v[10:11], v[10:11], v[48:49]
	ds_bpermute_b32 v49, v25, v42
	s_wait_dscnt 0x1
	v_dual_lshlrev_b32 v48, 16, v61 :: v_dual_sub_f32 v50, v51, v50
	ds_bpermute_b32 v51, v26, v43
	v_mul_f32_e32 v50, v50, v48
	s_wait_dscnt 0x1
	s_delay_alu instid0(VALU_DEP_1)
	v_dual_mul_f32 v49, v50, v49 :: v_dual_lshlrev_b32 v50, 16, v59
	global_load_u16 v59, v[44:45], off
	s_wait_xcnt 0x0
	v_add_nc_u64_e32 v[44:45], s[26:27], v[44:45]
	s_wait_dscnt 0x0
	v_sub_f32_e32 v51, v57, v51
	ds_bpermute_b32 v57, v27, v43
	v_pk_add_f32 v[10:11], v[10:11], v[48:49]
	ds_bpermute_b32 v49, v27, v42
	v_mul_f32_e32 v48, v51, v50
	s_delay_alu instid0(VALU_DEP_1)
	v_mul_f32_e32 v51, v48, v60
	global_load_u16 v60, v[46:47], off
	s_wait_xcnt 0x0
	v_add_nc_u64_e32 v[46:47], s[26:27], v[46:47]
	s_wait_loadcnt 0x7
	v_lshlrev_b32_e32 v48, 16, v58
	global_load_u16 v58, v[44:45], off
	s_wait_xcnt 0x0
	v_add_nc_u64_e32 v[44:45], s[26:27], v[44:45]
	s_wait_loadcnt 0x7
	v_lshlrev_b32_e32 v56, 16, v56
	v_pk_add_f32 v[10:11], v[10:11], v[50:51]
	ds_bpermute_b32 v51, v28, v42
	s_wait_dscnt 0x2
	v_sub_f32_e32 v56, v56, v57
	ds_bpermute_b32 v57, v28, v43
	v_mul_f32_e32 v50, v56, v48
	global_load_u16 v56, v[46:47], off
	s_wait_xcnt 0x0
	v_add_nc_u64_e32 v[46:47], s[26:27], v[46:47]
	s_wait_loadcnt 0x7
	v_lshlrev_b32_e32 v53, 16, v53
	s_wait_loadcnt_dscnt 0x602
	v_dual_mul_f32 v49, v50, v49 :: v_dual_lshlrev_b32 v50, 16, v54
	ds_bpermute_b32 v54, v29, v43
	v_pk_add_f32 v[10:11], v[10:11], v[48:49]
	ds_bpermute_b32 v49, v29, v42
	s_wait_dscnt 0x2
	v_sub_f32_e32 v53, v53, v57
	global_load_u16 v57, v[44:45], off
	s_wait_xcnt 0x0
	v_add_nc_u64_e32 v[44:45], s[26:27], v[44:45]
	v_mul_f32_e32 v48, v53, v50
	global_load_u16 v53, v[46:47], off
	s_wait_xcnt 0x0
	v_add_nc_u64_e32 v[46:47], s[26:27], v[46:47]
	global_load_u16 v61, v[44:45], off
	s_wait_xcnt 0x0
	v_add_nc_u64_e32 v[44:45], s[26:27], v[44:45]
	v_mul_f32_e32 v51, v48, v51
	global_load_u16 v62, v[46:47], off
	s_wait_xcnt 0x0
	v_add_nc_u64_e32 v[46:47], s[26:27], v[46:47]
	v_pk_add_f32 v[10:11], v[10:11], v[50:51]
	ds_bpermute_b32 v51, v31, v43
	s_wait_loadcnt 0x8
	v_lshlrev_b32_e32 v50, 16, v52
	global_load_u16 v52, v[44:45], off
	v_lshlrev_b32_e32 v48, 16, v55
	ds_bpermute_b32 v55, v31, v42
	s_wait_xcnt 0x0
	v_add_nc_u64_e32 v[44:45], s[26:27], v[44:45]
	s_wait_dscnt 0x3
	v_sub_f32_e32 v50, v50, v54
	global_load_u16 v54, v[46:47], off
	s_wait_xcnt 0x0
	v_add_nc_u64_e32 v[46:47], s[26:27], v[46:47]
	v_mul_f32_e32 v50, v50, v48
	s_wait_dscnt 0x2
	s_delay_alu instid0(VALU_DEP_1)
	v_mul_f32_e32 v49, v50, v49
	ds_bpermute_b32 v50, v30, v43
	v_pk_add_f32 v[10:11], v[10:11], v[48:49]
	ds_bpermute_b32 v49, v30, v42
	s_wait_loadcnt 0x9
	v_lshlrev_b32_e32 v48, 16, v59
	ds_bpermute_b32 v59, v33, v42
	s_wait_loadcnt_dscnt 0x802
	v_dual_sub_f32 v50, v48, v50 :: v_dual_lshlrev_b32 v48, 16, v60
	global_load_u16 v60, v[46:47], off
	s_wait_xcnt 0x0
	v_add_nc_u64_e32 v[46:47], s[26:27], v[46:47]
	v_mul_f32_e32 v50, v50, v48
	s_wait_dscnt 0x1
	s_delay_alu instid0(VALU_DEP_1) | instskip(NEXT) | instid1(VALU_DEP_1)
	v_mul_f32_e32 v49, v50, v49
	v_pk_add_f32 v[10:11], v[10:11], v[48:49]
	ds_bpermute_b32 v49, v33, v43
	s_wait_loadcnt 0x8
	v_lshlrev_b32_e32 v50, 16, v58
	ds_bpermute_b32 v58, v32, v43
	s_wait_loadcnt 0x6
	v_dual_lshlrev_b32 v57, 16, v57 :: v_dual_sub_f32 v51, v50, v51
	v_lshlrev_b32_e32 v50, 16, v56
	ds_bpermute_b32 v56, v32, v42
	s_wait_loadcnt 0x5
	v_lshlrev_b32_e32 v48, 16, v53
	ds_bpermute_b32 v53, v34, v43
	v_mul_f32_e32 v51, v51, v50
	s_delay_alu instid0(VALU_DEP_1)
	v_mul_f32_e32 v51, v51, v55
	global_load_u16 v55, v[44:45], off
	s_wait_xcnt 0x0
	v_add_nc_u64_e32 v[44:45], s[26:27], v[44:45]
	v_pk_add_f32 v[10:11], v[10:11], v[50:51]
	s_wait_loadcnt_dscnt 0x502
	v_dual_sub_f32 v50, v57, v58 :: v_dual_lshlrev_b32 v51, 16, v61
	global_load_u16 v58, v[46:47], off
	v_dual_mul_f32 v57, v50, v48 :: v_dual_sub_f32 v51, v51, v49
	s_wait_loadcnt_dscnt 0x501
	s_delay_alu instid0(VALU_DEP_1)
	v_dual_mul_f32 v49, v57, v56 :: v_dual_lshlrev_b32 v50, 16, v62
	global_load_u16 v57, v[44:45], off
	s_wait_xcnt 0x0
	v_add_nc_u64_e32 v[44:45], s[26:27], v[44:45]
	s_wait_loadcnt 0x5
	v_dual_mul_f32 v51, v51, v50 :: v_dual_lshlrev_b32 v52, 16, v52
	ds_bpermute_b32 v56, v34, v42
	v_pk_add_f32 v[10:11], v[10:11], v[48:49]
	v_add_nc_u64_e32 v[48:49], s[26:27], v[46:47]
	s_wait_dscnt 0x1
	v_dual_mul_f32 v51, v51, v59 :: v_dual_sub_f32 v53, v52, v53
	s_wait_loadcnt 0x4
	v_lshlrev_b32_e32 v52, 16, v54
	global_load_u16 v54, v[44:45], off
	v_add_nc_u64_e32 v[46:47], s[26:27], v[44:45]
	v_pk_add_f32 v[10:11], v[10:11], v[50:51]
	s_wait_xcnt 0x0
	v_add_nc_u64_e32 v[44:45], s[26:27], v[48:49]
	global_load_u16 v59, v[48:49], off
	v_mul_f32_e32 v53, v53, v52
	global_load_u16 v61, v[46:47], off
	s_wait_xcnt 0x0
	v_add_nc_u64_e32 v[46:47], s[26:27], v[46:47]
	v_add_nc_u64_e32 v[48:49], s[26:27], v[44:45]
	s_wait_dscnt 0x0
	v_mul_f32_e32 v53, v53, v56
	s_delay_alu instid0(VALU_DEP_3)
	v_add_nc_u64_e32 v[50:51], s[26:27], v[46:47]
	global_load_u16 v56, v[44:45], off
	global_load_u16 v62, v[48:49], off
	;; [unrolled: 1-line block ×3, first 2 shown]
                                        ; kill: killed $vgpr46_vgpr47
                                        ; kill: killed $vgpr44_vgpr45
	global_load_u16 v64, v[50:51], off
	s_wait_xcnt 0x1
	v_add_nc_u64_e32 v[46:47], s[26:27], v[48:49]
	v_pk_add_f32 v[10:11], v[10:11], v[52:53]
	ds_bpermute_b32 v52, v37, v43
	ds_bpermute_b32 v53, v37, v42
	v_add_nc_u64_e32 v[44:45], s[26:27], v[50:51]
	global_load_u16 v48, v[44:45], off
	global_load_u16 v49, v[46:47], off
	s_wait_xcnt 0x1
	v_add_nc_u64_e32 v[44:45], s[26:27], v[46:47]
	s_wait_xcnt 0x0
	ds_bpermute_b32 v47, v36, v43
	ds_bpermute_b32 v51, v36, v42
	global_load_u16 v50, v[44:45], off
	s_wait_xcnt 0x0
	ds_bpermute_b32 v44, v35, v43
	ds_bpermute_b32 v45, v35, v42
	s_wait_loadcnt 0xc
	v_lshlrev_b32_e32 v46, 16, v55
	ds_bpermute_b32 v55, v38, v42
	s_wait_dscnt 0x2
	v_sub_f32_e32 v46, v46, v44
	s_wait_loadcnt 0x9
	v_dual_lshlrev_b32 v44, 16, v60 :: v_dual_lshlrev_b32 v54, 16, v54
	s_delay_alu instid0(VALU_DEP_1) | instskip(NEXT) | instid1(VALU_DEP_2)
	v_mul_f32_e32 v46, v46, v44
	v_sub_f32_e32 v52, v54, v52
	s_wait_dscnt 0x1
	s_delay_alu instid0(VALU_DEP_2)
	v_mul_f32_e32 v45, v46, v45
	v_lshlrev_b32_e32 v46, 16, v57
	ds_bpermute_b32 v54, v40, v43
	ds_bpermute_b32 v57, v39, v42
	v_pk_add_f32 v[10:11], v[10:11], v[44:45]
	v_dual_sub_f32 v47, v46, v47 :: v_dual_lshlrev_b32 v46, 16, v58
	ds_bpermute_b32 v45, v38, v43
	ds_bpermute_b32 v58, v41, v42
	v_mul_f32_e32 v44, v47, v46
	s_delay_alu instid0(VALU_DEP_1)
	v_mul_f32_e32 v47, v44, v51
	ds_bpermute_b32 v51, v39, v43
	v_pk_add_f32 v[10:11], v[10:11], v[46:47]
	s_wait_loadcnt 0x7
	v_dual_lshlrev_b32 v46, 16, v61 :: v_dual_lshlrev_b32 v44, 16, v59
	s_wait_loadcnt 0x2
	v_lshlrev_b32_e32 v48, 16, v48
	s_delay_alu instid0(VALU_DEP_2)
	v_mul_f32_e32 v47, v52, v44
	ds_bpermute_b32 v52, v41, v43
	s_wait_dscnt 0x3
	v_dual_sub_f32 v43, v46, v45 :: v_dual_lshlrev_b32 v46, 16, v56
	v_dual_mul_f32 v45, v47, v53 :: v_dual_lshlrev_b32 v56, 16, v63
	ds_bpermute_b32 v53, v40, v42
	v_lshlrev_b32_e32 v42, 16, v62
	s_wait_dscnt 0x2
	v_dual_mul_f32 v43, v43, v46 :: v_dual_sub_f32 v51, v56, v51
	v_lshlrev_b32_e32 v56, 16, v64
	v_pk_add_f32 v[10:11], v[10:11], v[44:45]
	s_wait_loadcnt 0x1
	s_delay_alu instid0(VALU_DEP_3) | instskip(SKIP_2) | instid1(VALU_DEP_3)
	v_dual_mul_f32 v47, v43, v55 :: v_dual_lshlrev_b32 v44, 16, v49
	v_mul_f32_e32 v43, v51, v42
	v_sub_f32_e32 v45, v56, v54
	v_pk_add_f32 v[10:11], v[10:11], v[46:47]
	s_wait_loadcnt 0x0
	s_delay_alu instid0(VALU_DEP_3) | instskip(NEXT) | instid1(VALU_DEP_3)
	v_dual_mul_f32 v43, v43, v57 :: v_dual_lshlrev_b32 v46, 16, v50
	v_mul_f32_e32 v45, v45, v44
	s_wait_dscnt 0x1
	v_sub_f32_e32 v47, v48, v52
	s_delay_alu instid0(VALU_DEP_3) | instskip(SKIP_1) | instid1(VALU_DEP_2)
	v_pk_add_f32 v[10:11], v[10:11], v[42:43]
	s_wait_dscnt 0x0
	v_dual_mul_f32 v45, v45, v53 :: v_dual_mul_f32 v42, v47, v46
	s_delay_alu instid0(VALU_DEP_1) | instskip(NEXT) | instid1(VALU_DEP_2)
	v_pk_add_f32 v[10:11], v[10:11], v[44:45]
	v_mul_f32_e32 v47, v42, v58
	s_delay_alu instid0(VALU_DEP_1)
	v_pk_add_f32 v[10:11], v[10:11], v[46:47]
	s_cbranch_vccz .LBB96_8
.LBB96_6:                               ; =>This Inner Loop Header: Depth=1
	v_dual_mov_b32 v42, 0 :: v_dual_mov_b32 v43, 0
	s_mov_b32 s28, exec_lo
	v_cmpx_gt_i64_e64 s[12:13], v[4:5]
	s_cbranch_execz .LBB96_5
; %bb.7:                                ;   in Loop: Header=BB96_6 Depth=1
	v_add_nc_u64_e32 v[44:45], s[8:9], v[8:9]
	v_add_nc_u64_e32 v[46:47], s[10:11], v[8:9]
	global_load_b32 v43, v[44:45], off
	global_load_b32 v42, v[46:47], off
	s_branch .LBB96_5
.LBB96_8:
	v_mov_b32_e32 v2, v1
	s_mov_b64 s[4:5], s[18:19]
.LBB96_9:
	s_load_b128 s[0:3], s[0:1], 0x30
	s_nop 0
	s_load_u16 s4, s[4:5], 0xe
	v_mov_b32_e32 v1, 0
	s_delay_alu instid0(VALU_DEP_1) | instskip(SKIP_1) | instid1(VALU_DEP_1)
	v_mov_b32_e32 v3, v1
	s_wait_kmcnt 0x0
	v_mad_nc_u64_u32 v[2:3], s4, s17, v[2:3]
	s_mov_b32 s17, 0
	s_delay_alu instid0(SALU_CYCLE_1) | instskip(SKIP_2) | instid1(VALU_DEP_2)
	s_lshl_b64 s[4:5], s[16:17], 6
	s_cmp_eq_u64 s[0:1], 0
	v_add_nc_u64_e32 v[0:1], s[4:5], v[0:1]
	v_mul_u64_e32 v[2:3], s[14:15], v[2:3]
	s_cbranch_scc1 .LBB96_11
; %bb.10:
	v_bfe_u32 v4, v11, 16, 1
	v_cmp_o_f32_e32 vcc_lo, v11, v11
	s_delay_alu instid0(VALU_DEP_2) | instskip(NEXT) | instid1(VALU_DEP_1)
	v_add3_u32 v4, v11, v4, 0x7fff
	v_lshrrev_b32_e32 v6, 16, v4
	v_lshl_add_u64 v[4:5], v[2:3], 1, s[0:1]
	s_delay_alu instid0(VALU_DEP_2) | instskip(NEXT) | instid1(VALU_DEP_2)
	v_cndmask_b32_e32 v6, 0x7fc0, v6, vcc_lo
	v_lshl_add_u64 v[4:5], v[0:1], 1, v[4:5]
	global_store_b16 v[4:5], v6, off
.LBB96_11:
	s_cmp_eq_u64 s[2:3], 0
	s_cbranch_scc1 .LBB96_13
; %bb.12:
	s_wait_xcnt 0x0
	v_bfe_u32 v4, v10, 16, 1
	s_delay_alu instid0(VALU_DEP_2) | instskip(SKIP_1) | instid1(VALU_DEP_3)
	v_lshl_add_u64 v[2:3], v[2:3], 1, s[2:3]
	v_cmp_o_f32_e32 vcc_lo, v10, v10
	v_add3_u32 v4, v10, v4, 0x7fff
	s_delay_alu instid0(VALU_DEP_3) | instskip(NEXT) | instid1(VALU_DEP_2)
	v_lshl_add_u64 v[0:1], v[0:1], 1, v[2:3]
	v_lshrrev_b32_e32 v4, 16, v4
	s_delay_alu instid0(VALU_DEP_1)
	v_cndmask_b32_e32 v4, 0x7fc0, v4, vcc_lo
	global_store_b16 v[0:1], v4, off
.LBB96_13:
	s_sendmsg sendmsg(MSG_DEALLOC_VGPRS)
	s_endpgm
	.section	.rodata,"a",@progbits
	.p2align	6, 0x0
	.amdhsa_kernel _ZN2at6native12_GLOBAL__N_135GammaBetaBackwardCUDAKernelTemplateIN3c108BFloat16EfLj64ELj1ELj32ELb1ELb1ELb0EEEvllPKT_S7_PKT0_SA_PS5_SB_
		.amdhsa_group_segment_fixed_size 0
		.amdhsa_private_segment_fixed_size 0
		.amdhsa_kernarg_size 320
		.amdhsa_user_sgpr_count 2
		.amdhsa_user_sgpr_dispatch_ptr 0
		.amdhsa_user_sgpr_queue_ptr 0
		.amdhsa_user_sgpr_kernarg_segment_ptr 1
		.amdhsa_user_sgpr_dispatch_id 0
		.amdhsa_user_sgpr_kernarg_preload_length 0
		.amdhsa_user_sgpr_kernarg_preload_offset 0
		.amdhsa_user_sgpr_private_segment_size 0
		.amdhsa_wavefront_size32 1
		.amdhsa_uses_dynamic_stack 0
		.amdhsa_enable_private_segment 0
		.amdhsa_system_sgpr_workgroup_id_x 1
		.amdhsa_system_sgpr_workgroup_id_y 1
		.amdhsa_system_sgpr_workgroup_id_z 0
		.amdhsa_system_sgpr_workgroup_info 0
		.amdhsa_system_vgpr_workitem_id 1
		.amdhsa_next_free_vgpr 65
		.amdhsa_next_free_sgpr 29
		.amdhsa_named_barrier_count 0
		.amdhsa_reserve_vcc 1
		.amdhsa_float_round_mode_32 0
		.amdhsa_float_round_mode_16_64 0
		.amdhsa_float_denorm_mode_32 3
		.amdhsa_float_denorm_mode_16_64 3
		.amdhsa_fp16_overflow 0
		.amdhsa_memory_ordered 1
		.amdhsa_forward_progress 1
		.amdhsa_inst_pref_size 32
		.amdhsa_round_robin_scheduling 0
		.amdhsa_exception_fp_ieee_invalid_op 0
		.amdhsa_exception_fp_denorm_src 0
		.amdhsa_exception_fp_ieee_div_zero 0
		.amdhsa_exception_fp_ieee_overflow 0
		.amdhsa_exception_fp_ieee_underflow 0
		.amdhsa_exception_fp_ieee_inexact 0
		.amdhsa_exception_int_div_zero 0
	.end_amdhsa_kernel
	.section	.text._ZN2at6native12_GLOBAL__N_135GammaBetaBackwardCUDAKernelTemplateIN3c108BFloat16EfLj64ELj1ELj32ELb1ELb1ELb0EEEvllPKT_S7_PKT0_SA_PS5_SB_,"axG",@progbits,_ZN2at6native12_GLOBAL__N_135GammaBetaBackwardCUDAKernelTemplateIN3c108BFloat16EfLj64ELj1ELj32ELb1ELb1ELb0EEEvllPKT_S7_PKT0_SA_PS5_SB_,comdat
.Lfunc_end96:
	.size	_ZN2at6native12_GLOBAL__N_135GammaBetaBackwardCUDAKernelTemplateIN3c108BFloat16EfLj64ELj1ELj32ELb1ELb1ELb0EEEvllPKT_S7_PKT0_SA_PS5_SB_, .Lfunc_end96-_ZN2at6native12_GLOBAL__N_135GammaBetaBackwardCUDAKernelTemplateIN3c108BFloat16EfLj64ELj1ELj32ELb1ELb1ELb0EEEvllPKT_S7_PKT0_SA_PS5_SB_
                                        ; -- End function
	.set _ZN2at6native12_GLOBAL__N_135GammaBetaBackwardCUDAKernelTemplateIN3c108BFloat16EfLj64ELj1ELj32ELb1ELb1ELb0EEEvllPKT_S7_PKT0_SA_PS5_SB_.num_vgpr, 65
	.set _ZN2at6native12_GLOBAL__N_135GammaBetaBackwardCUDAKernelTemplateIN3c108BFloat16EfLj64ELj1ELj32ELb1ELb1ELb0EEEvllPKT_S7_PKT0_SA_PS5_SB_.num_agpr, 0
	.set _ZN2at6native12_GLOBAL__N_135GammaBetaBackwardCUDAKernelTemplateIN3c108BFloat16EfLj64ELj1ELj32ELb1ELb1ELb0EEEvllPKT_S7_PKT0_SA_PS5_SB_.numbered_sgpr, 29
	.set _ZN2at6native12_GLOBAL__N_135GammaBetaBackwardCUDAKernelTemplateIN3c108BFloat16EfLj64ELj1ELj32ELb1ELb1ELb0EEEvllPKT_S7_PKT0_SA_PS5_SB_.num_named_barrier, 0
	.set _ZN2at6native12_GLOBAL__N_135GammaBetaBackwardCUDAKernelTemplateIN3c108BFloat16EfLj64ELj1ELj32ELb1ELb1ELb0EEEvllPKT_S7_PKT0_SA_PS5_SB_.private_seg_size, 0
	.set _ZN2at6native12_GLOBAL__N_135GammaBetaBackwardCUDAKernelTemplateIN3c108BFloat16EfLj64ELj1ELj32ELb1ELb1ELb0EEEvllPKT_S7_PKT0_SA_PS5_SB_.uses_vcc, 1
	.set _ZN2at6native12_GLOBAL__N_135GammaBetaBackwardCUDAKernelTemplateIN3c108BFloat16EfLj64ELj1ELj32ELb1ELb1ELb0EEEvllPKT_S7_PKT0_SA_PS5_SB_.uses_flat_scratch, 0
	.set _ZN2at6native12_GLOBAL__N_135GammaBetaBackwardCUDAKernelTemplateIN3c108BFloat16EfLj64ELj1ELj32ELb1ELb1ELb0EEEvllPKT_S7_PKT0_SA_PS5_SB_.has_dyn_sized_stack, 0
	.set _ZN2at6native12_GLOBAL__N_135GammaBetaBackwardCUDAKernelTemplateIN3c108BFloat16EfLj64ELj1ELj32ELb1ELb1ELb0EEEvllPKT_S7_PKT0_SA_PS5_SB_.has_recursion, 0
	.set _ZN2at6native12_GLOBAL__N_135GammaBetaBackwardCUDAKernelTemplateIN3c108BFloat16EfLj64ELj1ELj32ELb1ELb1ELb0EEEvllPKT_S7_PKT0_SA_PS5_SB_.has_indirect_call, 0
	.section	.AMDGPU.csdata,"",@progbits
; Kernel info:
; codeLenInByte = 4040
; TotalNumSgprs: 31
; NumVgprs: 65
; ScratchSize: 0
; MemoryBound: 0
; FloatMode: 240
; IeeeMode: 1
; LDSByteSize: 0 bytes/workgroup (compile time only)
; SGPRBlocks: 0
; VGPRBlocks: 4
; NumSGPRsForWavesPerEU: 31
; NumVGPRsForWavesPerEU: 65
; NamedBarCnt: 0
; Occupancy: 12
; WaveLimiterHint : 0
; COMPUTE_PGM_RSRC2:SCRATCH_EN: 0
; COMPUTE_PGM_RSRC2:USER_SGPR: 2
; COMPUTE_PGM_RSRC2:TRAP_HANDLER: 0
; COMPUTE_PGM_RSRC2:TGID_X_EN: 1
; COMPUTE_PGM_RSRC2:TGID_Y_EN: 1
; COMPUTE_PGM_RSRC2:TGID_Z_EN: 0
; COMPUTE_PGM_RSRC2:TIDIG_COMP_CNT: 1
	.section	.text._ZN2at6native12_GLOBAL__N_135GammaBetaBackwardCUDAKernelTemplateIN3c108BFloat16EfLj64ELj1ELj32ELb1ELb0ELb0EEEvllPKT_S7_PKT0_SA_PS5_SB_,"axG",@progbits,_ZN2at6native12_GLOBAL__N_135GammaBetaBackwardCUDAKernelTemplateIN3c108BFloat16EfLj64ELj1ELj32ELb1ELb0ELb0EEEvllPKT_S7_PKT0_SA_PS5_SB_,comdat
	.globl	_ZN2at6native12_GLOBAL__N_135GammaBetaBackwardCUDAKernelTemplateIN3c108BFloat16EfLj64ELj1ELj32ELb1ELb0ELb0EEEvllPKT_S7_PKT0_SA_PS5_SB_ ; -- Begin function _ZN2at6native12_GLOBAL__N_135GammaBetaBackwardCUDAKernelTemplateIN3c108BFloat16EfLj64ELj1ELj32ELb1ELb0ELb0EEEvllPKT_S7_PKT0_SA_PS5_SB_
	.p2align	8
	.type	_ZN2at6native12_GLOBAL__N_135GammaBetaBackwardCUDAKernelTemplateIN3c108BFloat16EfLj64ELj1ELj32ELb1ELb0ELb0EEEvllPKT_S7_PKT0_SA_PS5_SB_,@function
_ZN2at6native12_GLOBAL__N_135GammaBetaBackwardCUDAKernelTemplateIN3c108BFloat16EfLj64ELj1ELj32ELb1ELb0ELb0EEEvllPKT_S7_PKT0_SA_PS5_SB_: ; @_ZN2at6native12_GLOBAL__N_135GammaBetaBackwardCUDAKernelTemplateIN3c108BFloat16EfLj64ELj1ELj32ELb1ELb0ELb0EEEvllPKT_S7_PKT0_SA_PS5_SB_
; %bb.0:
	s_load_b256 s[4:11], s[0:1], 0x0
	s_bfe_u32 s3, ttmp6, 0x4000c
	s_bfe_u32 s12, ttmp6, 0x40010
	s_add_co_i32 s3, s3, 1
	s_add_co_i32 s12, s12, 1
	s_and_b32 s2, ttmp6, 15
	s_bfe_u32 s13, ttmp6, 0x40004
	s_mul_i32 s3, ttmp9, s3
	s_mul_i32 s12, ttmp7, s12
	s_getreg_b32 s14, hwreg(HW_REG_IB_STS2, 6, 4)
	s_add_co_i32 s2, s2, s3
	s_add_co_i32 s3, s13, s12
	s_cmp_eq_u32 s14, 0
	s_mov_b32 s19, 0
	s_cselect_b32 s16, ttmp9, s2
	s_cselect_b32 s33, ttmp7, s3
	s_lshl_b32 s3, s16, 6
	s_load_b128 s[12:15], s[0:1], 0x20
	s_or_b32 s18, s3, 63
	s_wait_kmcnt 0x0
	v_cmp_le_i64_e64 s2, s[6:7], s[18:19]
	s_lshl_b32 s18, s33, 5
	s_delay_alu instid0(SALU_CYCLE_1) | instskip(SKIP_2) | instid1(VALU_DEP_1)
	v_cmp_gt_i64_e64 s17, s[4:5], s[18:19]
	s_and_b32 vcc_lo, exec_lo, s2
	v_cndmask_b32_e64 v1, 0, 1, s17
	v_cmp_ne_u32_e64 s2, 1, v1
	s_cbranch_vccz .LBB97_140
; %bb.1:
	s_and_b32 vcc_lo, exec_lo, s2
	s_cbranch_vccnz .LBB97_141
; %bb.2:
	v_bfe_u32 v1, v0, 10, 10
	v_mov_b32_e32 v2, 0
	v_and_b32_e32 v172, 0x3ff, v0
	s_load_b32 s20, s[0:1], 0x44
	s_mov_b32 s21, 0
	s_delay_alu instid0(VALU_DEP_2) | instskip(NEXT) | instid1(VALU_DEP_2)
	v_dual_mov_b32 v37, v2 :: v_dual_lshlrev_b32 v36, 5, v1
	v_dual_mov_b32 v7, v2 :: v_dual_add_nc_u32 v6, s3, v172
	s_mov_b32 s25, s21
	s_set_vgpr_msb 64                       ;  msbs: dst=1 src0=0 src1=0 src2=0
	v_dual_mov_b32 v36 /*v292*/, 0 :: v_dual_mov_b32 v37 /*v293*/, v2
	s_set_vgpr_msb 0                        ;  msbs: dst=0 src0=0 src1=0 src2=0
	v_add_nc_u64_e32 v[4:5], s[18:19], v[36:37]
	v_cmp_gt_i64_e64 s2, s[6:7], v[6:7]
	v_lshlrev_b64_e32 v[38:39], 1, v[6:7]
	s_add_nc_u64 s[22:23], s[0:1], 64
	s_mov_b64 s[28:29], 31
	s_mov_b64 s[30:31], s[18:19]
	v_add_nc_u64_e32 v[10:11], 31, v[4:5]
	v_add_nc_u64_e32 v[12:13], 30, v[4:5]
	;; [unrolled: 1-line block ×7, first 2 shown]
	v_mul_u64_e32 v[10:11], s[6:7], v[10:11]
	v_mul_u64_e32 v[12:13], s[6:7], v[12:13]
	;; [unrolled: 1-line block ×6, first 2 shown]
	v_add_nc_u64_e32 v[28:29], 21, v[4:5]
	v_mul_u64_e32 v[6:7], s[6:7], v[6:7]
	v_add_nc_u64_e32 v[18:19], 27, v[4:5]
	v_add_nc_u64_e32 v[22:23], 25, v[4:5]
	;; [unrolled: 1-line block ×5, first 2 shown]
	v_mul_u64_e32 v[28:29], s[6:7], v[28:29]
	v_add_nc_u64_e32 v[20:21], 26, v[4:5]
	v_mul_u64_e32 v[18:19], s[6:7], v[18:19]
	v_mul_u64_e32 v[22:23], s[6:7], v[22:23]
	;; [unrolled: 1-line block ×7, first 2 shown]
	s_wait_kmcnt 0x0
	s_lshl_b32 s24, s20, 5
	s_delay_alu instid0(SALU_CYCLE_1) | instskip(NEXT) | instid1(SALU_CYCLE_1)
	s_mul_u64 s[26:27], s[6:7], s[24:25]
	s_lshl_b64 s[26:27], s[26:27], 1
	v_lshlrev_b64_e32 v[10:11], 1, v[10:11]
	v_lshlrev_b64_e32 v[12:13], 1, v[12:13]
	;; [unrolled: 1-line block ×5, first 2 shown]
	v_add_nc_u64_e32 v[44:45], s[8:9], v[10:11]
	v_add_nc_u64_e32 v[46:47], s[10:11], v[10:11]
	;; [unrolled: 1-line block ×9, first 2 shown]
	v_lshlrev_b64_e32 v[12:13], 1, v[24:25]
	v_mul_u64_e32 v[10:11], s[6:7], v[10:11]
	v_add_nc_u64_e32 v[14:15], 16, v[4:5]
	v_lshlrev_b64_e32 v[16:17], 1, v[26:27]
	v_add_nc_u64_e32 v[72:73], s[8:9], v[6:7]
	v_add_nc_u64_e32 v[74:75], s[10:11], v[6:7]
	v_lshlrev_b64_e32 v[6:7], 1, v[28:29]
	v_add_nc_u64_e32 v[76:77], s[8:9], v[12:13]
	v_add_nc_u64_e32 v[78:79], s[10:11], v[12:13]
	v_mul_u64_e32 v[12:13], s[6:7], v[14:15]
	v_add_nc_u64_e32 v[80:81], s[8:9], v[16:17]
	v_add_nc_u64_e32 v[82:83], s[10:11], v[16:17]
	;; [unrolled: 1-line block ×3, first 2 shown]
	v_lshlrev_b64_e32 v[18:19], 1, v[18:19]
	v_lshlrev_b64_e32 v[22:23], 1, v[22:23]
	v_add_nc_u64_e32 v[84:85], s[8:9], v[6:7]
	v_add_nc_u64_e32 v[86:87], s[10:11], v[6:7]
	v_lshlrev_b64_e32 v[6:7], 1, v[32:33]
	v_add_nc_u64_e32 v[14:15], 15, v[4:5]
	v_mul_u64_e32 v[16:17], s[6:7], v[16:17]
	v_add_nc_u64_e32 v[60:61], s[8:9], v[18:19]
	v_add_nc_u64_e32 v[62:63], s[10:11], v[18:19]
	;; [unrolled: 1-line block ×4, first 2 shown]
	v_lshlrev_b64_e32 v[18:19], 1, v[30:31]
	v_lshlrev_b64_e32 v[22:23], 1, v[34:35]
	v_add_nc_u64_e32 v[92:93], s[8:9], v[6:7]
	v_add_nc_u64_e32 v[24:25], 11, v[4:5]
	;; [unrolled: 1-line block ×5, first 2 shown]
	v_lshlrev_b64_e32 v[20:21], 1, v[20:21]
	v_mul_u64_e32 v[14:15], s[6:7], v[14:15]
	v_add_nc_u64_e32 v[88:89], s[8:9], v[18:19]
	v_add_nc_u64_e32 v[90:91], s[10:11], v[18:19]
	;; [unrolled: 1-line block ×4, first 2 shown]
	v_mul_u64_e32 v[24:25], s[6:7], v[24:25]
	v_lshlrev_b64_e32 v[10:11], 1, v[10:11]
	v_add_nc_u64_e32 v[28:29], 8, v[4:5]
	v_mul_u64_e32 v[6:7], s[6:7], v[6:7]
	v_add_nc_u64_e32 v[98:99], s[10:11], v[22:23]
	v_mul_u64_e32 v[22:23], s[6:7], v[26:27]
	v_add_nc_u64_e32 v[26:27], 6, v[4:5]
	v_add_nc_u64_e32 v[64:65], s[8:9], v[20:21]
	v_add_nc_u64_e32 v[66:67], s[10:11], v[20:21]
	v_add_nc_u64_e32 v[20:21], 13, v[4:5]
	v_mul_u64_e32 v[18:19], s[6:7], v[18:19]
	v_add_nc_u64_e32 v[30:31], 7, v[4:5]
	v_lshlrev_b64_e32 v[12:13], 1, v[12:13]
	v_mul_u64_e32 v[28:29], s[6:7], v[28:29]
	v_add_nc_u64_e32 v[100:101], s[8:9], v[10:11]
	v_add_nc_u64_e32 v[32:33], 5, v[4:5]
	v_add_nc_u64_e32 v[102:103], s[10:11], v[10:11]
	v_mul_u64_e32 v[10:11], s[6:7], v[26:27]
	v_add_nc_u64_e32 v[26:27], 4, v[4:5]
	v_add_nc_u64_e32 v[34:35], 3, v[4:5]
	;; [unrolled: 1-line block ×3, first 2 shown]
	v_mul_u64_e32 v[20:21], s[6:7], v[20:21]
	v_mul_u64_e32 v[30:31], s[6:7], v[30:31]
	v_add_nc_u64_e32 v[104:105], s[8:9], v[12:13]
	v_mul_u64_e32 v[32:33], s[6:7], v[32:33]
	v_add_nc_u64_e32 v[106:107], s[10:11], v[12:13]
	v_lshlrev_b64_e32 v[12:13], 1, v[16:17]
	v_mul_u64_e32 v[16:17], s[6:7], v[26:27]
	v_mul_u64_e32 v[26:27], s[6:7], v[34:35]
	;; [unrolled: 1-line block ×3, first 2 shown]
	v_lshlrev_b64_e32 v[14:15], 1, v[14:15]
	v_lshlrev_b64_e32 v[42:43], 1, v[8:9]
	v_add_nc_u64_e32 v[8:9], s[6:7], v[8:9]
	v_add_nc_u64_e32 v[112:113], s[8:9], v[12:13]
	;; [unrolled: 1-line block ×3, first 2 shown]
	v_lshlrev_b64_e32 v[12:13], 1, v[24:25]
	v_lshlrev_b64_e32 v[6:7], 1, v[6:7]
	v_add_nc_u64_e32 v[108:109], s[8:9], v[14:15]
	v_add_nc_u64_e32 v[110:111], s[10:11], v[14:15]
	v_lshlrev_b64_e32 v[8:9], 1, v[8:9]
	v_add_nc_u64_e32 v[40:41], s[8:9], v[42:43]
	v_add_nc_u64_e32 v[42:43], s[10:11], v[42:43]
	;; [unrolled: 3-line block ×4, first 2 shown]
	v_add_nc_u64_e32 v[164:165], s[8:9], v[8:9]
	v_lshlrev_b64_e32 v[6:7], 1, v[10:11]
	v_add_nc_u64_e32 v[120:121], s[8:9], v[14:15]
	v_add_nc_u64_e32 v[122:123], s[10:11], v[14:15]
	v_lshlrev_b64_e32 v[14:15], 1, v[22:23]
	v_lshlrev_b64_e32 v[20:21], 1, v[20:21]
	;; [unrolled: 1-line block ×3, first 2 shown]
	v_add_nc_u64_e32 v[136:137], s[8:9], v[12:13]
	v_add_nc_u64_e32 v[138:139], s[10:11], v[12:13]
	v_lshlrev_b64_e32 v[10:11], 1, v[32:33]
	v_add_nc_u64_e32 v[144:145], s[8:9], v[6:7]
	v_lshlrev_b64_e32 v[12:13], 1, v[16:17]
	;; [unrolled: 2-line block ×3, first 2 shown]
	v_lshlrev_b64_e32 v[4:5], 1, v[4:5]
	v_add_nc_u64_e32 v[116:117], s[8:9], v[20:21]
	v_add_nc_u64_e32 v[118:119], s[10:11], v[20:21]
	;; [unrolled: 1-line block ×15, first 2 shown]
	s_branch .LBB97_5
.LBB97_3:                               ;   in Loop: Header=BB97_5 Depth=1
	s_or_b32 exec_lo, exec_lo, s20
	s_wait_loadcnt 0x1
	ds_bpermute_b32 v202, v2, v168
	ds_bpermute_b32 v204, v2, v168 offset:4
	s_wait_loadcnt 0x0
	ds_bpermute_b32 v203, v2, v169
	ds_bpermute_b32 v207, v2, v168 offset:8
	ds_bpermute_b32 v205, v2, v169 offset:4
	;; [unrolled: 1-line block ×17, first 2 shown]
	s_wait_dscnt 0x13
	v_dual_sub_f32 v202, v170, v202 :: v_dual_mov_b32 v170, v4
	s_wait_dscnt 0x12
	v_sub_f32_e32 v171, v171, v204
	s_wait_dscnt 0x10
	v_sub_f32_e32 v3, v3, v207
	ds_bpermute_b32 v220, v2, v169 offset:36
	v_dual_mul_f32 v204, v4, v202 :: v_dual_mov_b32 v4, v5
	v_dual_mov_b32 v202, v6 :: v_dual_mul_f32 v5, v5, v171
	s_wait_dscnt 0xf
	s_delay_alu instid0(VALU_DEP_2) | instskip(SKIP_1) | instid1(VALU_DEP_3)
	v_dual_sub_f32 v174, v174, v209 :: v_dual_mul_f32 v171, v204, v203
	v_dual_mov_b32 v204, v7 :: v_dual_mul_f32 v3, v6, v3
	v_dual_mov_b32 v6, v8 :: v_dual_mul_f32 v5, v5, v205
	s_set_vgpr_msb 1                        ;  msbs: dst=0 src0=1 src1=0 src2=0
	s_delay_alu instid0(VALU_DEP_3)
	v_pk_add_f32 v[170:171], v[36:37] /*v[292:293]*/, v[170:171]
	s_wait_dscnt 0xd
	s_set_vgpr_msb 0                        ;  msbs: dst=0 src0=0 src1=0 src2=0
	v_dual_sub_f32 v173, v173, v211 :: v_dual_mul_f32 v7, v7, v174
	s_wait_dscnt 0xb
	v_dual_mul_f32 v203, v3, v206 :: v_dual_sub_f32 v3, v176, v213
	v_pk_add_f32 v[4:5], v[4:5], v[170:171]
	s_delay_alu instid0(VALU_DEP_3) | instskip(SKIP_1) | instid1(VALU_DEP_3)
	v_dual_mov_b32 v170, v9 :: v_dual_mul_f32 v171, v8, v173
	v_dual_mov_b32 v8, v10 :: v_dual_mul_f32 v205, v7, v208
	v_pk_add_f32 v[4:5], v[202:203], v[4:5]
	s_wait_dscnt 0x9
	v_sub_f32_e32 v173, v175, v215
	v_dual_mul_f32 v3, v9, v3 :: v_dual_mul_f32 v7, v171, v210
	ds_bpermute_b32 v222, v2, v169 offset:40
	v_pk_add_f32 v[4:5], v[204:205], v[4:5]
	s_wait_dscnt 0x8
	v_sub_f32_e32 v9, v179, v217
	ds_bpermute_b32 v174, v2, v168 offset:44
	s_wait_dscnt 0x6
	v_dual_mul_f32 v171, v3, v212 :: v_dual_sub_f32 v3, v178, v219
	v_pk_add_f32 v[4:5], v[6:7], v[4:5]
	v_sub_f32_e32 v6, v181, v221
	v_mul_f32_e32 v10, v10, v173
	v_mul_f32_e32 v7, v11, v9
	ds_bpermute_b32 v173, v2, v169 offset:48
	v_pk_add_f32 v[4:5], v[170:171], v[4:5]
	v_mul_f32_e32 v170, v13, v6
	s_wait_dscnt 0x5
	v_dual_mul_f32 v9, v10, v214 :: v_dual_sub_f32 v10, v180, v223
	v_dual_mul_f32 v3, v12, v3 :: v_dual_mul_f32 v7, v7, v216
	s_wait_dscnt 0x3
	v_dual_mov_b32 v6, v11 :: v_dual_mul_f32 v11, v170, v220
	s_delay_alu instid0(VALU_DEP_3)
	v_pk_add_f32 v[4:5], v[8:9], v[4:5]
	ds_bpermute_b32 v171, v2, v168 offset:48
	v_dual_mul_f32 v9, v3, v218 :: v_dual_mov_b32 v8, v12
	v_dual_mul_f32 v3, v14, v10 :: v_dual_mov_b32 v10, v13
	v_pk_add_f32 v[4:5], v[6:7], v[4:5]
	ds_bpermute_b32 v12, v2, v168 offset:52
	ds_bpermute_b32 v170, v2, v168 offset:56
	;; [unrolled: 1-line block ×3, first 2 shown]
	s_wait_dscnt 0x6
	v_dual_mul_f32 v7, v3, v222 :: v_dual_mov_b32 v6, v14
	v_pk_add_f32 v[4:5], v[8:9], v[4:5]
	ds_bpermute_b32 v3, v2, v168 offset:60
	s_wait_dscnt 0x6
	v_sub_f32_e32 v8, v183, v174
	ds_bpermute_b32 v14, v2, v168 offset:64
	v_pk_add_f32 v[4:5], v[10:11], v[4:5]
	ds_bpermute_b32 v10, v2, v169 offset:52
	ds_bpermute_b32 v11, v2, v169 offset:56
	s_wait_dscnt 0x7
	v_dual_sub_f32 v9, v182, v171 :: v_dual_mul_f32 v8, v15, v8
	v_pk_add_f32 v[4:5], v[6:7], v[4:5]
	v_mov_b32_e32 v6, v15
	ds_bpermute_b32 v15, v2, v169 offset:64
	s_wait_dscnt 0x7
	v_dual_mul_f32 v9, v16, v9 :: v_dual_sub_f32 v12, v185, v12
	s_wait_dscnt 0x6
	v_sub_f32_e32 v170, v184, v170
	s_wait_dscnt 0x5
	v_mul_f32_e32 v7, v8, v13
	ds_bpermute_b32 v171, v2, v168 offset:68
	v_mul_f32_e32 v9, v9, v173
	v_dual_mul_f32 v12, v17, v12 :: v_dual_mul_f32 v13, v18, v170
	ds_bpermute_b32 v170, v2, v169 offset:60
	s_wait_dscnt 0x6
	v_dual_sub_f32 v3, v187, v3 :: v_dual_mov_b32 v8, v16
	v_pk_add_f32 v[4:5], v[6:7], v[4:5]
	ds_bpermute_b32 v173, v2, v168 offset:72
	s_wait_dscnt 0x4
	v_dual_mul_f32 v7, v12, v10 :: v_dual_mul_f32 v11, v13, v11
	v_dual_sub_f32 v10, v186, v14 :: v_dual_mul_f32 v3, v19, v3
	v_mov_b32_e32 v6, v17
	v_pk_add_f32 v[4:5], v[8:9], v[4:5]
	ds_bpermute_b32 v12, v2, v168 offset:76
	ds_bpermute_b32 v13, v2, v169 offset:68
	v_dual_mul_f32 v8, v20, v10 :: v_dual_mov_b32 v10, v18
	v_pk_add_f32 v[4:5], v[6:7], v[4:5]
	ds_bpermute_b32 v14, v2, v169 offset:72
	ds_bpermute_b32 v16, v2, v168 offset:80
	s_wait_dscnt 0x7
	v_dual_mul_f32 v9, v8, v15 :: v_dual_mov_b32 v6, v19
	v_pk_add_f32 v[4:5], v[10:11], v[4:5]
	ds_bpermute_b32 v11, v2, v169 offset:76
	s_wait_dscnt 0x6
	v_dual_mul_f32 v7, v3, v170 :: v_dual_sub_f32 v3, v189, v171
	ds_bpermute_b32 v15, v2, v168 offset:84
	s_wait_dscnt 0x6
	v_sub_f32_e32 v10, v188, v173
	ds_bpermute_b32 v17, v2, v169 offset:80
	v_pk_add_f32 v[4:5], v[6:7], v[4:5]
	v_dual_mul_f32 v3, v21, v3 :: v_dual_mov_b32 v8, v20
	s_wait_dscnt 0x6
	v_dual_mul_f32 v10, v22, v10 :: v_dual_sub_f32 v12, v192, v12
	s_wait_dscnt 0x5
	s_delay_alu instid0(VALU_DEP_2) | instskip(SKIP_1) | instid1(VALU_DEP_3)
	v_dual_mov_b32 v6, v21 :: v_dual_mul_f32 v7, v3, v13
	v_pk_add_f32 v[4:5], v[8:9], v[4:5]
	v_dual_mov_b32 v8, v22 :: v_dual_mul_f32 v3, v23, v12
	s_wait_dscnt 0x4
	v_mul_f32_e32 v9, v10, v14
	s_wait_dscnt 0x3
	v_sub_f32_e32 v10, v190, v16
	ds_bpermute_b32 v12, v2, v169 offset:84
	v_pk_add_f32 v[4:5], v[6:7], v[4:5]
	ds_bpermute_b32 v13, v2, v168 offset:88
	ds_bpermute_b32 v14, v2, v168 offset:92
	s_wait_dscnt 0x5
	v_mul_f32_e32 v7, v3, v11
	ds_bpermute_b32 v11, v2, v168 offset:96
	s_wait_dscnt 0x5
	v_dual_mul_f32 v3, v24, v10 :: v_dual_sub_f32 v10, v193, v15
	v_pk_add_f32 v[4:5], v[8:9], v[4:5]
	v_mov_b32_e32 v6, v23
	ds_bpermute_b32 v15, v2, v169 offset:92
	s_wait_dscnt 0x5
	v_dual_mul_f32 v9, v3, v17 :: v_dual_mov_b32 v8, v24
	v_mul_f32_e32 v3, v25, v10
	ds_bpermute_b32 v10, v2, v169 offset:88
	ds_bpermute_b32 v16, v2, v168 offset:100
	v_pk_add_f32 v[4:5], v[6:7], v[4:5]
	ds_bpermute_b32 v17, v2, v168 offset:108
	v_mov_b32_e32 v6, v25
	ds_bpermute_b32 v18, v2, v168 offset:116
	s_wait_dscnt 0x8
	v_mul_f32_e32 v7, v3, v12
	v_pk_add_f32 v[4:5], v[8:9], v[4:5]
	s_wait_dscnt 0x7
	v_sub_f32_e32 v3, v191, v13
	ds_bpermute_b32 v12, v2, v169 offset:96
	ds_bpermute_b32 v13, v2, v168 offset:104
	s_wait_dscnt 0x7
	v_dual_sub_f32 v11, v194, v11 :: v_dual_sub_f32 v8, v195, v14
	v_mul_f32_e32 v3, v26, v3
	ds_bpermute_b32 v14, v2, v169 offset:100
	v_pk_add_f32 v[4:5], v[6:7], v[4:5]
	v_dual_mov_b32 v6, v26 :: v_dual_mul_f32 v8, v27, v8
	s_wait_dscnt 0x6
	v_dual_mul_f32 v7, v3, v10 :: v_dual_mul_f32 v3, v28, v11
	s_wait_dscnt 0x5
	s_delay_alu instid0(VALU_DEP_2)
	v_dual_mul_f32 v9, v8, v15 :: v_dual_sub_f32 v10, v197, v16
	ds_bpermute_b32 v11, v2, v168 offset:112
	ds_bpermute_b32 v15, v2, v169 offset:104
	ds_bpermute_b32 v16, v2, v169 offset:108
	v_pk_add_f32 v[4:5], v[6:7], v[4:5]
	v_dual_mov_b32 v8, v27 :: v_dual_mul_f32 v10, v29, v10
	s_wait_dscnt 0x4
	v_dual_mul_f32 v7, v3, v12 :: v_dual_sub_f32 v3, v196, v13
	v_mov_b32_e32 v6, v28
	s_delay_alu instid0(VALU_DEP_3)
	v_pk_add_f32 v[4:5], v[8:9], v[4:5]
	s_wait_dscnt 0x3
	v_mul_f32_e32 v9, v10, v14
	ds_bpermute_b32 v10, v2, v169 offset:112
	v_dual_sub_f32 v12, v199, v17 :: v_dual_mul_f32 v3, v30, v3
	ds_bpermute_b32 v13, v2, v168 offset:120
	v_pk_add_f32 v[4:5], v[6:7], v[4:5]
	v_dual_mov_b32 v8, v29 :: v_dual_mul_f32 v12, v31, v12
	ds_bpermute_b32 v14, v2, v169 offset:116
	v_mov_b32_e32 v6, v30
	s_wait_dscnt 0x5
	v_sub_f32_e32 v11, v198, v11
	s_wait_dscnt 0x4
	v_mul_f32_e32 v7, v3, v15
	v_pk_add_f32 v[4:5], v[8:9], v[4:5]
	s_wait_dscnt 0x3
	v_mul_f32_e32 v9, v12, v16
	ds_bpermute_b32 v12, v2, v169 offset:120
	v_dual_mul_f32 v3, v32, v11 :: v_dual_sub_f32 v11, v201, v18
	v_pk_add_f32 v[4:5], v[6:7], v[4:5]
	v_dual_mov_b32 v8, v31 :: v_dual_mov_b32 v6, v32
	s_wait_dscnt 0x3
	s_delay_alu instid0(VALU_DEP_3) | instskip(NEXT) | instid1(VALU_DEP_2)
	v_dual_mul_f32 v7, v3, v10 :: v_dual_mul_f32 v10, v33, v11
	v_pk_add_f32 v[8:9], v[8:9], v[4:5]
	s_wait_dscnt 0x2
	v_sub_f32_e32 v5, v200, v13
	ds_bpermute_b32 v3, v2, v169 offset:124
	ds_bpermute_b32 v4, v2, v168 offset:124
	s_wait_dscnt 0x3
	v_mul_f32_e32 v11, v10, v14
	v_pk_add_f32 v[6:7], v[6:7], v[8:9]
	v_dual_mov_b32 v10, v33 :: v_dual_mul_f32 v5, v34, v5
	v_mov_b32_e32 v8, v34
	s_delay_alu instid0(VALU_DEP_2) | instskip(SKIP_1) | instid1(VALU_DEP_3)
	v_pk_add_f32 v[6:7], v[10:11], v[6:7]
	s_wait_dscnt 0x2
	v_mul_f32_e32 v9, v5, v12
	s_delay_alu instid0(VALU_DEP_1)
	v_pk_add_f32 v[170:171], v[8:9], v[6:7]
.LBB97_4:                               ;   in Loop: Header=BB97_5 Depth=1
	s_wait_dscnt 0x0
	v_dual_sub_f32 v5, v177, v4 :: v_dual_mov_b32 v4, v35
	s_add_nc_u64 s[30:31], s[30:31], s[24:25]
	v_add_nc_u64_e32 v[40:41], s[26:27], v[40:41]
	v_cmp_lt_i64_e64 s20, s[30:31], s[4:5]
	s_delay_alu instid0(VALU_DEP_3)
	v_mul_f32_e32 v5, v35, v5
	v_add_nc_u64_e32 v[42:43], s[26:27], v[42:43]
	v_add_nc_u64_e32 v[44:45], s[26:27], v[44:45]
	;; [unrolled: 1-line block ×4, first 2 shown]
	v_mul_f32_e32 v5, v5, v3
	v_add_nc_u64_e32 v[50:51], s[26:27], v[50:51]
	v_add_nc_u64_e32 v[52:53], s[26:27], v[52:53]
	;; [unrolled: 1-line block ×60, first 2 shown]
	s_set_vgpr_msb 64                       ;  msbs: dst=1 src0=0 src1=0 src2=0
	v_pk_add_f32 v[36:37] /*v[292:293]*/, v[170:171], v[4:5]
	s_and_b32 vcc_lo, exec_lo, s20
	s_add_nc_u64 s[28:29], s[28:29], s[24:25]
	s_set_vgpr_msb 0                        ;  msbs: dst=0 src0=0 src1=0 src2=0
	s_cbranch_vccz .LBB97_142
.LBB97_5:                               ; =>This Inner Loop Header: Depth=1
	s_add_nc_u64 s[34:35], s[18:19], s[28:29]
	v_add_nc_u64_e32 v[168:169], s[18:19], v[36:37]
	v_cmp_ge_i64_e64 s20, s[34:35], s[4:5]
                                        ; implicit-def: $vgpr4_vgpr5_vgpr6_vgpr7_vgpr8_vgpr9_vgpr10_vgpr11_vgpr12_vgpr13_vgpr14_vgpr15_vgpr16_vgpr17_vgpr18_vgpr19_vgpr20_vgpr21_vgpr22_vgpr23_vgpr24_vgpr25_vgpr26_vgpr27_vgpr28_vgpr29_vgpr30_vgpr31_vgpr32_vgpr33_vgpr34_vgpr35
                                        ; implicit-def: $vgpr170_vgpr171
                                        ; implicit-def: $vgpr3
                                        ; implicit-def: $vgpr177
                                        ; implicit-def: $vgpr4
	s_and_b32 vcc_lo, exec_lo, s20
	s_mov_b32 s20, -1
	s_cbranch_vccz .LBB97_73
; %bb.6:                                ;   in Loop: Header=BB97_5 Depth=1
	s_load_b32 s20, s[22:23], 0xc
	v_dual_mov_b32 v173, 0 :: v_dual_mov_b32 v171, 0
	v_mov_b32_e32 v170, 0
	s_wait_kmcnt 0x0
	s_and_b32 s20, s20, 0xffff
	s_delay_alu instid0(SALU_CYCLE_1) | instskip(SKIP_2) | instid1(VALU_DEP_2)
	v_mad_u32_u24 v3, v1, s20, v172
	v_mov_b32_e32 v5, v2
	s_mov_b32 s20, exec_lo
	v_and_b32_e32 v4, 31, v3
	s_delay_alu instid0(VALU_DEP_1) | instskip(NEXT) | instid1(VALU_DEP_1)
	v_add_nc_u64_e32 v[4:5], v[168:169], v[4:5]
	v_cmpx_gt_i64_e64 s[4:5], v[4:5]
	s_cbranch_execz .LBB97_8
; %bb.7:                                ;   in Loop: Header=BB97_5 Depth=1
	v_lshlrev_b64_e32 v[4:5], 2, v[4:5]
	s_delay_alu instid0(VALU_DEP_1)
	v_add_nc_u64_e32 v[6:7], s[12:13], v[4:5]
	v_add_nc_u64_e32 v[4:5], s[14:15], v[4:5]
	global_load_b32 v170, v[6:7], off
	global_load_b32 v171, v[4:5], off
.LBB97_8:                               ;   in Loop: Header=BB97_5 Depth=1
	s_wait_xcnt 0x0
	s_or_b32 exec_lo, exec_lo, s20
	v_dual_mov_b32 v31, v2 :: v_dual_mov_b32 v32, v2
	v_dual_mov_b32 v33, v2 :: v_dual_mov_b32 v3, v2
	;; [unrolled: 1-line block ×15, first 2 shown]
	v_mov_b32_e32 v30, v2
	v_cmp_gt_i64_e32 vcc_lo, s[4:5], v[168:169]
	v_mov_b64_e32 v[34:35], v[32:33]
	s_delay_alu instid0(VALU_DEP_3)
	v_mov_b64_e32 v[32:33], v[30:31]
	v_mov_b64_e32 v[30:31], v[28:29]
	;; [unrolled: 1-line block ×15, first 2 shown]
	s_and_b32 s34, s2, vcc_lo
	s_delay_alu instid0(SALU_CYCLE_1)
	s_and_saveexec_b32 s20, s34
	s_cbranch_execz .LBB97_10
; %bb.9:                                ;   in Loop: Header=BB97_5 Depth=1
	v_add_nc_u64_e32 v[4:5], v[40:41], v[38:39]
	v_add_nc_u64_e32 v[6:7], v[42:43], v[38:39]
	v_dual_mov_b32 v9, v2 :: v_dual_mov_b32 v10, v2
	v_dual_mov_b32 v11, v2 :: v_dual_mov_b32 v12, v2
	;; [unrolled: 1-line block ×3, first 2 shown]
	global_load_u16 v3, v[4:5], off
	global_load_u16 v173, v[6:7], off
	s_wait_xcnt 0x0
	v_dual_mov_b32 v5, v2 :: v_dual_mov_b32 v6, v2
	v_dual_mov_b32 v7, v2 :: v_dual_mov_b32 v8, v2
	;; [unrolled: 1-line block ×12, first 2 shown]
	s_wait_loadcnt 0x1
	v_dual_mov_b32 v35, v2 :: v_dual_lshlrev_b32 v4, 16, v3
	s_wait_loadcnt 0x0
	v_lshlrev_b32_e32 v173, 16, v173
.LBB97_10:                              ;   in Loop: Header=BB97_5 Depth=1
	s_or_b32 exec_lo, exec_lo, s20
	v_add_nc_u64_e32 v[174:175], 1, v[168:169]
	v_mov_b32_e32 v3, 0
	s_delay_alu instid0(VALU_DEP_2) | instskip(SKIP_2) | instid1(SALU_CYCLE_1)
	v_cmp_gt_i64_e32 vcc_lo, s[4:5], v[174:175]
	v_mov_b32_e32 v174, 0
	s_and_b32 s34, s2, vcc_lo
	s_and_saveexec_b32 s20, s34
	s_cbranch_execz .LBB97_12
; %bb.11:                               ;   in Loop: Header=BB97_5 Depth=1
	v_add_nc_u64_e32 v[174:175], v[164:165], v[38:39]
	v_add_nc_u64_e32 v[176:177], v[166:167], v[38:39]
	global_load_u16 v5, v[174:175], off
	global_load_u16 v178, v[176:177], off
	s_wait_loadcnt 0x0
	v_dual_lshlrev_b32 v5, 16, v5 :: v_dual_lshlrev_b32 v174, 16, v178
.LBB97_12:                              ;   in Loop: Header=BB97_5 Depth=1
	s_or_b32 exec_lo, exec_lo, s20
	v_add_nc_u64_e32 v[176:177], 2, v[168:169]
	s_delay_alu instid0(VALU_DEP_1) | instskip(SKIP_1) | instid1(SALU_CYCLE_1)
	v_cmp_gt_i64_e32 vcc_lo, s[4:5], v[176:177]
	s_and_b32 s34, s2, vcc_lo
	s_and_saveexec_b32 s20, s34
	s_cbranch_execz .LBB97_14
; %bb.13:                               ;   in Loop: Header=BB97_5 Depth=1
	v_add_nc_u64_e32 v[176:177], v[160:161], v[38:39]
	v_add_nc_u64_e32 v[178:179], v[162:163], v[38:39]
	global_load_u16 v3, v[176:177], off
	global_load_u16 v175, v[178:179], off
	s_wait_loadcnt 0x1
	v_lshlrev_b32_e32 v6, 16, v3
	s_wait_loadcnt 0x0
	v_lshlrev_b32_e32 v3, 16, v175
.LBB97_14:                              ;   in Loop: Header=BB97_5 Depth=1
	s_or_b32 exec_lo, exec_lo, s20
	v_add_nc_u64_e32 v[176:177], 3, v[168:169]
	v_mov_b32_e32 v175, 0
	s_delay_alu instid0(VALU_DEP_2) | instskip(SKIP_2) | instid1(SALU_CYCLE_1)
	v_cmp_gt_i64_e32 vcc_lo, s[4:5], v[176:177]
	v_mov_b32_e32 v176, 0
	s_and_b32 s34, s2, vcc_lo
	s_and_saveexec_b32 s20, s34
	s_cbranch_execz .LBB97_16
; %bb.15:                               ;   in Loop: Header=BB97_5 Depth=1
	v_add_nc_u64_e32 v[176:177], v[156:157], v[38:39]
	v_add_nc_u64_e32 v[178:179], v[158:159], v[38:39]
	global_load_u16 v7, v[176:177], off
	global_load_u16 v180, v[178:179], off
	s_wait_loadcnt 0x0
	v_dual_lshlrev_b32 v7, 16, v7 :: v_dual_lshlrev_b32 v176, 16, v180
.LBB97_16:                              ;   in Loop: Header=BB97_5 Depth=1
	s_or_b32 exec_lo, exec_lo, s20
	v_add_nc_u64_e32 v[178:179], 4, v[168:169]
	s_delay_alu instid0(VALU_DEP_1) | instskip(SKIP_1) | instid1(SALU_CYCLE_1)
	v_cmp_gt_i64_e32 vcc_lo, s[4:5], v[178:179]
	s_and_b32 s34, s2, vcc_lo
	s_and_saveexec_b32 s20, s34
	s_cbranch_execz .LBB97_18
; %bb.17:                               ;   in Loop: Header=BB97_5 Depth=1
	v_add_nc_u64_e32 v[178:179], v[152:153], v[38:39]
	v_add_nc_u64_e32 v[180:181], v[154:155], v[38:39]
	global_load_u16 v8, v[178:179], off
	global_load_u16 v175, v[180:181], off
	s_wait_loadcnt 0x0
	v_dual_lshlrev_b32 v8, 16, v8 :: v_dual_lshlrev_b32 v175, 16, v175
.LBB97_18:                              ;   in Loop: Header=BB97_5 Depth=1
	s_or_b32 exec_lo, exec_lo, s20
	v_add_nc_u64_e32 v[178:179], 5, v[168:169]
	s_delay_alu instid0(VALU_DEP_1) | instskip(SKIP_2) | instid1(SALU_CYCLE_1)
	v_cmp_gt_i64_e32 vcc_lo, s[4:5], v[178:179]
	v_dual_mov_b32 v178, 0 :: v_dual_mov_b32 v179, 0
	s_and_b32 s34, s2, vcc_lo
	s_and_saveexec_b32 s20, s34
	s_cbranch_execz .LBB97_20
; %bb.19:                               ;   in Loop: Header=BB97_5 Depth=1
	v_add_nc_u64_e32 v[180:181], v[148:149], v[38:39]
	v_add_nc_u64_e32 v[182:183], v[150:151], v[38:39]
	global_load_u16 v9, v[180:181], off
	global_load_u16 v177, v[182:183], off
	s_wait_loadcnt 0x1
	v_lshlrev_b32_e32 v9, 16, v9
	s_wait_loadcnt 0x0
	v_lshlrev_b32_e32 v179, 16, v177
.LBB97_20:                              ;   in Loop: Header=BB97_5 Depth=1
	s_or_b32 exec_lo, exec_lo, s20
	v_add_nc_u64_e32 v[180:181], 6, v[168:169]
	s_delay_alu instid0(VALU_DEP_1) | instskip(SKIP_1) | instid1(SALU_CYCLE_1)
	v_cmp_gt_i64_e32 vcc_lo, s[4:5], v[180:181]
	s_and_b32 s34, s2, vcc_lo
	s_and_saveexec_b32 s20, s34
	s_cbranch_execz .LBB97_22
; %bb.21:                               ;   in Loop: Header=BB97_5 Depth=1
	v_add_nc_u64_e32 v[180:181], v[144:145], v[38:39]
	v_add_nc_u64_e32 v[182:183], v[146:147], v[38:39]
	global_load_u16 v10, v[180:181], off
	global_load_u16 v177, v[182:183], off
	s_wait_loadcnt 0x0
	v_dual_lshlrev_b32 v10, 16, v10 :: v_dual_lshlrev_b32 v178, 16, v177
.LBB97_22:                              ;   in Loop: Header=BB97_5 Depth=1
	s_or_b32 exec_lo, exec_lo, s20
	v_add_nc_u64_e32 v[180:181], 7, v[168:169]
	s_delay_alu instid0(VALU_DEP_1) | instskip(SKIP_2) | instid1(SALU_CYCLE_1)
	v_cmp_gt_i64_e32 vcc_lo, s[4:5], v[180:181]
	v_dual_mov_b32 v180, 0 :: v_dual_mov_b32 v181, 0
	s_and_b32 s34, s2, vcc_lo
	s_and_saveexec_b32 s20, s34
	s_cbranch_execz .LBB97_24
; %bb.23:                               ;   in Loop: Header=BB97_5 Depth=1
	v_add_nc_u64_e32 v[182:183], v[140:141], v[38:39]
	v_add_nc_u64_e32 v[184:185], v[142:143], v[38:39]
	global_load_u16 v11, v[182:183], off
	global_load_u16 v177, v[184:185], off
	s_wait_loadcnt 0x0
	v_dual_lshlrev_b32 v11, 16, v11 :: v_dual_lshlrev_b32 v181, 16, v177
.LBB97_24:                              ;   in Loop: Header=BB97_5 Depth=1
	s_or_b32 exec_lo, exec_lo, s20
	v_add_nc_u64_e32 v[182:183], 8, v[168:169]
	s_delay_alu instid0(VALU_DEP_1) | instskip(SKIP_1) | instid1(SALU_CYCLE_1)
	v_cmp_gt_i64_e32 vcc_lo, s[4:5], v[182:183]
	s_and_b32 s34, s2, vcc_lo
	s_and_saveexec_b32 s20, s34
	s_cbranch_execz .LBB97_26
; %bb.25:                               ;   in Loop: Header=BB97_5 Depth=1
	v_add_nc_u64_e32 v[182:183], v[136:137], v[38:39]
	v_add_nc_u64_e32 v[184:185], v[138:139], v[38:39]
	global_load_u16 v12, v[182:183], off
	global_load_u16 v177, v[184:185], off
	s_wait_loadcnt 0x0
	v_dual_lshlrev_b32 v12, 16, v12 :: v_dual_lshlrev_b32 v180, 16, v177
.LBB97_26:                              ;   in Loop: Header=BB97_5 Depth=1
	s_or_b32 exec_lo, exec_lo, s20
	v_add_nc_u64_e32 v[182:183], 9, v[168:169]
	s_delay_alu instid0(VALU_DEP_1) | instskip(SKIP_2) | instid1(SALU_CYCLE_1)
	v_cmp_gt_i64_e32 vcc_lo, s[4:5], v[182:183]
	v_dual_mov_b32 v182, 0 :: v_dual_mov_b32 v183, 0
	s_and_b32 s34, s2, vcc_lo
	s_and_saveexec_b32 s20, s34
	s_cbranch_execz .LBB97_28
; %bb.27:                               ;   in Loop: Header=BB97_5 Depth=1
	v_add_nc_u64_e32 v[184:185], v[132:133], v[38:39]
	v_add_nc_u64_e32 v[186:187], v[134:135], v[38:39]
	global_load_u16 v13, v[184:185], off
	global_load_u16 v177, v[186:187], off
	s_wait_loadcnt 0x1
	v_lshlrev_b32_e32 v13, 16, v13
	s_wait_loadcnt 0x0
	v_lshlrev_b32_e32 v183, 16, v177
.LBB97_28:                              ;   in Loop: Header=BB97_5 Depth=1
	s_or_b32 exec_lo, exec_lo, s20
	v_add_nc_u64_e32 v[184:185], 10, v[168:169]
	s_delay_alu instid0(VALU_DEP_1) | instskip(SKIP_1) | instid1(SALU_CYCLE_1)
	v_cmp_gt_i64_e32 vcc_lo, s[4:5], v[184:185]
	s_and_b32 s34, s2, vcc_lo
	s_and_saveexec_b32 s20, s34
	s_cbranch_execz .LBB97_30
; %bb.29:                               ;   in Loop: Header=BB97_5 Depth=1
	v_add_nc_u64_e32 v[184:185], v[128:129], v[38:39]
	v_add_nc_u64_e32 v[186:187], v[130:131], v[38:39]
	global_load_u16 v14, v[184:185], off
	global_load_u16 v177, v[186:187], off
	s_wait_loadcnt 0x0
	v_dual_lshlrev_b32 v14, 16, v14 :: v_dual_lshlrev_b32 v182, 16, v177
.LBB97_30:                              ;   in Loop: Header=BB97_5 Depth=1
	s_or_b32 exec_lo, exec_lo, s20
	v_add_nc_u64_e32 v[184:185], 11, v[168:169]
	s_delay_alu instid0(VALU_DEP_1) | instskip(SKIP_2) | instid1(SALU_CYCLE_1)
	v_cmp_gt_i64_e32 vcc_lo, s[4:5], v[184:185]
	v_dual_mov_b32 v184, 0 :: v_dual_mov_b32 v185, 0
	;; [unrolled: 64-line block ×6, first 2 shown]
	s_and_b32 s34, s2, vcc_lo
	s_and_saveexec_b32 s20, s34
	s_cbranch_execz .LBB97_64
; %bb.63:                               ;   in Loop: Header=BB97_5 Depth=1
	v_add_nc_u64_e32 v[202:203], v[60:61], v[38:39]
	v_add_nc_u64_e32 v[204:205], v[62:63], v[38:39]
	global_load_u16 v31, v[202:203], off
	global_load_u16 v177, v[204:205], off
	s_wait_loadcnt 0x0
	v_dual_lshlrev_b32 v31, 16, v31 :: v_dual_lshlrev_b32 v201, 16, v177
.LBB97_64:                              ;   in Loop: Header=BB97_5 Depth=1
	s_or_b32 exec_lo, exec_lo, s20
	v_add_nc_u64_e32 v[202:203], 28, v[168:169]
	s_delay_alu instid0(VALU_DEP_1) | instskip(SKIP_1) | instid1(SALU_CYCLE_1)
	v_cmp_gt_i64_e32 vcc_lo, s[4:5], v[202:203]
	s_and_b32 s34, s2, vcc_lo
	s_and_saveexec_b32 s20, s34
	s_cbranch_execz .LBB97_66
; %bb.65:                               ;   in Loop: Header=BB97_5 Depth=1
	v_add_nc_u64_e32 v[202:203], v[56:57], v[38:39]
	v_add_nc_u64_e32 v[204:205], v[58:59], v[38:39]
	global_load_u16 v32, v[202:203], off
	global_load_u16 v177, v[204:205], off
	s_wait_loadcnt 0x0
	v_dual_lshlrev_b32 v32, 16, v32 :: v_dual_lshlrev_b32 v200, 16, v177
.LBB97_66:                              ;   in Loop: Header=BB97_5 Depth=1
	s_or_b32 exec_lo, exec_lo, s20
	v_add_nc_u64_e32 v[202:203], 29, v[168:169]
	s_delay_alu instid0(VALU_DEP_1) | instskip(SKIP_2) | instid1(SALU_CYCLE_1)
	v_cmp_gt_i64_e32 vcc_lo, s[4:5], v[202:203]
	v_dual_mov_b32 v202, 0 :: v_dual_mov_b32 v203, 0
	s_and_b32 s34, s2, vcc_lo
	s_and_saveexec_b32 s20, s34
	s_cbranch_execz .LBB97_68
; %bb.67:                               ;   in Loop: Header=BB97_5 Depth=1
	v_add_nc_u64_e32 v[204:205], v[52:53], v[38:39]
	v_add_nc_u64_e32 v[206:207], v[54:55], v[38:39]
	global_load_u16 v33, v[204:205], off
	global_load_u16 v177, v[206:207], off
	s_wait_loadcnt 0x1
	v_lshlrev_b32_e32 v33, 16, v33
	s_wait_loadcnt 0x0
	v_lshlrev_b32_e32 v203, 16, v177
.LBB97_68:                              ;   in Loop: Header=BB97_5 Depth=1
	s_or_b32 exec_lo, exec_lo, s20
	v_add_nc_u64_e32 v[204:205], 30, v[168:169]
	s_delay_alu instid0(VALU_DEP_1) | instskip(SKIP_1) | instid1(SALU_CYCLE_1)
	v_cmp_gt_i64_e32 vcc_lo, s[4:5], v[204:205]
	s_and_b32 s34, s2, vcc_lo
	s_and_saveexec_b32 s20, s34
	s_cbranch_execz .LBB97_70
; %bb.69:                               ;   in Loop: Header=BB97_5 Depth=1
	v_add_nc_u64_e32 v[204:205], v[48:49], v[38:39]
	v_add_nc_u64_e32 v[206:207], v[50:51], v[38:39]
	global_load_u16 v34, v[204:205], off
	global_load_u16 v177, v[206:207], off
	s_wait_loadcnt 0x0
	v_dual_lshlrev_b32 v34, 16, v34 :: v_dual_lshlrev_b32 v202, 16, v177
.LBB97_70:                              ;   in Loop: Header=BB97_5 Depth=1
	s_or_b32 exec_lo, exec_lo, s20
	v_add_nc_u64_e32 v[204:205], 31, v[168:169]
	v_mov_b32_e32 v177, 0
	s_delay_alu instid0(VALU_DEP_2) | instskip(SKIP_1) | instid1(SALU_CYCLE_1)
	v_cmp_gt_i64_e32 vcc_lo, s[4:5], v[204:205]
	s_and_b32 s34, s2, vcc_lo
	s_and_saveexec_b32 s20, s34
	s_cbranch_execz .LBB97_72
; %bb.71:                               ;   in Loop: Header=BB97_5 Depth=1
	v_add_nc_u64_e32 v[204:205], v[44:45], v[38:39]
	v_add_nc_u64_e32 v[206:207], v[46:47], v[38:39]
	global_load_u16 v35, v[204:205], off
	global_load_u16 v177, v[206:207], off
	s_wait_loadcnt 0x0
	v_dual_lshlrev_b32 v35, 16, v35 :: v_dual_lshlrev_b32 v177, 16, v177
.LBB97_72:                              ;   in Loop: Header=BB97_5 Depth=1
	s_or_b32 exec_lo, exec_lo, s20
	s_wait_loadcnt 0x1
	ds_bpermute_b32 v204, v2, v170
	ds_bpermute_b32 v206, v2, v170 offset:4
	s_wait_loadcnt 0x0
	ds_bpermute_b32 v205, v2, v171
	ds_bpermute_b32 v209, v2, v170 offset:8
	ds_bpermute_b32 v207, v2, v171 offset:4
	;; [unrolled: 1-line block ×17, first 2 shown]
	s_wait_dscnt 0x13
	v_dual_sub_f32 v173, v173, v204 :: v_dual_mov_b32 v204, v4
	s_wait_dscnt 0x12
	v_sub_f32_e32 v206, v174, v206
	ds_bpermute_b32 v222, v2, v171 offset:36
	ds_bpermute_b32 v224, v2, v171 offset:40
	v_dual_mul_f32 v173, v4, v173 :: v_dual_mov_b32 v4, v5
	s_wait_dscnt 0x12
	v_dual_mov_b32 v174, v6 :: v_dual_sub_f32 v3, v3, v209
	v_mul_f32_e32 v5, v5, v206
	s_delay_alu instid0(VALU_DEP_3) | instskip(SKIP_3) | instid1(VALU_DEP_2)
	v_dual_mul_f32 v205, v173, v205 :: v_dual_mov_b32 v206, v7
	s_wait_dscnt 0xf
	v_dual_sub_f32 v173, v176, v211 :: v_dual_sub_f32 v176, v175, v213
	v_dual_mul_f32 v3, v6, v3 :: v_dual_mov_b32 v6, v8
	v_dual_mul_f32 v5, v5, v207 :: v_dual_mul_f32 v7, v7, v173
	s_set_vgpr_msb 1                        ;  msbs: dst=0 src0=1 src1=0 src2=0
	v_pk_add_f32 v[204:205], v[36:37] /*v[292:293]*/, v[204:205]
	s_wait_dscnt 0xe
	s_set_vgpr_msb 0                        ;  msbs: dst=0 src0=0 src1=0 src2=0
	v_mul_f32_e32 v175, v3, v208
	s_wait_dscnt 0xc
	v_dual_sub_f32 v3, v179, v215 :: v_dual_mul_f32 v173, v8, v176
	v_dual_mul_f32 v207, v7, v210 :: v_dual_mov_b32 v8, v10
	v_pk_add_f32 v[4:5], v[4:5], v[204:205]
	s_delay_alu instid0(VALU_DEP_3)
	v_dual_mov_b32 v204, v9 :: v_dual_mul_f32 v3, v9, v3
	s_wait_dscnt 0x8
	v_sub_f32_e32 v9, v181, v219
	ds_bpermute_b32 v176, v2, v171 offset:48
	v_pk_add_f32 v[4:5], v[174:175], v[4:5]
	v_dual_sub_f32 v174, v178, v217 :: v_dual_mul_f32 v7, v173, v212
	s_wait_dscnt 0x8
	v_dual_mul_f32 v205, v3, v214 :: v_dual_sub_f32 v3, v180, v221
	s_delay_alu instid0(VALU_DEP_3) | instskip(NEXT) | instid1(VALU_DEP_3)
	v_pk_add_f32 v[4:5], v[206:207], v[4:5]
	v_mul_f32_e32 v10, v10, v174
	ds_bpermute_b32 v173, v2, v170 offset:44
	ds_bpermute_b32 v175, v2, v170 offset:48
	s_mov_b32 s20, 0
	v_pk_add_f32 v[4:5], v[6:7], v[4:5]
	s_wait_dscnt 0x9
	v_sub_f32_e32 v6, v183, v223
	s_wait_dscnt 0x8
	v_dual_mul_f32 v7, v11, v9 :: v_dual_mul_f32 v9, v10, v216
	s_wait_dscnt 0x7
	v_dual_sub_f32 v10, v182, v225 :: v_dual_mul_f32 v3, v12, v3
	v_pk_add_f32 v[4:5], v[204:205], v[4:5]
	v_dual_mul_f32 v174, v13, v6 :: v_dual_mov_b32 v6, v11
	s_wait_dscnt 0x6
	v_mul_f32_e32 v7, v7, v218
	s_delay_alu instid0(VALU_DEP_3)
	v_pk_add_f32 v[4:5], v[8:9], v[4:5]
	s_wait_dscnt 0x4
	v_dual_mul_f32 v9, v3, v220 :: v_dual_mul_f32 v11, v174, v222
	v_mov_b32_e32 v8, v12
	ds_bpermute_b32 v12, v2, v170 offset:52
	ds_bpermute_b32 v174, v2, v170 offset:56
	v_dual_mul_f32 v3, v14, v10 :: v_dual_mov_b32 v10, v13
	v_pk_add_f32 v[4:5], v[6:7], v[4:5]
	ds_bpermute_b32 v13, v2, v171 offset:44
	s_wait_dscnt 0x6
	v_dual_mov_b32 v6, v14 :: v_dual_mul_f32 v7, v3, v224
	ds_bpermute_b32 v3, v2, v170 offset:60
	v_pk_add_f32 v[4:5], v[8:9], v[4:5]
	s_wait_dscnt 0x5
	v_sub_f32_e32 v8, v185, v173
	ds_bpermute_b32 v14, v2, v170 offset:64
	s_wait_dscnt 0x5
	v_sub_f32_e32 v9, v184, v175
	ds_bpermute_b32 v175, v2, v170 offset:72
	v_pk_add_f32 v[4:5], v[10:11], v[4:5]
	ds_bpermute_b32 v10, v2, v171 offset:52
	ds_bpermute_b32 v11, v2, v171 offset:56
	v_dual_mul_f32 v8, v15, v8 :: v_dual_mul_f32 v9, v16, v9
	v_pk_add_f32 v[4:5], v[6:7], v[4:5]
	s_wait_dscnt 0x6
	v_dual_sub_f32 v12, v187, v12 :: v_dual_sub_f32 v173, v186, v174
	v_mov_b32_e32 v6, v15
	ds_bpermute_b32 v15, v2, v171 offset:64
	s_wait_dscnt 0x6
	v_dual_mul_f32 v9, v9, v176 :: v_dual_mul_f32 v7, v8, v13
	v_dual_mul_f32 v12, v17, v12 :: v_dual_mul_f32 v13, v18, v173
	ds_bpermute_b32 v173, v2, v171 offset:60
	ds_bpermute_b32 v174, v2, v170 offset:68
	s_wait_dscnt 0x7
	v_sub_f32_e32 v3, v189, v3
	v_pk_add_f32 v[4:5], v[6:7], v[4:5]
	v_dual_mov_b32 v8, v16 :: v_dual_mov_b32 v6, v17
	ds_bpermute_b32 v16, v2, v170 offset:80
	s_wait_dscnt 0x5
	v_dual_mul_f32 v7, v12, v10 :: v_dual_mul_f32 v3, v19, v3
	s_wait_dscnt 0x4
	v_dual_mul_f32 v11, v13, v11 :: v_dual_sub_f32 v10, v188, v14
	v_pk_add_f32 v[4:5], v[8:9], v[4:5]
	ds_bpermute_b32 v12, v2, v170 offset:76
	ds_bpermute_b32 v13, v2, v171 offset:68
	;; [unrolled: 1-line block ×3, first 2 shown]
	v_dual_mul_f32 v8, v20, v10 :: v_dual_mov_b32 v10, v18
	v_pk_add_f32 v[4:5], v[6:7], v[4:5]
	ds_bpermute_b32 v17, v2, v171 offset:80
	ds_bpermute_b32 v18, v2, v170 offset:116
	s_wait_dscnt 0x7
	v_dual_mul_f32 v7, v3, v173 :: v_dual_mul_f32 v9, v8, v15
	v_pk_add_f32 v[4:5], v[10:11], v[4:5]
	ds_bpermute_b32 v11, v2, v171 offset:76
	ds_bpermute_b32 v15, v2, v170 offset:84
	s_wait_dscnt 0x8
	v_dual_sub_f32 v3, v191, v174 :: v_dual_sub_f32 v10, v190, v175
	v_dual_mov_b32 v6, v19 :: v_dual_mov_b32 v8, v20
	s_delay_alu instid0(VALU_DEP_2) | instskip(NEXT) | instid1(VALU_DEP_2)
	v_dual_mul_f32 v3, v21, v3 :: v_dual_mul_f32 v10, v22, v10
	v_pk_add_f32 v[4:5], v[6:7], v[4:5]
	s_wait_dscnt 0x6
	v_sub_f32_e32 v12, v193, v12
	s_wait_dscnt 0x5
	v_dual_mov_b32 v6, v21 :: v_dual_mul_f32 v7, v3, v13
	ds_bpermute_b32 v13, v2, v170 offset:88
	v_pk_add_f32 v[4:5], v[8:9], v[4:5]
	s_wait_dscnt 0x5
	v_dual_mul_f32 v9, v10, v14 :: v_dual_mul_f32 v3, v23, v12
	v_dual_mov_b32 v8, v22 :: v_dual_sub_f32 v10, v192, v16
	ds_bpermute_b32 v12, v2, v171 offset:84
	ds_bpermute_b32 v14, v2, v170 offset:92
	v_pk_add_f32 v[4:5], v[6:7], v[4:5]
	s_wait_dscnt 0x4
	v_dual_mul_f32 v7, v3, v11 :: v_dual_mul_f32 v3, v24, v10
	s_wait_dscnt 0x3
	v_sub_f32_e32 v10, v195, v15
	ds_bpermute_b32 v11, v2, v170 offset:96
	v_pk_add_f32 v[4:5], v[8:9], v[4:5]
	v_mov_b32_e32 v6, v23
	v_dual_mul_f32 v9, v3, v17 :: v_dual_mov_b32 v8, v24
	v_mul_f32_e32 v3, v25, v10
	ds_bpermute_b32 v10, v2, v171 offset:88
	ds_bpermute_b32 v15, v2, v171 offset:92
	ds_bpermute_b32 v16, v2, v170 offset:100
	v_pk_add_f32 v[4:5], v[6:7], v[4:5]
	ds_bpermute_b32 v17, v2, v170 offset:108
	s_wait_dscnt 0x6
	v_dual_mul_f32 v7, v3, v12 :: v_dual_sub_f32 v3, v194, v13
	v_pk_add_f32 v[4:5], v[8:9], v[4:5]
	s_wait_dscnt 0x5
	v_sub_f32_e32 v8, v197, v14
	ds_bpermute_b32 v12, v2, v171 offset:96
	ds_bpermute_b32 v13, v2, v170 offset:104
	;; [unrolled: 1-line block ×3, first 2 shown]
	v_dual_mul_f32 v3, v26, v3 :: v_dual_mov_b32 v6, v25
	s_wait_dscnt 0x7
	v_dual_mul_f32 v8, v27, v8 :: v_dual_sub_f32 v11, v196, v11
	s_delay_alu instid0(VALU_DEP_2) | instskip(SKIP_1) | instid1(VALU_DEP_2)
	v_pk_add_f32 v[4:5], v[6:7], v[4:5]
	s_wait_dscnt 0x5
	v_dual_mul_f32 v7, v3, v10 :: v_dual_mul_f32 v9, v8, v15
	s_delay_alu instid0(VALU_DEP_3)
	v_dual_mov_b32 v6, v26 :: v_dual_mul_f32 v3, v28, v11
	s_wait_dscnt 0x4
	v_sub_f32_e32 v10, v199, v16
	ds_bpermute_b32 v11, v2, v170 offset:112
	ds_bpermute_b32 v15, v2, v171 offset:104
	;; [unrolled: 1-line block ×3, first 2 shown]
	v_pk_add_f32 v[4:5], v[6:7], v[4:5]
	v_dual_mov_b32 v8, v27 :: v_dual_mul_f32 v10, v29, v10
	s_wait_dscnt 0x4
	v_dual_mul_f32 v7, v3, v12 :: v_dual_sub_f32 v3, v198, v13
	v_mov_b32_e32 v6, v28
	s_delay_alu instid0(VALU_DEP_3)
	v_pk_add_f32 v[4:5], v[8:9], v[4:5]
	s_wait_dscnt 0x3
	v_mul_f32_e32 v9, v10, v14
	ds_bpermute_b32 v10, v2, v171 offset:112
	v_dual_sub_f32 v12, v201, v17 :: v_dual_mul_f32 v3, v30, v3
	ds_bpermute_b32 v13, v2, v170 offset:120
	v_pk_add_f32 v[4:5], v[6:7], v[4:5]
	v_dual_mov_b32 v8, v29 :: v_dual_mul_f32 v12, v31, v12
	ds_bpermute_b32 v14, v2, v171 offset:116
	s_wait_dscnt 0x5
	v_dual_mov_b32 v6, v30 :: v_dual_sub_f32 v11, v200, v11
	s_wait_dscnt 0x4
	v_mul_f32_e32 v7, v3, v15
	v_pk_add_f32 v[4:5], v[8:9], v[4:5]
	s_wait_dscnt 0x3
	v_mul_f32_e32 v9, v12, v16
	ds_bpermute_b32 v12, v2, v171 offset:120
	v_dual_mul_f32 v3, v32, v11 :: v_dual_sub_f32 v11, v203, v18
	v_pk_add_f32 v[4:5], v[6:7], v[4:5]
	v_dual_mov_b32 v8, v31 :: v_dual_mov_b32 v6, v32
	s_wait_dscnt 0x3
	s_delay_alu instid0(VALU_DEP_3) | instskip(NEXT) | instid1(VALU_DEP_2)
	v_dual_mul_f32 v7, v3, v10 :: v_dual_mul_f32 v10, v33, v11
	v_pk_add_f32 v[8:9], v[8:9], v[4:5]
	s_wait_dscnt 0x2
	v_sub_f32_e32 v5, v202, v13
	ds_bpermute_b32 v3, v2, v171 offset:124
	ds_bpermute_b32 v4, v2, v170 offset:124
	s_wait_dscnt 0x3
	v_mul_f32_e32 v11, v10, v14
	v_pk_add_f32 v[6:7], v[6:7], v[8:9]
	v_dual_mov_b32 v10, v33 :: v_dual_mul_f32 v5, v34, v5
	s_wait_dscnt 0x2
	s_delay_alu instid0(VALU_DEP_1) | instskip(NEXT) | instid1(VALU_DEP_2)
	v_dual_mov_b32 v8, v34 :: v_dual_mul_f32 v9, v5, v12
	v_pk_add_f32 v[6:7], v[10:11], v[6:7]
	s_delay_alu instid0(VALU_DEP_1)
	v_pk_add_f32 v[170:171], v[8:9], v[6:7]
.LBB97_73:                              ;   in Loop: Header=BB97_5 Depth=1
	s_and_b32 vcc_lo, exec_lo, s20
	s_cbranch_vccz .LBB97_4
; %bb.74:                               ;   in Loop: Header=BB97_5 Depth=1
	s_load_b32 s20, s[22:23], 0x0
	v_mov_b32_e32 v170, 0
	s_wait_kmcnt 0x0
	s_cmp_lt_u32 s16, s20
	s_cselect_b32 s20, 12, 18
	s_delay_alu instid0(SALU_CYCLE_1)
	s_add_nc_u64 s[34:35], s[22:23], s[20:21]
	s_load_u16 s20, s[34:35], 0x0
	s_wait_dscnt 0x1
	s_wait_kmcnt 0x0
	v_mad_u32_u24 v3, v1, s20, v172
	v_mov_b32_e32 v5, v2
	s_mov_b32 s20, exec_lo
	s_wait_dscnt 0x0
	s_delay_alu instid0(VALU_DEP_2) | instskip(NEXT) | instid1(VALU_DEP_1)
	v_and_b32_e32 v4, 31, v3
	v_add_nc_u64_e32 v[4:5], v[168:169], v[4:5]
	v_dual_mov_b32 v169, 0 :: v_dual_mov_b32 v168, 0
	s_delay_alu instid0(VALU_DEP_2)
	v_cmpx_gt_i64_e64 s[4:5], v[4:5]
	s_cbranch_execz .LBB97_76
; %bb.75:                               ;   in Loop: Header=BB97_5 Depth=1
	v_lshlrev_b64_e32 v[4:5], 2, v[4:5]
	s_delay_alu instid0(VALU_DEP_1)
	v_add_nc_u64_e32 v[6:7], s[12:13], v[4:5]
	v_add_nc_u64_e32 v[4:5], s[14:15], v[4:5]
	global_load_b32 v168, v[6:7], off
	global_load_b32 v169, v[4:5], off
.LBB97_76:                              ;   in Loop: Header=BB97_5 Depth=1
	s_wait_xcnt 0x0
	s_or_b32 exec_lo, exec_lo, s20
	v_dual_mov_b32 v31, v2 :: v_dual_mov_b32 v32, v2
	v_dual_mov_b32 v33, v2 :: v_dual_mov_b32 v3, v2
	;; [unrolled: 1-line block ×15, first 2 shown]
	v_mov_b32_e32 v30, v2
	v_mov_b64_e32 v[34:35], v[32:33]
	s_delay_alu instid0(VALU_DEP_2) | instskip(NEXT) | instid1(VALU_DEP_4)
	v_mov_b64_e32 v[32:33], v[30:31]
	v_mov_b64_e32 v[30:31], v[28:29]
	;; [unrolled: 1-line block ×15, first 2 shown]
	s_and_saveexec_b32 s20, s2
	s_cbranch_execz .LBB97_78
; %bb.77:                               ;   in Loop: Header=BB97_5 Depth=1
	v_add_nc_u64_e32 v[4:5], v[40:41], v[38:39]
	v_add_nc_u64_e32 v[6:7], v[42:43], v[38:39]
	v_dual_mov_b32 v9, v2 :: v_dual_mov_b32 v10, v2
	v_dual_mov_b32 v11, v2 :: v_dual_mov_b32 v12, v2
	v_dual_mov_b32 v13, v2 :: v_dual_mov_b32 v14, v2
	global_load_u16 v3, v[4:5], off
	global_load_u16 v170, v[6:7], off
	s_wait_xcnt 0x0
	v_dual_mov_b32 v5, v2 :: v_dual_mov_b32 v6, v2
	v_dual_mov_b32 v7, v2 :: v_dual_mov_b32 v8, v2
	;; [unrolled: 1-line block ×12, first 2 shown]
	s_wait_loadcnt 0x1
	v_dual_mov_b32 v35, v2 :: v_dual_lshlrev_b32 v4, 16, v3
	s_wait_loadcnt 0x0
	v_lshlrev_b32_e32 v170, 16, v170
.LBB97_78:                              ;   in Loop: Header=BB97_5 Depth=1
	s_or_b32 exec_lo, exec_lo, s20
	v_dual_mov_b32 v3, 0 :: v_dual_mov_b32 v171, 0
	s_and_saveexec_b32 s20, s2
	s_cbranch_execz .LBB97_80
; %bb.79:                               ;   in Loop: Header=BB97_5 Depth=1
	v_add_nc_u64_e32 v[174:175], v[164:165], v[38:39]
	v_add_nc_u64_e32 v[176:177], v[166:167], v[38:39]
	global_load_u16 v5, v[174:175], off
	global_load_u16 v171, v[176:177], off
	s_wait_loadcnt 0x0
	v_dual_lshlrev_b32 v5, 16, v5 :: v_dual_lshlrev_b32 v171, 16, v171
.LBB97_80:                              ;   in Loop: Header=BB97_5 Depth=1
	s_or_b32 exec_lo, exec_lo, s20
	s_and_saveexec_b32 s20, s2
	s_cbranch_execz .LBB97_82
; %bb.81:                               ;   in Loop: Header=BB97_5 Depth=1
	v_add_nc_u64_e32 v[174:175], v[160:161], v[38:39]
	v_add_nc_u64_e32 v[176:177], v[162:163], v[38:39]
	global_load_u16 v3, v[174:175], off
	global_load_u16 v173, v[176:177], off
	s_wait_loadcnt 0x0
	v_dual_lshlrev_b32 v6, 16, v3 :: v_dual_lshlrev_b32 v3, 16, v173
.LBB97_82:                              ;   in Loop: Header=BB97_5 Depth=1
	s_or_b32 exec_lo, exec_lo, s20
	v_dual_mov_b32 v173, 0 :: v_dual_mov_b32 v174, 0
	s_and_saveexec_b32 s20, s2
	s_cbranch_execz .LBB97_84
; %bb.83:                               ;   in Loop: Header=BB97_5 Depth=1
	v_add_nc_u64_e32 v[174:175], v[156:157], v[38:39]
	v_add_nc_u64_e32 v[176:177], v[158:159], v[38:39]
	global_load_u16 v7, v[174:175], off
	global_load_u16 v178, v[176:177], off
	s_wait_loadcnt 0x0
	v_dual_lshlrev_b32 v7, 16, v7 :: v_dual_lshlrev_b32 v174, 16, v178
.LBB97_84:                              ;   in Loop: Header=BB97_5 Depth=1
	s_or_b32 exec_lo, exec_lo, s20
	s_and_saveexec_b32 s20, s2
	s_cbranch_execz .LBB97_86
; %bb.85:                               ;   in Loop: Header=BB97_5 Depth=1
	v_add_nc_u64_e32 v[176:177], v[152:153], v[38:39]
	v_add_nc_u64_e32 v[178:179], v[154:155], v[38:39]
	global_load_u16 v8, v[176:177], off
	global_load_u16 v173, v[178:179], off
	s_wait_loadcnt 0x0
	v_dual_lshlrev_b32 v8, 16, v8 :: v_dual_lshlrev_b32 v173, 16, v173
.LBB97_86:                              ;   in Loop: Header=BB97_5 Depth=1
	;; [unrolled: 23-line block ×4, first 2 shown]
	s_or_b32 exec_lo, exec_lo, s20
	v_dual_mov_b32 v180, 0 :: v_dual_mov_b32 v181, 0
	s_and_saveexec_b32 s20, s2
	s_cbranch_execz .LBB97_96
; %bb.95:                               ;   in Loop: Header=BB97_5 Depth=1
	v_add_nc_u64_e32 v[182:183], v[132:133], v[38:39]
	v_add_nc_u64_e32 v[184:185], v[134:135], v[38:39]
	global_load_u16 v13, v[182:183], off
	global_load_u16 v177, v[184:185], off
	s_wait_loadcnt 0x1
	v_lshlrev_b32_e32 v13, 16, v13
	s_wait_loadcnt 0x0
	v_lshlrev_b32_e32 v181, 16, v177
.LBB97_96:                              ;   in Loop: Header=BB97_5 Depth=1
	s_or_b32 exec_lo, exec_lo, s20
	s_and_saveexec_b32 s20, s2
	s_cbranch_execz .LBB97_98
; %bb.97:                               ;   in Loop: Header=BB97_5 Depth=1
	v_add_nc_u64_e32 v[182:183], v[128:129], v[38:39]
	v_add_nc_u64_e32 v[184:185], v[130:131], v[38:39]
	global_load_u16 v14, v[182:183], off
	global_load_u16 v177, v[184:185], off
	s_wait_loadcnt 0x0
	v_dual_lshlrev_b32 v14, 16, v14 :: v_dual_lshlrev_b32 v180, 16, v177
.LBB97_98:                              ;   in Loop: Header=BB97_5 Depth=1
	s_or_b32 exec_lo, exec_lo, s20
	v_dual_mov_b32 v182, 0 :: v_dual_mov_b32 v183, 0
	s_and_saveexec_b32 s20, s2
	s_cbranch_execz .LBB97_100
; %bb.99:                               ;   in Loop: Header=BB97_5 Depth=1
	v_add_nc_u64_e32 v[184:185], v[124:125], v[38:39]
	v_add_nc_u64_e32 v[186:187], v[126:127], v[38:39]
	global_load_u16 v15, v[184:185], off
	global_load_u16 v177, v[186:187], off
	s_wait_loadcnt 0x0
	v_dual_lshlrev_b32 v15, 16, v15 :: v_dual_lshlrev_b32 v183, 16, v177
.LBB97_100:                             ;   in Loop: Header=BB97_5 Depth=1
	s_or_b32 exec_lo, exec_lo, s20
	s_and_saveexec_b32 s20, s2
	s_cbranch_execz .LBB97_102
; %bb.101:                              ;   in Loop: Header=BB97_5 Depth=1
	v_add_nc_u64_e32 v[184:185], v[120:121], v[38:39]
	v_add_nc_u64_e32 v[186:187], v[122:123], v[38:39]
	global_load_u16 v16, v[184:185], off
	global_load_u16 v177, v[186:187], off
	s_wait_loadcnt 0x0
	v_dual_lshlrev_b32 v16, 16, v16 :: v_dual_lshlrev_b32 v182, 16, v177
.LBB97_102:                             ;   in Loop: Header=BB97_5 Depth=1
	s_or_b32 exec_lo, exec_lo, s20
	v_dual_mov_b32 v184, 0 :: v_dual_mov_b32 v185, 0
	s_and_saveexec_b32 s20, s2
	s_cbranch_execz .LBB97_104
; %bb.103:                              ;   in Loop: Header=BB97_5 Depth=1
	v_add_nc_u64_e32 v[186:187], v[116:117], v[38:39]
	v_add_nc_u64_e32 v[188:189], v[118:119], v[38:39]
	global_load_u16 v17, v[186:187], off
	global_load_u16 v177, v[188:189], off
	s_wait_loadcnt 0x1
	v_lshlrev_b32_e32 v17, 16, v17
	s_wait_loadcnt 0x0
	v_lshlrev_b32_e32 v185, 16, v177
.LBB97_104:                             ;   in Loop: Header=BB97_5 Depth=1
	s_or_b32 exec_lo, exec_lo, s20
	s_and_saveexec_b32 s20, s2
	s_cbranch_execz .LBB97_106
; %bb.105:                              ;   in Loop: Header=BB97_5 Depth=1
	v_add_nc_u64_e32 v[186:187], v[112:113], v[38:39]
	v_add_nc_u64_e32 v[188:189], v[114:115], v[38:39]
	global_load_u16 v18, v[186:187], off
	global_load_u16 v177, v[188:189], off
	s_wait_loadcnt 0x0
	v_dual_lshlrev_b32 v18, 16, v18 :: v_dual_lshlrev_b32 v184, 16, v177
.LBB97_106:                             ;   in Loop: Header=BB97_5 Depth=1
	s_or_b32 exec_lo, exec_lo, s20
	v_dual_mov_b32 v186, 0 :: v_dual_mov_b32 v187, 0
	s_and_saveexec_b32 s20, s2
	s_cbranch_execz .LBB97_108
; %bb.107:                              ;   in Loop: Header=BB97_5 Depth=1
	v_add_nc_u64_e32 v[188:189], v[108:109], v[38:39]
	v_add_nc_u64_e32 v[190:191], v[110:111], v[38:39]
	global_load_u16 v19, v[188:189], off
	global_load_u16 v177, v[190:191], off
	s_wait_loadcnt 0x0
	v_dual_lshlrev_b32 v19, 16, v19 :: v_dual_lshlrev_b32 v187, 16, v177
.LBB97_108:                             ;   in Loop: Header=BB97_5 Depth=1
	s_or_b32 exec_lo, exec_lo, s20
	s_and_saveexec_b32 s20, s2
	s_cbranch_execz .LBB97_110
; %bb.109:                              ;   in Loop: Header=BB97_5 Depth=1
	v_add_nc_u64_e32 v[188:189], v[104:105], v[38:39]
	v_add_nc_u64_e32 v[190:191], v[106:107], v[38:39]
	global_load_u16 v20, v[188:189], off
	global_load_u16 v177, v[190:191], off
	s_wait_loadcnt 0x0
	v_dual_lshlrev_b32 v20, 16, v20 :: v_dual_lshlrev_b32 v186, 16, v177
.LBB97_110:                             ;   in Loop: Header=BB97_5 Depth=1
	s_or_b32 exec_lo, exec_lo, s20
	v_dual_mov_b32 v188, 0 :: v_dual_mov_b32 v189, 0
	s_and_saveexec_b32 s20, s2
	s_cbranch_execz .LBB97_112
; %bb.111:                              ;   in Loop: Header=BB97_5 Depth=1
	v_add_nc_u64_e32 v[190:191], v[100:101], v[38:39]
	v_add_nc_u64_e32 v[192:193], v[102:103], v[38:39]
	global_load_u16 v21, v[190:191], off
	global_load_u16 v177, v[192:193], off
	s_wait_loadcnt 0x1
	v_lshlrev_b32_e32 v21, 16, v21
	s_wait_loadcnt 0x0
	v_lshlrev_b32_e32 v189, 16, v177
.LBB97_112:                             ;   in Loop: Header=BB97_5 Depth=1
	s_or_b32 exec_lo, exec_lo, s20
	s_and_saveexec_b32 s20, s2
	s_cbranch_execz .LBB97_114
; %bb.113:                              ;   in Loop: Header=BB97_5 Depth=1
	v_add_nc_u64_e32 v[190:191], v[96:97], v[38:39]
	v_add_nc_u64_e32 v[192:193], v[98:99], v[38:39]
	global_load_u16 v22, v[190:191], off
	global_load_u16 v177, v[192:193], off
	s_wait_loadcnt 0x0
	v_dual_lshlrev_b32 v22, 16, v22 :: v_dual_lshlrev_b32 v188, 16, v177
.LBB97_114:                             ;   in Loop: Header=BB97_5 Depth=1
	s_or_b32 exec_lo, exec_lo, s20
	v_dual_mov_b32 v190, 0 :: v_dual_mov_b32 v192, 0
	s_and_saveexec_b32 s20, s2
	s_cbranch_execz .LBB97_116
; %bb.115:                              ;   in Loop: Header=BB97_5 Depth=1
	v_add_nc_u64_e32 v[192:193], v[92:93], v[38:39]
	v_add_nc_u64_e32 v[194:195], v[94:95], v[38:39]
	global_load_u16 v23, v[192:193], off
	global_load_u16 v177, v[194:195], off
	s_wait_loadcnt 0x0
	v_dual_lshlrev_b32 v23, 16, v23 :: v_dual_lshlrev_b32 v192, 16, v177
.LBB97_116:                             ;   in Loop: Header=BB97_5 Depth=1
	;; [unrolled: 48-line block ×4, first 2 shown]
	s_or_b32 exec_lo, exec_lo, s20
	s_and_saveexec_b32 s20, s2
	s_cbranch_execz .LBB97_134
; %bb.133:                              ;   in Loop: Header=BB97_5 Depth=1
	v_add_nc_u64_e32 v[200:201], v[56:57], v[38:39]
	v_add_nc_u64_e32 v[202:203], v[58:59], v[38:39]
	global_load_u16 v32, v[200:201], off
	global_load_u16 v177, v[202:203], off
	s_wait_loadcnt 0x0
	v_dual_lshlrev_b32 v32, 16, v32 :: v_dual_lshlrev_b32 v198, 16, v177
.LBB97_134:                             ;   in Loop: Header=BB97_5 Depth=1
	s_or_b32 exec_lo, exec_lo, s20
	v_dual_mov_b32 v200, 0 :: v_dual_mov_b32 v201, 0
	s_and_saveexec_b32 s20, s2
	s_cbranch_execnz .LBB97_137
; %bb.135:                              ;   in Loop: Header=BB97_5 Depth=1
	s_or_b32 exec_lo, exec_lo, s20
	s_and_saveexec_b32 s20, s2
	s_cbranch_execnz .LBB97_138
.LBB97_136:                             ;   in Loop: Header=BB97_5 Depth=1
	s_or_b32 exec_lo, exec_lo, s20
	v_mov_b32_e32 v177, 0
	s_and_saveexec_b32 s20, s2
	s_cbranch_execz .LBB97_3
	s_branch .LBB97_139
.LBB97_137:                             ;   in Loop: Header=BB97_5 Depth=1
	v_add_nc_u64_e32 v[202:203], v[52:53], v[38:39]
	v_add_nc_u64_e32 v[204:205], v[54:55], v[38:39]
	global_load_u16 v33, v[202:203], off
	global_load_u16 v177, v[204:205], off
	s_wait_loadcnt 0x1
	v_lshlrev_b32_e32 v33, 16, v33
	s_wait_loadcnt 0x0
	v_lshlrev_b32_e32 v201, 16, v177
	s_or_b32 exec_lo, exec_lo, s20
	s_and_saveexec_b32 s20, s2
	s_cbranch_execz .LBB97_136
.LBB97_138:                             ;   in Loop: Header=BB97_5 Depth=1
	v_add_nc_u64_e32 v[202:203], v[48:49], v[38:39]
	v_add_nc_u64_e32 v[204:205], v[50:51], v[38:39]
	global_load_u16 v34, v[202:203], off
	global_load_u16 v177, v[204:205], off
	s_wait_loadcnt 0x0
	v_dual_lshlrev_b32 v34, 16, v34 :: v_dual_lshlrev_b32 v200, 16, v177
	s_or_b32 exec_lo, exec_lo, s20
	v_mov_b32_e32 v177, 0
	s_and_saveexec_b32 s20, s2
	s_cbranch_execz .LBB97_3
.LBB97_139:                             ;   in Loop: Header=BB97_5 Depth=1
	v_add_nc_u64_e32 v[202:203], v[44:45], v[38:39]
	v_add_nc_u64_e32 v[204:205], v[46:47], v[38:39]
	global_load_u16 v35, v[202:203], off
	global_load_u16 v177, v[204:205], off
	s_wait_loadcnt 0x0
	v_dual_lshlrev_b32 v35, 16, v35 :: v_dual_lshlrev_b32 v177, 16, v177
	s_branch .LBB97_3
.LBB97_140:
                                        ; implicit-def: $vgpr292_vgpr293
	s_branch .LBB97_143
.LBB97_141:
	s_set_vgpr_msb 64                       ;  msbs: dst=1 src0=0 src1=0 src2=0
	v_mov_b64_e32 v[36:37] /*v[292:293]*/, 0
.LBB97_142:
	s_set_vgpr_msb 0                        ;  msbs: dst=0 src0=0 src1=0 src2=0
	s_cbranch_execnz .LBB97_219
.LBB97_143:
	s_and_not1_b32 vcc_lo, exec_lo, s17
	s_cbranch_vccnz .LBB97_218
; %bb.144:
	v_bfe_u32 v1, v0, 10, 10
	v_mov_b32_e32 v2, 0
	s_set_vgpr_msb 64                       ;  msbs: dst=1 src0=0 src1=0 src2=0
	v_and_b32_e32 v42 /*v298*/, 0x3ff, v0
	s_load_b32 s2, s[0:1], 0x44
	s_add_nc_u64 s[20:21], s[0:1], 64
	s_set_vgpr_msb 0                        ;  msbs: dst=0 src0=0 src1=0 src2=0
	v_dual_mov_b32 v5, v2 :: v_dual_lshlrev_b32 v4, 6, v1
	v_dual_mov_b32 v145, v2 :: v_dual_lshlrev_b32 v144, 5, v1
	s_set_vgpr_msb 64                       ;  msbs: dst=1 src0=0 src1=0 src2=0
	v_dual_mov_b32 v38 /*v294*/, 0 :: v_dual_mov_b32 v39 /*v295*/, v2
	s_set_vgpr_msb 0                        ;  msbs: dst=0 src0=0 src1=0 src2=0
	v_lshl_add_u64 v[4:5], s[18:19], 1, v[4:5]
	s_delay_alu instid0(VALU_DEP_1)
	v_add_nc_u64_e32 v[6:7], 2, v[4:5]
	v_add_nc_u64_e32 v[8:9], 4, v[4:5]
	;; [unrolled: 1-line block ×7, first 2 shown]
	v_mad_nc_u64_u32 v[36:37], s6, v6, s[8:9]
	v_mul_lo_u32 v3, s6, v7
	v_mul_lo_u32 v7, s7, v6
	v_mad_nc_u64_u32 v[38:39], s6, v6, s[10:11]
	v_mad_nc_u64_u32 v[40:41], s6, v8, s[8:9]
	v_mul_lo_u32 v6, s6, v9
	v_mul_lo_u32 v9, s7, v8
	v_mad_nc_u64_u32 v[44:45], s6, v8, s[10:11]
	;; [unrolled: 4-line block ×4, first 2 shown]
	v_mad_nc_u64_u32 v[52:53], s6, v14, s[8:9]
	v_mul_lo_u32 v12, s6, v15
	v_add3_u32 v37, v7, v37, v3
	v_add3_u32 v39, v7, v39, v3
	v_mul_lo_u32 v3, s7, v14
	v_mad_nc_u64_u32 v[54:55], s6, v14, s[10:11]
	v_add3_u32 v41, v9, v41, v6
	v_add3_u32 v45, v9, v45, v6
	v_add_nc_u64_e32 v[6:7], 16, v[4:5]
	v_mul_lo_u32 v14, s7, v16
	v_mad_nc_u64_u32 v[56:57], s6, v16, s[8:9]
	v_mad_nc_u64_u32 v[58:59], s6, v16, s[10:11]
	v_mul_lo_u32 v15, s6, v19
	v_mul_lo_u32 v16, s7, v18
	v_mad_nc_u64_u32 v[60:61], s6, v18, s[8:9]
	v_mad_nc_u64_u32 v[62:63], s6, v18, s[10:11]
	v_add3_u32 v43, v11, v43, v8
	v_add3_u32 v47, v11, v47, v8
	v_add3_u32 v49, v13, v49, v10
	v_add3_u32 v51, v13, v51, v10
	v_add3_u32 v53, v3, v53, v12
	v_add3_u32 v55, v3, v55, v12
	v_mul_lo_u32 v3, s6, v7
	v_mul_lo_u32 v12, s7, v6
	v_mad_nc_u64_u32 v[64:65], s6, v6, s[8:9]
	v_add_nc_u64_e32 v[10:11], 20, v[4:5]
	v_mad_nc_u64_u32 v[66:67], s6, v6, s[10:11]
	v_add_nc_u64_e32 v[6:7], 22, v[4:5]
	v_add3_u32 v61, v16, v61, v15
	v_add3_u32 v63, v16, v63, v15
	v_mul_lo_u32 v9, s6, v17
	s_wait_kmcnt 0x0
	s_lshl_b32 s22, s2, 5
	v_mul_lo_u32 v11, s6, v11
	v_mul_lo_u32 v15, s7, v10
	v_mad_nc_u64_u32 v[72:73], s6, v10, s[8:9]
	v_mad_nc_u64_u32 v[74:75], s6, v10, s[10:11]
	v_mul_lo_u32 v10, s6, v7
	v_mul_lo_u32 v16, s7, v6
	v_mad_nc_u64_u32 v[76:77], s6, v6, s[8:9]
	v_mad_nc_u64_u32 v[78:79], s6, v6, s[10:11]
	v_add_nc_u64_e32 v[6:7], 26, v[4:5]
	v_add3_u32 v65, v12, v65, v3
	v_add3_u32 v67, v12, v67, v3
	;; [unrolled: 1-line block ×6, first 2 shown]
	v_mul_lo_u32 v3, s6, v7
	v_mul_lo_u32 v12, s7, v6
	v_add3_u32 v77, v16, v77, v10
	v_add3_u32 v79, v16, v79, v10
	v_mad_nc_u64_u32 v[84:85], s6, v6, s[8:9]
	v_add_nc_u64_e32 v[10:11], 30, v[4:5]
	v_mad_nc_u64_u32 v[86:87], s6, v6, s[10:11]
	v_add_nc_u64_e32 v[6:7], 32, v[4:5]
	v_add_nc_u64_e32 v[8:9], 18, v[4:5]
	s_delay_alu instid0(VALU_DEP_4)
	v_mul_lo_u32 v11, s6, v11
	v_mul_lo_u32 v15, s7, v10
	v_mad_nc_u64_u32 v[92:93], s6, v10, s[8:9]
	v_mad_nc_u64_u32 v[94:95], s6, v10, s[10:11]
	v_mul_lo_u32 v10, s6, v7
	v_mul_lo_u32 v16, s7, v6
	v_mad_nc_u64_u32 v[96:97], s6, v6, s[8:9]
	v_mad_nc_u64_u32 v[98:99], s6, v6, s[10:11]
	v_add_nc_u64_e32 v[6:7], 36, v[4:5]
	v_add3_u32 v85, v12, v85, v3
	v_add3_u32 v87, v12, v87, v3
	v_mul_lo_u32 v13, s6, v9
	v_mul_lo_u32 v14, s7, v8
	v_add3_u32 v93, v15, v93, v11
	v_add3_u32 v95, v15, v95, v11
	v_mul_lo_u32 v3, s6, v7
	v_mul_lo_u32 v12, s7, v6
	v_add3_u32 v97, v16, v97, v10
	v_add3_u32 v99, v16, v99, v10
	v_mad_nc_u64_u32 v[104:105], s6, v6, s[8:9]
	v_add_nc_u64_e32 v[10:11], 40, v[4:5]
	v_mad_nc_u64_u32 v[106:107], s6, v6, s[10:11]
	v_add_nc_u64_e32 v[6:7], 42, v[4:5]
	v_mad_nc_u64_u32 v[68:69], s6, v8, s[8:9]
	v_mad_nc_u64_u32 v[70:71], s6, v8, s[10:11]
	v_add_nc_u64_e32 v[8:9], 24, v[4:5]
	v_mul_lo_u32 v11, s6, v11
	v_mul_lo_u32 v15, s7, v10
	v_mad_nc_u64_u32 v[112:113], s6, v10, s[8:9]
	v_mad_nc_u64_u32 v[114:115], s6, v10, s[10:11]
	v_mul_lo_u32 v10, s6, v7
	v_mul_lo_u32 v16, s7, v6
	v_mad_nc_u64_u32 v[116:117], s6, v6, s[8:9]
	v_mad_nc_u64_u32 v[118:119], s6, v6, s[10:11]
	;; [unrolled: 4-line block ×3, first 2 shown]
	v_add_nc_u64_e32 v[8:9], 28, v[4:5]
	v_add_nc_u64_e32 v[6:7], 46, v[4:5]
	v_add3_u32 v69, v14, v69, v13
	v_add3_u32 v71, v14, v71, v13
	;; [unrolled: 1-line block ×5, first 2 shown]
	v_mul_lo_u32 v13, s6, v9
	v_mul_lo_u32 v14, s7, v8
	v_mad_nc_u64_u32 v[88:89], s6, v8, s[8:9]
	v_mad_nc_u64_u32 v[90:91], s6, v8, s[10:11]
	v_add_nc_u64_e32 v[8:9], 34, v[4:5]
	v_add3_u32 v115, v15, v115, v11
	v_add3_u32 v117, v16, v117, v10
	;; [unrolled: 1-line block ×3, first 2 shown]
	v_mul_lo_u32 v3, s6, v7
	v_mul_lo_u32 v12, s7, v6
	v_mad_nc_u64_u32 v[124:125], s6, v6, s[8:9]
	v_add_nc_u64_e32 v[10:11], 50, v[4:5]
	v_mad_nc_u64_u32 v[126:127], s6, v6, s[10:11]
	v_add_nc_u64_e32 v[6:7], 52, v[4:5]
	v_add3_u32 v81, v18, v81, v17
	v_add3_u32 v83, v18, v83, v17
	v_mul_lo_u32 v17, s6, v9
	v_mul_lo_u32 v18, s7, v8
	v_mad_nc_u64_u32 v[100:101], s6, v8, s[8:9]
	v_mad_nc_u64_u32 v[102:103], s6, v8, s[10:11]
	v_add_nc_u64_e32 v[8:9], 38, v[4:5]
	v_mul_lo_u32 v15, s7, v10
	v_mad_nc_u64_u32 v[132:133], s6, v10, s[8:9]
	v_mad_nc_u64_u32 v[134:135], s6, v10, s[10:11]
	v_mul_lo_u32 v10, s6, v7
	v_mul_lo_u32 v16, s7, v6
	v_mad_nc_u64_u32 v[136:137], s6, v6, s[8:9]
	v_mad_nc_u64_u32 v[138:139], s6, v6, s[10:11]
	v_add3_u32 v89, v14, v89, v13
	v_add3_u32 v91, v14, v91, v13
	v_mul_lo_u32 v13, s6, v9
	v_mul_lo_u32 v14, s7, v8
	v_mad_nc_u64_u32 v[108:109], s6, v8, s[8:9]
	v_mad_nc_u64_u32 v[110:111], s6, v8, s[10:11]
	v_add_nc_u64_e32 v[8:9], 44, v[4:5]
	v_add_nc_u64_e32 v[6:7], 56, v[4:5]
	v_add3_u32 v101, v18, v101, v17
	v_add3_u32 v103, v18, v103, v17
	;; [unrolled: 1-line block ×5, first 2 shown]
	v_mul_lo_u32 v17, s6, v9
	v_mul_lo_u32 v18, s7, v8
	v_mad_nc_u64_u32 v[120:121], s6, v8, s[8:9]
	v_mad_nc_u64_u32 v[122:123], s6, v8, s[10:11]
	v_add_nc_u64_e32 v[8:9], 48, v[4:5]
	v_add3_u32 v139, v16, v139, v10
	v_mul_lo_u32 v3, s6, v7
	v_mul_lo_u32 v16, s7, v6
	v_mad_nc_u64_u32 v[146:147], s6, v6, s[8:9]
	v_mad_nc_u64_u32 v[148:149], s6, v6, s[10:11]
	v_add3_u32 v109, v14, v109, v13
	v_add3_u32 v111, v14, v111, v13
	v_mul_lo_u32 v13, s6, v9
	v_mul_lo_u32 v14, s7, v8
	v_mad_nc_u64_u32 v[128:129], s6, v8, s[8:9]
	v_mad_nc_u64_u32 v[130:131], s6, v8, s[10:11]
	v_mul_lo_u32 v11, s6, v11
	v_add_nc_u64_e32 v[8:9], 54, v[4:5]
	v_add3_u32 v121, v18, v121, v17
	v_add3_u32 v147, v16, v147, v3
	;; [unrolled: 1-line block ×3, first 2 shown]
	s_set_vgpr_msb 4                        ;  msbs: dst=0 src0=0 src1=1 src2=0
	v_add_nc_u32_e32 v16, s3, v42 /*v298*/
	s_set_vgpr_msb 0                        ;  msbs: dst=0 src0=0 src1=0 src2=0
	v_add_nc_u64_e32 v[6:7], s[18:19], v[144:145]
	v_add3_u32 v123, v18, v123, v17
	v_mul_lo_u32 v17, s6, v9
	v_mul_lo_u32 v18, s7, v8
	v_mad_nc_u64_u32 v[140:141], s6, v8, s[8:9]
	v_mad_nc_u64_u32 v[142:143], s6, v8, s[10:11]
	v_add_nc_u64_e32 v[8:9], 58, v[4:5]
	v_add3_u32 v129, v14, v129, v13
	v_add3_u32 v131, v14, v131, v13
	;; [unrolled: 1-line block ×4, first 2 shown]
	v_mul_u64_e32 v[14:15], s[6:7], v[6:7]
	v_add_nc_u64_e32 v[10:11], 60, v[4:5]
	v_mul_lo_u32 v19, s6, v9
	v_mul_lo_u32 v20, s7, v8
	v_mad_nc_u64_u32 v[150:151], s6, v8, s[8:9]
	v_mad_nc_u64_u32 v[152:153], s6, v8, s[10:11]
	v_add_nc_u64_e32 v[8:9], 31, v[6:7]
	v_add_nc_u64_e32 v[4:5], 62, v[4:5]
	v_mul_lo_u32 v21, s6, v11
	v_mul_lo_u32 v22, s7, v10
	v_add_nc_u64_e32 v[12:13], 30, v[6:7]
	v_mad_nc_u64_u32 v[154:155], s6, v10, s[8:9]
	v_mad_nc_u64_u32 v[156:157], s6, v10, s[10:11]
	v_mul_u64_e32 v[8:9], s[6:7], v[8:9]
	v_add_nc_u64_e32 v[10:11], 29, v[6:7]
	v_mul_lo_u32 v23, s6, v5
	v_mul_lo_u32 v24, s7, v4
	v_mul_u64_e32 v[12:13], s[6:7], v[12:13]
	v_mad_nc_u64_u32 v[158:159], s6, v4, s[8:9]
	v_mad_nc_u64_u32 v[160:161], s6, v4, s[10:11]
	v_add3_u32 v141, v18, v141, v17
	v_mul_u64_e32 v[4:5], s[6:7], v[10:11]
	v_add_nc_u64_e32 v[10:11], 28, v[6:7]
	v_add3_u32 v143, v18, v143, v17
	v_mov_b32_e32 v17, v2
	v_add3_u32 v151, v20, v151, v19
	v_add3_u32 v153, v20, v153, v19
	v_add_nc_u64_e32 v[18:19], 27, v[6:7]
	v_add3_u32 v155, v22, v155, v21
	v_mul_u64_e32 v[10:11], s[6:7], v[10:11]
	v_lshlrev_b64_e32 v[162:163], 1, v[16:17]
	v_add_nc_u64_e32 v[16:17], 26, v[6:7]
	v_add3_u32 v157, v22, v157, v21
	v_add3_u32 v159, v24, v159, v23
	;; [unrolled: 1-line block ×3, first 2 shown]
	v_mul_u64_e32 v[18:19], s[6:7], v[18:19]
	v_add_nc_u64_e32 v[22:23], 24, v[6:7]
	v_lshlrev_b64_e32 v[24:25], 1, v[14:15]
	v_mul_u64_e32 v[16:17], s[6:7], v[16:17]
	v_add_nc_u64_e32 v[26:27], 23, v[6:7]
	v_add_nc_u64_e32 v[20:21], 25, v[6:7]
	;; [unrolled: 1-line block ×4, first 2 shown]
	v_mul_u64_e32 v[22:23], s[6:7], v[22:23]
	v_add_nc_u64_e32 v[164:165], s[8:9], v[24:25]
	v_add_nc_u64_e32 v[166:167], s[10:11], v[24:25]
	v_mul_u64_e32 v[24:25], s[6:7], v[26:27]
	v_lshlrev_b64_e32 v[8:9], 1, v[8:9]
	v_mul_u64_e32 v[20:21], s[6:7], v[20:21]
	v_add_nc_u64_e32 v[26:27], 20, v[6:7]
	v_lshlrev_b64_e32 v[12:13], 1, v[12:13]
	v_add_nc_u64_e32 v[30:31], 21, v[6:7]
	v_mul_u64_e32 v[28:29], s[6:7], v[28:29]
	v_add_nc_u64_e32 v[34:35], 18, v[6:7]
	v_add_nc_u64_e32 v[168:169], s[8:9], v[8:9]
	;; [unrolled: 1-line block ×3, first 2 shown]
	v_mul_u64_e32 v[26:27], s[6:7], v[26:27]
	v_add_nc_u64_e32 v[170:171], s[10:11], v[8:9]
	v_mul_u64_e32 v[8:9], s[6:7], v[32:33]
	v_lshlrev_b64_e32 v[4:5], 1, v[4:5]
	v_mul_u64_e32 v[30:31], s[6:7], v[30:31]
	v_lshlrev_b64_e32 v[10:11], 1, v[10:11]
	v_add_nc_u64_e32 v[172:173], s[8:9], v[12:13]
	v_mul_u64_e32 v[32:33], s[6:7], v[34:35]
	v_add_nc_u64_e32 v[174:175], s[10:11], v[12:13]
	v_mul_u64_e32 v[12:13], s[6:7], v[178:179]
	v_add_nc_u64_e32 v[176:177], s[8:9], v[4:5]
	v_add_nc_u64_e32 v[178:179], s[10:11], v[4:5]
	;; [unrolled: 1-line block ×3, first 2 shown]
	v_lshlrev_b64_e32 v[18:19], 1, v[18:19]
	v_add_nc_u64_e32 v[180:181], s[8:9], v[10:11]
	v_add_nc_u64_e32 v[182:183], s[10:11], v[10:11]
	v_lshlrev_b64_e32 v[10:11], 1, v[16:17]
	v_add_nc_u64_e32 v[34:35], 15, v[6:7]
	s_mov_b32 s3, 0
	v_mul_u64_e32 v[4:5], s[6:7], v[4:5]
	v_add_nc_u64_e32 v[184:185], s[8:9], v[18:19]
	v_add_nc_u64_e32 v[186:187], s[10:11], v[18:19]
	v_lshlrev_b64_e32 v[18:19], 1, v[22:23]
	v_add_nc_u64_e32 v[188:189], s[8:9], v[10:11]
	v_add_nc_u64_e32 v[190:191], s[10:11], v[10:11]
	v_lshlrev_b64_e32 v[10:11], 1, v[24:25]
	;; [unrolled: 3-line block ×3, first 2 shown]
	v_add_nc_u64_e32 v[196:197], s[8:9], v[18:19]
	v_add_nc_u64_e32 v[198:199], s[10:11], v[18:19]
	v_mul_u64_e32 v[20:21], s[6:7], v[34:35]
	v_add_nc_u64_e32 v[200:201], s[8:9], v[10:11]
	v_mul_u64_e32 v[22:23], s[6:7], v[22:23]
	v_mul_u64_e32 v[24:25], s[6:7], v[24:25]
	v_add_nc_u64_e32 v[192:193], s[8:9], v[16:17]
	v_add_nc_u64_e32 v[194:195], s[10:11], v[16:17]
	v_lshlrev_b64_e32 v[16:17], 1, v[28:29]
	v_add_nc_u64_e32 v[202:203], s[10:11], v[10:11]
	v_lshlrev_b64_e32 v[10:11], 1, v[26:27]
	v_lshlrev_b64_e32 v[8:9], 1, v[8:9]
	v_add_nc_u64_e32 v[26:27], 11, v[6:7]
	v_lshlrev_b64_e32 v[18:19], 1, v[30:31]
	v_lshlrev_b64_e32 v[12:13], 1, v[12:13]
	v_add_nc_u64_e32 v[204:205], s[8:9], v[16:17]
	v_add_nc_u64_e32 v[206:207], s[10:11], v[16:17]
	v_lshlrev_b64_e32 v[16:17], 1, v[32:33]
	v_add_nc_u64_e32 v[212:213], s[8:9], v[10:11]
	v_add_nc_u64_e32 v[214:215], s[10:11], v[10:11]
	;; [unrolled: 1-line block ×4, first 2 shown]
	v_mul_u64_e32 v[26:27], s[6:7], v[26:27]
	v_add_nc_u64_e32 v[28:29], 9, v[6:7]
	v_add_nc_u64_e32 v[30:31], 8, v[6:7]
	;; [unrolled: 1-line block ×5, first 2 shown]
	v_mul_u64_e32 v[10:11], s[6:7], v[10:11]
	v_add_nc_u64_e32 v[222:223], s[10:11], v[16:17]
	v_mul_u64_e32 v[16:17], s[6:7], v[28:29]
	v_mul_u64_e32 v[28:29], s[6:7], v[30:31]
	v_add_nc_u64_e32 v[30:31], 6, v[6:7]
	v_mul_u64_e32 v[8:9], s[6:7], v[8:9]
	v_add_nc_u64_e32 v[32:33], 5, v[6:7]
	v_add_nc_u64_e32 v[224:225], s[8:9], v[12:13]
	;; [unrolled: 1-line block ×7, first 2 shown]
	v_lshlrev_b64_e32 v[4:5], 1, v[4:5]
	v_mul_u64_e32 v[30:31], s[6:7], v[30:31]
	v_mul_u64_e32 v[32:33], s[6:7], v[32:33]
	v_add_nc_u64_e32 v[34:35], 3, v[6:7]
	v_add_nc_u64_e32 v[6:7], 2, v[6:7]
	v_mul_u64_e32 v[12:13], s[6:7], v[12:13]
	v_mul_u64_e32 v[18:19], s[6:7], v[18:19]
	v_add_nc_u64_e32 v[228:229], s[8:9], v[4:5]
	v_add_nc_u64_e32 v[230:231], s[10:11], v[4:5]
	v_lshlrev_b64_e32 v[4:5], 1, v[22:23]
	v_lshlrev_b64_e32 v[22:23], 1, v[24:25]
	v_mul_u64_e32 v[24:25], s[6:7], v[34:35]
	v_mul_u64_e32 v[6:7], s[6:7], v[6:7]
	v_lshlrev_b64_e32 v[20:21], 1, v[20:21]
	s_mov_b32 s23, s3
	v_add_nc_u64_e32 v[236:237], s[8:9], v[4:5]
	v_add_nc_u64_e32 v[238:239], s[10:11], v[4:5]
	v_lshlrev_b64_e32 v[4:5], 1, v[26:27]
	v_lshlrev_b64_e32 v[10:11], 1, v[10:11]
	v_add_nc_u64_e32 v[232:233], s[8:9], v[20:21]
	v_lshlrev_b64_e32 v[16:17], 1, v[16:17]
	v_add_nc_u64_e32 v[234:235], s[10:11], v[20:21]
	v_add_nc_u64_e32 v[240:241], s[8:9], v[22:23]
	v_lshlrev_b64_e32 v[8:9], 1, v[8:9]
	v_add_nc_u64_e32 v[248:249], s[8:9], v[4:5]
	;; [unrolled: 3-line block ×3, first 2 shown]
	v_add_nc_u64_e32 v[254:255], s[10:11], v[10:11]
	v_add_nc_u64_e32 v[242:243], s[10:11], v[22:23]
	s_set_vgpr_msb 64                       ;  msbs: dst=1 src0=0 src1=0 src2=0
	v_add_nc_u64_e32 v[8:9] /*v[264:265]*/, s[8:9], v[8:9]
	v_add_nc_u64_e32 v[10:11] /*v[266:267]*/, s[10:11], v[8:9]
	s_set_vgpr_msb 0                        ;  msbs: dst=0 src0=0 src1=0 src2=0
	v_lshlrev_b64_e32 v[10:11], 1, v[30:31]
	s_set_vgpr_msb 64                       ;  msbs: dst=1 src0=0 src1=0 src2=0
	v_add_nc_u64_e32 v[4:5] /*v[260:261]*/, s[8:9], v[4:5]
	v_add_nc_u64_e32 v[6:7] /*v[262:263]*/, s[10:11], v[4:5]
	s_set_vgpr_msb 0                        ;  msbs: dst=0 src0=0 src1=0 src2=0
	v_lshlrev_b64_e32 v[4:5], 1, v[32:33]
	v_lshlrev_b64_e32 v[8:9], 1, v[12:13]
	v_add_nc_u64_e32 v[12:13], s[6:7], v[14:15]
	v_lshlrev_b64_e32 v[18:19], 1, v[18:19]
	s_set_vgpr_msb 64                       ;  msbs: dst=1 src0=0 src1=0 src2=0
	v_add_nc_u64_e32 v[12:13] /*v[268:269]*/, s[8:9], v[10:11]
	v_add_nc_u64_e32 v[14:15] /*v[270:271]*/, s[10:11], v[10:11]
	;; [unrolled: 1-line block ×3, first 2 shown]
	s_set_vgpr_msb 0                        ;  msbs: dst=0 src0=0 src1=0 src2=0
	v_lshlrev_b64_e32 v[10:11], 1, v[24:25]
	v_lshlrev_b64_e32 v[6:7], 1, v[6:7]
	s_set_vgpr_msb 64                       ;  msbs: dst=1 src0=0 src1=0 src2=0
	v_add_nc_u64_e32 v[16:17] /*v[272:273]*/, s[8:9], v[4:5]
	v_add_nc_u64_e32 v[18:19] /*v[274:275]*/, s[10:11], v[4:5]
	s_set_vgpr_msb 0                        ;  msbs: dst=0 src0=0 src1=0 src2=0
	v_lshlrev_b64_e32 v[4:5], 1, v[12:13]
	v_add_nc_u64_e32 v[244:245], s[8:9], v[18:19]
	v_add_nc_u64_e32 v[246:247], s[10:11], v[18:19]
	s_set_vgpr_msb 64                       ;  msbs: dst=1 src0=0 src1=0 src2=0
	v_add_nc_u64_e32 v[2:3] /*v[258:259]*/, s[10:11], v[16:17]
	v_add_nc_u64_e32 v[20:21] /*v[276:277]*/, s[8:9], v[8:9]
	;; [unrolled: 1-line block ×9, first 2 shown]
	s_mul_u64 s[24:25], s[6:7], s[22:23]
	s_mov_b64 s[10:11], 31
	s_lshl_b64 s[8:9], s[24:25], 1
	s_mov_b64 s[24:25], s[18:19]
	s_set_vgpr_msb 0                        ;  msbs: dst=0 src0=0 src1=0 src2=0
	s_branch .LBB97_147
.LBB97_145:                             ;   in Loop: Header=BB97_147 Depth=1
	s_wait_xcnt 0x0
	s_or_b32 exec_lo, exec_lo, s2
	v_add_nc_u64_e32 v[4:5], v[164:165], v[162:163]
	v_add_nc_u64_e32 v[8:9], v[166:167], v[162:163]
	;; [unrolled: 1-line block ×7, first 2 shown]
	global_load_u16 v4, v[4:5], off
	global_load_u16 v5, v[8:9], off
	s_wait_xcnt 0x0
	v_add_nc_u64_e32 v[8:9], v[36:37], v[162:163]
	v_add_nc_u64_e32 v[20:21], v[58:59], v[162:163]
	;; [unrolled: 1-line block ×7, first 2 shown]
	global_load_u16 v7, v[8:9], off
	v_add_nc_u64_e32 v[32:33], v[82:83], v[162:163]
	v_add_nc_u64_e32 v[34:35], v[86:87], v[162:163]
	s_set_vgpr_msb 64                       ;  msbs: dst=1 src0=0 src1=0 src2=0
	v_add_nc_u64_e32 v[36:37] /*v[292:293]*/, v[90:91], v[162:163]
	v_add_nc_u64_e32 v[40:41] /*v[296:297]*/, v[94:95], v[162:163]
	;; [unrolled: 1-line block ×18, first 2 shown]
	s_wait_loadcnt 0x1
	s_set_vgpr_msb 0                        ;  msbs: dst=0 src0=0 src1=0 src2=0
	v_dual_lshlrev_b32 v4, 16, v4 :: v_dual_lshlrev_b32 v5, 16, v5
	s_wait_loadcnt 0x0
	v_lshlrev_b32_e32 v8, 16, v7
	global_load_u16 v7, v[10:11], off
	s_wait_xcnt 0x0
	v_add_nc_u64_e32 v[10:11], v[40:41], v[162:163]
	global_load_u16 v9, v[10:11], off
	s_wait_loadcnt 0x0
	v_dual_lshlrev_b32 v7, 16, v7 :: v_dual_lshlrev_b32 v10, 16, v9
	global_load_u16 v9, v[12:13], off
	s_wait_xcnt 0x0
	v_add_nc_u64_e32 v[12:13], v[42:43], v[162:163]
	s_wait_loadcnt 0x0
	v_lshlrev_b32_e32 v11, 16, v9
	global_load_u16 v9, v[12:13], off
	s_wait_loadcnt 0x0
	v_lshlrev_b32_e32 v12, 16, v9
	global_load_u16 v9, v[14:15], off
	s_wait_xcnt 0x0
	v_add_nc_u64_e32 v[14:15], v[48:49], v[162:163]
	s_wait_loadcnt 0x0
	v_lshlrev_b32_e32 v13, 16, v9
	global_load_u16 v9, v[14:15], off
	s_wait_loadcnt 0x0
	v_lshlrev_b32_e32 v14, 16, v9
	;; [unrolled: 8-line block ×12, first 2 shown]
	s_set_vgpr_msb 1                        ;  msbs: dst=0 src0=1 src1=0 src2=0
	global_load_u16 v9, v[36:37] /*v[292:293]*/, off
	s_wait_xcnt 0x0
	s_set_vgpr_msb 64                       ;  msbs: dst=1 src0=0 src1=0 src2=0
	v_add_nc_u64_e32 v[36:37] /*v[292:293]*/, v[92:93], v[162:163]
	s_wait_loadcnt 0x0
	s_set_vgpr_msb 1                        ;  msbs: dst=0 src0=1 src1=0 src2=0
	v_lshlrev_b32_e32 v35, 16, v9
	global_load_u16 v9, v[36:37] /*v[292:293]*/, off
	s_wait_loadcnt 0x0
	s_set_vgpr_msb 64                       ;  msbs: dst=1 src0=0 src1=0 src2=0
	v_lshlrev_b32_e32 v36 /*v292*/, 16, v9
	s_set_vgpr_msb 1                        ;  msbs: dst=0 src0=1 src1=0 src2=0
	global_load_u16 v9, v[40:41] /*v[296:297]*/, off
	s_wait_xcnt 0x0
	s_set_vgpr_msb 64                       ;  msbs: dst=1 src0=0 src1=0 src2=0
	v_add_nc_u64_e32 v[40:41] /*v[296:297]*/, v[96:97], v[162:163]
	s_wait_loadcnt 0x0
	v_lshlrev_b32_e32 v37 /*v293*/, 16, v9
	s_set_vgpr_msb 1                        ;  msbs: dst=0 src0=1 src1=0 src2=0
	global_load_u16 v9, v[40:41] /*v[296:297]*/, off
	s_wait_loadcnt 0x0
	s_set_vgpr_msb 64                       ;  msbs: dst=1 src0=0 src1=0 src2=0
	v_lshlrev_b32_e32 v40 /*v296*/, 16, v9
	s_set_vgpr_msb 1                        ;  msbs: dst=0 src0=1 src1=0 src2=0
	global_load_u16 v9, v[44:45] /*v[300:301]*/, off
	s_wait_xcnt 0x0
	s_set_vgpr_msb 64                       ;  msbs: dst=1 src0=0 src1=0 src2=0
	v_add_nc_u64_e32 v[44:45] /*v[300:301]*/, v[100:101], v[162:163]
	s_wait_loadcnt 0x0
	v_lshlrev_b32_e32 v41 /*v297*/, 16, v9
	s_set_vgpr_msb 1                        ;  msbs: dst=0 src0=1 src1=0 src2=0
	global_load_u16 v9, v[44:45] /*v[300:301]*/, off
	s_wait_xcnt 0x0
	s_set_vgpr_msb 64                       ;  msbs: dst=1 src0=0 src1=0 src2=0
	ds_bpermute_b32 v45 /*v301*/, v2, v6
	s_wait_dscnt 0x0
	s_set_vgpr_msb 4                        ;  msbs: dst=0 src0=0 src1=1 src2=0
	v_sub_f32_e32 v5, v5, v45 /*v301*/
	s_set_vgpr_msb 64                       ;  msbs: dst=1 src0=0 src1=0 src2=0
	ds_bpermute_b32 v45 /*v301*/, v2, v6 offset:4
	s_wait_dscnt 0x0
	s_set_vgpr_msb 4                        ;  msbs: dst=0 src0=0 src1=1 src2=0
	v_sub_f32_e32 v7, v7, v45 /*v301*/
	s_set_vgpr_msb 64                       ;  msbs: dst=1 src0=0 src1=0 src2=0
	ds_bpermute_b32 v45 /*v301*/, v2, v6 offset:8
	s_set_vgpr_msb 0                        ;  msbs: dst=0 src0=0 src1=0 src2=0
	v_mul_f32_e32 v7, v7, v8
	v_mul_f32_e32 v5, v5, v4
	s_wait_dscnt 0x0
	s_set_vgpr_msb 4                        ;  msbs: dst=0 src0=0 src1=1 src2=0
	v_sub_f32_e32 v11, v11, v45 /*v301*/
	s_set_vgpr_msb 64                       ;  msbs: dst=1 src0=0 src1=0 src2=0
	ds_bpermute_b32 v45 /*v301*/, v2, v6 offset:12
	s_wait_dscnt 0x0
	s_set_vgpr_msb 4                        ;  msbs: dst=0 src0=0 src1=1 src2=0
	v_sub_f32_e32 v13, v13, v45 /*v301*/
	s_set_vgpr_msb 64                       ;  msbs: dst=1 src0=0 src1=0 src2=0
	ds_bpermute_b32 v45 /*v301*/, v2, v6 offset:16
	s_set_vgpr_msb 0                        ;  msbs: dst=0 src0=0 src1=0 src2=0
	v_dual_mul_f32 v11, v11, v10 :: v_dual_mul_f32 v13, v13, v12
	s_wait_dscnt 0x0
	s_set_vgpr_msb 4                        ;  msbs: dst=0 src0=0 src1=1 src2=0
	v_sub_f32_e32 v15, v15, v45 /*v301*/
	s_set_vgpr_msb 64                       ;  msbs: dst=1 src0=0 src1=0 src2=0
	ds_bpermute_b32 v45 /*v301*/, v2, v6 offset:20
	s_wait_dscnt 0x0
	s_set_vgpr_msb 4                        ;  msbs: dst=0 src0=0 src1=1 src2=0
	v_sub_f32_e32 v17, v17, v45 /*v301*/
	s_set_vgpr_msb 64                       ;  msbs: dst=1 src0=0 src1=0 src2=0
	ds_bpermute_b32 v45 /*v301*/, v2, v6 offset:24
	s_set_vgpr_msb 0                        ;  msbs: dst=0 src0=0 src1=0 src2=0
	v_dual_mul_f32 v15, v15, v14 :: v_dual_mul_f32 v17, v17, v16
	;; [unrolled: 12-line block ×4, first 2 shown]
	s_wait_dscnt 0x0
	s_set_vgpr_msb 4                        ;  msbs: dst=0 src0=0 src1=1 src2=0
	v_sub_f32_e32 v27, v27, v45 /*v301*/
	s_set_vgpr_msb 0                        ;  msbs: dst=0 src0=0 src1=0 src2=0
	s_delay_alu instid0(VALU_DEP_1)
	v_mul_f32_e32 v27, v27, v26
	s_wait_loadcnt 0x0
	s_set_vgpr_msb 64                       ;  msbs: dst=1 src0=0 src1=0 src2=0
	v_lshlrev_b32_e32 v44 /*v300*/, 16, v9
	s_set_vgpr_msb 1                        ;  msbs: dst=0 src0=1 src1=0 src2=0
	global_load_u16 v9, v[46:47] /*v[302:303]*/, off
	s_wait_xcnt 0x0
	s_set_vgpr_msb 64                       ;  msbs: dst=1 src0=0 src1=0 src2=0
	v_add_nc_u64_e32 v[46:47] /*v[302:303]*/, v[104:105], v[162:163]
	s_wait_loadcnt 0x0
	v_lshlrev_b32_e32 v43 /*v299*/, 16, v9
	s_set_vgpr_msb 1                        ;  msbs: dst=0 src0=1 src1=0 src2=0
	global_load_u16 v9, v[46:47] /*v[302:303]*/, off
	s_wait_loadcnt 0x0
	s_set_vgpr_msb 64                       ;  msbs: dst=1 src0=0 src1=0 src2=0
	v_lshlrev_b32_e32 v46 /*v302*/, 16, v9
	s_set_vgpr_msb 1                        ;  msbs: dst=0 src0=1 src1=0 src2=0
	global_load_u16 v9, v[48:49] /*v[304:305]*/, off
	s_wait_xcnt 0x0
	s_set_vgpr_msb 64                       ;  msbs: dst=1 src0=0 src1=0 src2=0
	v_add_nc_u64_e32 v[48:49] /*v[304:305]*/, v[108:109], v[162:163]
	s_wait_loadcnt 0x0
	v_lshlrev_b32_e32 v47 /*v303*/, 16, v9
	s_set_vgpr_msb 1                        ;  msbs: dst=0 src0=1 src1=0 src2=0
	global_load_u16 v9, v[48:49] /*v[304:305]*/, off
	;; [unrolled: 12-line block ×14, first 2 shown]
	s_wait_loadcnt 0x0
	s_set_vgpr_msb 64                       ;  msbs: dst=1 src0=0 src1=0 src2=0
	v_lshlrev_b32_e32 v72 /*v328*/, 16, v9
	s_set_vgpr_msb 1                        ;  msbs: dst=0 src0=1 src1=0 src2=0
	global_load_u16 v9, v[74:75] /*v[330:331]*/, off
	s_wait_loadcnt 0x0
	s_set_vgpr_msb 64                       ;  msbs: dst=1 src0=0 src1=0 src2=0
	v_lshlrev_b32_e32 v73 /*v329*/, 16, v9
	s_set_vgpr_msb 0                        ;  msbs: dst=0 src0=0 src1=0 src2=0
	ds_bpermute_b32 v9, v2, v3
	s_wait_dscnt 0x0
	v_mul_f32_e32 v5, v5, v9
	ds_bpermute_b32 v9, v2, v3 offset:4
	s_set_vgpr_msb 1                        ;  msbs: dst=0 src0=1 src1=0 src2=0
	v_pk_add_f32 v[4:5], v[38:39] /*v[294:295]*/, v[4:5]
	s_wait_dscnt 0x0
	s_set_vgpr_msb 0                        ;  msbs: dst=0 src0=0 src1=0 src2=0
	v_mul_f32_e32 v9, v7, v9
	ds_bpermute_b32 v7, v2, v3 offset:8
	v_pk_add_f32 v[4:5], v[4:5], v[8:9]
	ds_bpermute_b32 v8, v2, v6 offset:44
	s_wait_dscnt 0x1
	v_mul_f32_e32 v11, v11, v7
	ds_bpermute_b32 v7, v2, v3 offset:12
	s_wait_dscnt 0x1
	v_sub_f32_e32 v8, v29, v8
	v_pk_add_f32 v[4:5], v[4:5], v[10:11]
	s_wait_dscnt 0x0
	s_delay_alu instid0(VALU_DEP_2)
	v_dual_mul_f32 v8, v8, v28 :: v_dual_mul_f32 v13, v13, v7
	ds_bpermute_b32 v7, v2, v3 offset:16
	v_pk_add_f32 v[4:5], v[4:5], v[12:13]
	s_wait_dscnt 0x0
	v_mul_f32_e32 v15, v15, v7
	ds_bpermute_b32 v7, v2, v3 offset:20
	v_pk_add_f32 v[4:5], v[4:5], v[14:15]
	s_wait_dscnt 0x0
	v_mul_f32_e32 v17, v17, v7
	;; [unrolled: 4-line block ×8, first 2 shown]
	ds_bpermute_b32 v8, v2, v6 offset:48
	ds_bpermute_b32 v7, v2, v3 offset:48
	s_wait_dscnt 0x1
	v_sub_f32_e32 v8, v31, v8
	v_pk_add_f32 v[4:5], v[4:5], v[28:29]
	s_delay_alu instid0(VALU_DEP_2) | instskip(SKIP_1) | instid1(VALU_DEP_1)
	v_mul_f32_e32 v8, v8, v30
	s_wait_dscnt 0x0
	v_mul_f32_e32 v31, v8, v7
	ds_bpermute_b32 v8, v2, v6 offset:52
	ds_bpermute_b32 v7, v2, v3 offset:52
	s_wait_dscnt 0x1
	v_sub_f32_e32 v8, v33, v8
	v_pk_add_f32 v[4:5], v[4:5], v[30:31]
	s_delay_alu instid0(VALU_DEP_2) | instskip(SKIP_1) | instid1(VALU_DEP_1)
	v_mul_f32_e32 v8, v8, v32
	s_wait_dscnt 0x0
	v_mul_f32_e32 v33, v8, v7
	ds_bpermute_b32 v8, v2, v6 offset:56
	ds_bpermute_b32 v7, v2, v3 offset:56
	s_wait_dscnt 0x1
	v_sub_f32_e32 v8, v35, v8
	v_pk_add_f32 v[4:5], v[4:5], v[32:33]
	s_delay_alu instid0(VALU_DEP_2) | instskip(SKIP_1) | instid1(VALU_DEP_1)
	v_mul_f32_e32 v8, v8, v34
	s_wait_dscnt 0x0
	v_mul_f32_e32 v35, v8, v7
	ds_bpermute_b32 v8, v2, v6 offset:60
	ds_bpermute_b32 v7, v2, v3 offset:60
	v_pk_add_f32 v[4:5], v[4:5], v[34:35]
	s_wait_dscnt 0x1
	s_set_vgpr_msb 1                        ;  msbs: dst=0 src0=1 src1=0 src2=0
	v_sub_f32_e32 v8, v37 /*v293*/, v8
	s_set_vgpr_msb 4                        ;  msbs: dst=0 src0=0 src1=1 src2=0
	s_delay_alu instid0(VALU_DEP_1) | instskip(SKIP_2) | instid1(VALU_DEP_1)
	v_mul_f32_e32 v8, v8, v36 /*v292*/
	s_wait_dscnt 0x0
	s_set_vgpr_msb 64                       ;  msbs: dst=1 src0=0 src1=0 src2=0
	v_mul_f32_e32 v37 /*v293*/, v8, v7
	s_set_vgpr_msb 0                        ;  msbs: dst=0 src0=0 src1=0 src2=0
	ds_bpermute_b32 v8, v2, v6 offset:64
	ds_bpermute_b32 v7, v2, v3 offset:64
	s_wait_dscnt 0x1
	s_set_vgpr_msb 1                        ;  msbs: dst=0 src0=1 src1=0 src2=0
	v_sub_f32_e32 v8, v41 /*v297*/, v8
	s_set_vgpr_msb 4                        ;  msbs: dst=0 src0=0 src1=1 src2=0
	s_delay_alu instid0(VALU_DEP_1) | instskip(SKIP_2) | instid1(VALU_DEP_1)
	v_mul_f32_e32 v8, v8, v40 /*v296*/
	s_wait_dscnt 0x0
	s_set_vgpr_msb 64                       ;  msbs: dst=1 src0=0 src1=0 src2=0
	v_mul_f32_e32 v41 /*v297*/, v8, v7
	s_set_vgpr_msb 0                        ;  msbs: dst=0 src0=0 src1=0 src2=0
	ds_bpermute_b32 v8, v2, v6 offset:68
	ds_bpermute_b32 v7, v2, v3 offset:68
	s_set_vgpr_msb 4                        ;  msbs: dst=0 src0=0 src1=1 src2=0
	v_pk_add_f32 v[4:5], v[4:5], v[36:37] /*v[292:293]*/
	s_delay_alu instid0(VALU_DEP_1) | instskip(SKIP_4) | instid1(VALU_DEP_1)
	v_pk_add_f32 v[4:5], v[4:5], v[40:41] /*v[296:297]*/
	s_wait_dscnt 0x1
	s_set_vgpr_msb 1                        ;  msbs: dst=0 src0=1 src1=0 src2=0
	v_sub_f32_e32 v8, v43 /*v299*/, v8
	s_set_vgpr_msb 4                        ;  msbs: dst=0 src0=0 src1=1 src2=0
	v_mul_f32_e32 v8, v8, v44 /*v300*/
	s_wait_dscnt 0x0
	s_set_vgpr_msb 64                       ;  msbs: dst=1 src0=0 src1=0 src2=0
	s_delay_alu instid0(VALU_DEP_1)
	v_mul_f32_e32 v45 /*v301*/, v8, v7
	s_set_vgpr_msb 0                        ;  msbs: dst=0 src0=0 src1=0 src2=0
	ds_bpermute_b32 v8, v2, v6 offset:72
	ds_bpermute_b32 v7, v2, v3 offset:72
	s_wait_dscnt 0x1
	s_set_vgpr_msb 1                        ;  msbs: dst=0 src0=1 src1=0 src2=0
	v_sub_f32_e32 v8, v47 /*v303*/, v8
	s_set_vgpr_msb 4                        ;  msbs: dst=0 src0=0 src1=1 src2=0
	s_delay_alu instid0(VALU_DEP_1) | instskip(SKIP_2) | instid1(VALU_DEP_1)
	v_mul_f32_e32 v8, v8, v46 /*v302*/
	s_wait_dscnt 0x0
	s_set_vgpr_msb 64                       ;  msbs: dst=1 src0=0 src1=0 src2=0
	v_mul_f32_e32 v47 /*v303*/, v8, v7
	s_set_vgpr_msb 0                        ;  msbs: dst=0 src0=0 src1=0 src2=0
	ds_bpermute_b32 v8, v2, v6 offset:76
	ds_bpermute_b32 v7, v2, v3 offset:76
	s_set_vgpr_msb 4                        ;  msbs: dst=0 src0=0 src1=1 src2=0
	v_pk_add_f32 v[4:5], v[4:5], v[44:45] /*v[300:301]*/
	s_delay_alu instid0(VALU_DEP_1) | instskip(SKIP_4) | instid1(VALU_DEP_1)
	v_pk_add_f32 v[4:5], v[4:5], v[46:47] /*v[302:303]*/
	s_wait_dscnt 0x1
	s_set_vgpr_msb 1                        ;  msbs: dst=0 src0=1 src1=0 src2=0
	v_sub_f32_e32 v8, v49 /*v305*/, v8
	s_set_vgpr_msb 4                        ;  msbs: dst=0 src0=0 src1=1 src2=0
	v_mul_f32_e32 v8, v8, v48 /*v304*/
	s_wait_dscnt 0x0
	s_set_vgpr_msb 64                       ;  msbs: dst=1 src0=0 src1=0 src2=0
	s_delay_alu instid0(VALU_DEP_1)
	;; [unrolled: 28-line block ×7, first 2 shown]
	v_mul_f32_e32 v69 /*v325*/, v8, v7
	s_set_vgpr_msb 0                        ;  msbs: dst=0 src0=0 src1=0 src2=0
	ds_bpermute_b32 v8, v2, v6 offset:120
	ds_bpermute_b32 v6, v2, v6 offset:124
	ds_bpermute_b32 v7, v2, v3 offset:120
	ds_bpermute_b32 v3, v2, v3 offset:124
	s_wait_dscnt 0x2
	s_set_vgpr_msb 1                        ;  msbs: dst=0 src0=1 src1=0 src2=0
	v_dual_sub_f32 v8, v71 /*v327*/, v8 :: v_dual_sub_f32 v6, v73 /*v329*/, v6
	s_set_vgpr_msb 4                        ;  msbs: dst=0 src0=0 src1=1 src2=0
	s_delay_alu instid0(VALU_DEP_1) | instskip(SKIP_2) | instid1(VALU_DEP_1)
	v_dual_mul_f32 v8, v8, v70 /*v326*/ :: v_dual_mul_f32 v6, v6, v72 /*v328*/
	s_wait_dscnt 0x1
	s_set_vgpr_msb 64                       ;  msbs: dst=1 src0=0 src1=0 src2=0
	v_mul_f32_e32 v71 /*v327*/, v8, v7
	s_set_vgpr_msb 4                        ;  msbs: dst=0 src0=0 src1=1 src2=0
	v_pk_add_f32 v[4:5], v[4:5], v[68:69] /*v[324:325]*/
	s_wait_dscnt 0x0
	s_set_vgpr_msb 64                       ;  msbs: dst=1 src0=0 src1=0 src2=0
	v_mul_f32_e32 v73 /*v329*/, v6, v3
	s_set_vgpr_msb 4                        ;  msbs: dst=0 src0=0 src1=1 src2=0
	v_pk_add_f32 v[4:5], v[4:5], v[70:71] /*v[326:327]*/
	s_set_vgpr_msb 0x44                     ;  msbs: dst=1 src0=0 src1=1 src2=0
	s_delay_alu instid0(VALU_DEP_1)
	v_pk_add_f32 v[36:37] /*v[292:293]*/, v[4:5], v[72:73] /*v[328:329]*/
.LBB97_146:                             ;   in Loop: Header=BB97_147 Depth=1
	s_add_nc_u64 s[24:25], s[24:25], s[22:23]
	s_set_vgpr_msb 0                        ;  msbs: dst=0 src0=0 src1=0 src2=0
	v_add_nc_u64_e32 v[164:165], s[8:9], v[164:165]
	v_cmp_ge_i64_e64 s2, s[24:25], s[4:5]
	v_add_nc_u64_e32 v[166:167], s[8:9], v[166:167]
	v_add_nc_u64_e32 v[36:37], s[8:9], v[36:37]
	;; [unrolled: 1-line block ×108, first 2 shown]
	s_set_vgpr_msb 0x44                     ;  msbs: dst=1 src0=0 src1=1 src2=0
	v_add_nc_u64_e32 v[0:1] /*v[256:257]*/, s[8:9], v[0:1] /*v[256:257]*/
	v_add_nc_u64_e32 v[2:3] /*v[258:259]*/, s[8:9], v[2:3] /*v[258:259]*/
	v_add_nc_u64_e32 v[4:5] /*v[260:261]*/, s[8:9], v[4:5] /*v[260:261]*/
	v_add_nc_u64_e32 v[6:7] /*v[262:263]*/, s[8:9], v[6:7] /*v[262:263]*/
	v_add_nc_u64_e32 v[8:9] /*v[264:265]*/, s[8:9], v[8:9] /*v[264:265]*/
	v_add_nc_u64_e32 v[10:11] /*v[266:267]*/, s[8:9], v[10:11] /*v[266:267]*/
	v_add_nc_u64_e32 v[12:13] /*v[268:269]*/, s[8:9], v[12:13] /*v[268:269]*/
	v_add_nc_u64_e32 v[14:15] /*v[270:271]*/, s[8:9], v[14:15] /*v[270:271]*/
	v_add_nc_u64_e32 v[16:17] /*v[272:273]*/, s[8:9], v[16:17] /*v[272:273]*/
	v_add_nc_u64_e32 v[18:19] /*v[274:275]*/, s[8:9], v[18:19] /*v[274:275]*/
	v_add_nc_u64_e32 v[20:21] /*v[276:277]*/, s[8:9], v[20:21] /*v[276:277]*/
	v_add_nc_u64_e32 v[22:23] /*v[278:279]*/, s[8:9], v[22:23] /*v[278:279]*/
	v_add_nc_u64_e32 v[24:25] /*v[280:281]*/, s[8:9], v[24:25] /*v[280:281]*/
	v_add_nc_u64_e32 v[26:27] /*v[282:283]*/, s[8:9], v[26:27] /*v[282:283]*/
	v_add_nc_u64_e32 v[28:29] /*v[284:285]*/, s[8:9], v[28:29] /*v[284:285]*/
	v_add_nc_u64_e32 v[30:31] /*v[286:287]*/, s[8:9], v[30:31] /*v[286:287]*/
	v_add_nc_u64_e32 v[32:33] /*v[288:289]*/, s[8:9], v[32:33] /*v[288:289]*/
	v_add_nc_u64_e32 v[34:35] /*v[290:291]*/, s[8:9], v[34:35] /*v[290:291]*/
	s_set_vgpr_msb 0x41                     ;  msbs: dst=1 src0=1 src1=0 src2=0
	v_dual_mov_b32 v38 /*v294*/, v36 /*v292*/ :: v_dual_mov_b32 v39 /*v295*/, v37 /*v293*/
	s_and_b32 vcc_lo, exec_lo, s2
	s_add_nc_u64 s[10:11], s[10:11], s[22:23]
	s_set_vgpr_msb 0                        ;  msbs: dst=0 src0=0 src1=0 src2=0
	s_cbranch_vccnz .LBB97_219
.LBB97_147:                             ; =>This Inner Loop Header: Depth=1
	s_add_nc_u64 s[26:27], s[18:19], s[10:11]
	s_set_vgpr_msb 64                       ;  msbs: dst=1 src0=0 src1=0 src2=0
	v_add_nc_u64_e32 v[40:41] /*v[296:297]*/, s[18:19], v[144:145]
	v_cmp_ge_i64_e64 s2, s[26:27], s[4:5]
                                        ; implicit-def: $vgpr292_vgpr293
	s_and_b32 vcc_lo, exec_lo, s2
	s_mov_b32 s2, -1
	s_set_vgpr_msb 0                        ;  msbs: dst=0 src0=0 src1=0 src2=0
	s_cbranch_vccz .LBB97_215
; %bb.148:                              ;   in Loop: Header=BB97_147 Depth=1
	s_load_b32 s2, s[20:21], 0xc
	s_set_vgpr_msb 64                       ;  msbs: dst=1 src0=0 src1=0 src2=0
	v_dual_mov_b32 v43 /*v299*/, 0 :: v_dual_mov_b32 v37 /*v293*/, 0
	v_mov_b32_e32 v36 /*v292*/, 0
	s_wait_kmcnt 0x0
	s_and_b32 s2, s2, 0xffff
	s_set_vgpr_msb 16                       ;  msbs: dst=0 src0=0 src1=0 src2=1
	v_mad_u32_u24 v3, v1, s2, v42 /*v298*/
	v_mov_b32_e32 v5, v2
	s_mov_b32 s2, exec_lo
	s_delay_alu instid0(VALU_DEP_2) | instskip(SKIP_1) | instid1(VALU_DEP_1)
	v_and_b32_e32 v4, 31, v3
	s_set_vgpr_msb 1                        ;  msbs: dst=0 src0=1 src1=0 src2=0
	v_add_nc_u64_e32 v[4:5], v[40:41] /*v[296:297]*/, v[4:5]
	s_delay_alu instid0(VALU_DEP_1)
	v_cmpx_gt_i64_e64 s[4:5], v[4:5]
	s_set_vgpr_msb 0                        ;  msbs: dst=0 src0=0 src1=0 src2=0
	s_cbranch_execz .LBB97_150
; %bb.149:                              ;   in Loop: Header=BB97_147 Depth=1
	v_lshlrev_b64_e32 v[4:5], 2, v[4:5]
	s_delay_alu instid0(VALU_DEP_1)
	v_add_nc_u64_e32 v[6:7], s[12:13], v[4:5]
	v_add_nc_u64_e32 v[4:5], s[14:15], v[4:5]
	s_set_vgpr_msb 64                       ;  msbs: dst=1 src0=0 src1=0 src2=0
	global_load_b32 v36 /*v292*/, v[6:7], off
	global_load_b32 v37 /*v293*/, v[4:5], off
.LBB97_150:                             ;   in Loop: Header=BB97_147 Depth=1
	s_wait_xcnt 0x0
	s_or_b32 exec_lo, exec_lo, s2
	s_set_vgpr_msb 4                        ;  msbs: dst=0 src0=0 src1=1 src2=0
	v_dual_mov_b32 v31, v2 :: v_dual_mov_b32 v32, v2
	v_dual_mov_b32 v33, v2 :: v_dual_mov_b32 v3, v2
	;; [unrolled: 1-line block ×15, first 2 shown]
	v_mov_b32_e32 v30, v2
	v_mov_b64_e32 v[34:35], v[32:33]
	s_delay_alu instid0(VALU_DEP_2) | instskip(NEXT) | instid1(VALU_DEP_4)
	v_mov_b64_e32 v[32:33], v[30:31]
	v_mov_b64_e32 v[30:31], v[28:29]
	;; [unrolled: 1-line block ×15, first 2 shown]
	s_mov_b32 s2, exec_lo
	v_cmpx_gt_i64_e64 s[4:5], v[40:41] /*v[296:297]*/
	s_set_vgpr_msb 0                        ;  msbs: dst=0 src0=0 src1=0 src2=0
	s_cbranch_execz .LBB97_152
; %bb.151:                              ;   in Loop: Header=BB97_147 Depth=1
	v_add_nc_u64_e32 v[4:5], v[164:165], v[162:163]
	v_add_nc_u64_e32 v[6:7], v[166:167], v[162:163]
	v_dual_mov_b32 v9, v2 :: v_dual_mov_b32 v10, v2
	v_dual_mov_b32 v11, v2 :: v_dual_mov_b32 v12, v2
	;; [unrolled: 1-line block ×3, first 2 shown]
	global_load_u16 v3, v[4:5], off
	s_set_vgpr_msb 64                       ;  msbs: dst=1 src0=0 src1=0 src2=0
	global_load_u16 v43 /*v299*/, v[6:7], off
	s_wait_xcnt 0x0
	s_set_vgpr_msb 0                        ;  msbs: dst=0 src0=0 src1=0 src2=0
	v_dual_mov_b32 v5, v2 :: v_dual_mov_b32 v6, v2
	v_dual_mov_b32 v7, v2 :: v_dual_mov_b32 v8, v2
	;; [unrolled: 1-line block ×12, first 2 shown]
	s_wait_loadcnt 0x1
	v_dual_mov_b32 v35, v2 :: v_dual_lshlrev_b32 v4, 16, v3
	s_wait_loadcnt 0x0
	s_set_vgpr_msb 0x44                     ;  msbs: dst=1 src0=0 src1=1 src2=0
	v_lshlrev_b32_e32 v43 /*v299*/, 16, v43 /*v299*/
.LBB97_152:                             ;   in Loop: Header=BB97_147 Depth=1
	s_or_b32 exec_lo, exec_lo, s2
	s_set_vgpr_msb 0x44                     ;  msbs: dst=1 src0=0 src1=1 src2=0
	v_add_nc_u64_e32 v[44:45] /*v[300:301]*/, 1, v[40:41] /*v[296:297]*/
	s_set_vgpr_msb 4                        ;  msbs: dst=0 src0=0 src1=1 src2=0
	v_mov_b32_e32 v3, 0
	s_delay_alu instid0(VALU_DEP_2)
	v_cmp_gt_i64_e32 vcc_lo, s[4:5], v[44:45] /*v[300:301]*/
	s_set_vgpr_msb 64                       ;  msbs: dst=1 src0=0 src1=0 src2=0
	v_mov_b32_e32 v44 /*v300*/, 0
	s_and_saveexec_b32 s2, vcc_lo
	s_set_vgpr_msb 0                        ;  msbs: dst=0 src0=0 src1=0 src2=0
	s_cbranch_execz .LBB97_154
; %bb.153:                              ;   in Loop: Header=BB97_147 Depth=1
	s_set_vgpr_msb 0x41                     ;  msbs: dst=1 src0=1 src1=0 src2=0
	v_add_nc_u64_e32 v[44:45] /*v[300:301]*/, v[32:33] /*v[288:289]*/, v[162:163]
	v_add_nc_u64_e32 v[46:47] /*v[302:303]*/, v[34:35] /*v[290:291]*/, v[162:163]
	s_set_vgpr_msb 1                        ;  msbs: dst=0 src0=1 src1=0 src2=0
	global_load_u16 v5, v[44:45] /*v[300:301]*/, off
	s_set_vgpr_msb 0x41                     ;  msbs: dst=1 src0=1 src1=0 src2=0
	global_load_u16 v48 /*v304*/, v[46:47] /*v[302:303]*/, off
	s_wait_loadcnt 0x1
	s_set_vgpr_msb 0                        ;  msbs: dst=0 src0=0 src1=0 src2=0
	v_lshlrev_b32_e32 v5, 16, v5
	s_wait_loadcnt 0x0
	s_set_vgpr_msb 0x44                     ;  msbs: dst=1 src0=0 src1=1 src2=0
	v_lshlrev_b32_e32 v44 /*v300*/, 16, v48 /*v304*/
.LBB97_154:                             ;   in Loop: Header=BB97_147 Depth=1
	s_or_b32 exec_lo, exec_lo, s2
	s_set_vgpr_msb 0x44                     ;  msbs: dst=1 src0=0 src1=1 src2=0
	v_add_nc_u64_e32 v[46:47] /*v[302:303]*/, 2, v[40:41] /*v[296:297]*/
	s_mov_b32 s2, exec_lo
	s_delay_alu instid0(VALU_DEP_1)
	v_cmpx_gt_i64_e64 s[4:5], v[46:47] /*v[302:303]*/
	s_set_vgpr_msb 0                        ;  msbs: dst=0 src0=0 src1=0 src2=0
	s_cbranch_execz .LBB97_156
; %bb.155:                              ;   in Loop: Header=BB97_147 Depth=1
	s_set_vgpr_msb 0x41                     ;  msbs: dst=1 src0=1 src1=0 src2=0
	v_add_nc_u64_e32 v[46:47] /*v[302:303]*/, v[28:29] /*v[284:285]*/, v[162:163]
	v_add_nc_u64_e32 v[48:49] /*v[304:305]*/, v[30:31] /*v[286:287]*/, v[162:163]
	s_set_vgpr_msb 1                        ;  msbs: dst=0 src0=1 src1=0 src2=0
	global_load_u16 v3, v[46:47] /*v[302:303]*/, off
	s_set_vgpr_msb 0x41                     ;  msbs: dst=1 src0=1 src1=0 src2=0
	global_load_u16 v45 /*v301*/, v[48:49] /*v[304:305]*/, off
	s_wait_loadcnt 0x1
	s_set_vgpr_msb 0                        ;  msbs: dst=0 src0=0 src1=0 src2=0
	v_lshlrev_b32_e32 v6, 16, v3
	s_wait_loadcnt 0x0
	s_set_vgpr_msb 4                        ;  msbs: dst=0 src0=0 src1=1 src2=0
	v_lshlrev_b32_e32 v3, 16, v45 /*v301*/
.LBB97_156:                             ;   in Loop: Header=BB97_147 Depth=1
	s_or_b32 exec_lo, exec_lo, s2
	s_set_vgpr_msb 0x44                     ;  msbs: dst=1 src0=0 src1=1 src2=0
	v_add_nc_u64_e32 v[46:47] /*v[302:303]*/, 3, v[40:41] /*v[296:297]*/
	v_mov_b32_e32 v45 /*v301*/, 0
	s_delay_alu instid0(VALU_DEP_2)
	v_cmp_gt_i64_e32 vcc_lo, s[4:5], v[46:47] /*v[302:303]*/
	v_mov_b32_e32 v46 /*v302*/, 0
	s_and_saveexec_b32 s2, vcc_lo
	s_set_vgpr_msb 0                        ;  msbs: dst=0 src0=0 src1=0 src2=0
	s_cbranch_execz .LBB97_158
; %bb.157:                              ;   in Loop: Header=BB97_147 Depth=1
	s_set_vgpr_msb 0x41                     ;  msbs: dst=1 src0=1 src1=0 src2=0
	v_add_nc_u64_e32 v[46:47] /*v[302:303]*/, v[24:25] /*v[280:281]*/, v[162:163]
	v_add_nc_u64_e32 v[48:49] /*v[304:305]*/, v[26:27] /*v[282:283]*/, v[162:163]
	s_set_vgpr_msb 1                        ;  msbs: dst=0 src0=1 src1=0 src2=0
	global_load_u16 v7, v[46:47] /*v[302:303]*/, off
	s_set_vgpr_msb 0x41                     ;  msbs: dst=1 src0=1 src1=0 src2=0
	global_load_u16 v50 /*v306*/, v[48:49] /*v[304:305]*/, off
	s_wait_loadcnt 0x1
	s_set_vgpr_msb 0                        ;  msbs: dst=0 src0=0 src1=0 src2=0
	v_lshlrev_b32_e32 v7, 16, v7
	s_wait_loadcnt 0x0
	s_set_vgpr_msb 0x44                     ;  msbs: dst=1 src0=0 src1=1 src2=0
	v_lshlrev_b32_e32 v46 /*v302*/, 16, v50 /*v306*/
.LBB97_158:                             ;   in Loop: Header=BB97_147 Depth=1
	s_or_b32 exec_lo, exec_lo, s2
	s_set_vgpr_msb 0x44                     ;  msbs: dst=1 src0=0 src1=1 src2=0
	v_add_nc_u64_e32 v[48:49] /*v[304:305]*/, 4, v[40:41] /*v[296:297]*/
	s_mov_b32 s2, exec_lo
	s_delay_alu instid0(VALU_DEP_1)
	v_cmpx_gt_i64_e64 s[4:5], v[48:49] /*v[304:305]*/
	s_set_vgpr_msb 0                        ;  msbs: dst=0 src0=0 src1=0 src2=0
	s_cbranch_execz .LBB97_160
; %bb.159:                              ;   in Loop: Header=BB97_147 Depth=1
	s_set_vgpr_msb 0x41                     ;  msbs: dst=1 src0=1 src1=0 src2=0
	v_add_nc_u64_e32 v[48:49] /*v[304:305]*/, v[20:21] /*v[276:277]*/, v[162:163]
	v_add_nc_u64_e32 v[50:51] /*v[306:307]*/, v[22:23] /*v[278:279]*/, v[162:163]
	s_set_vgpr_msb 1                        ;  msbs: dst=0 src0=1 src1=0 src2=0
	global_load_u16 v8, v[48:49] /*v[304:305]*/, off
	s_set_vgpr_msb 0x41                     ;  msbs: dst=1 src0=1 src1=0 src2=0
	global_load_u16 v45 /*v301*/, v[50:51] /*v[306:307]*/, off
	s_wait_loadcnt 0x1
	s_set_vgpr_msb 0                        ;  msbs: dst=0 src0=0 src1=0 src2=0
	v_lshlrev_b32_e32 v8, 16, v8
	s_wait_loadcnt 0x0
	s_set_vgpr_msb 0x44                     ;  msbs: dst=1 src0=0 src1=1 src2=0
	v_lshlrev_b32_e32 v45 /*v301*/, 16, v45 /*v301*/
.LBB97_160:                             ;   in Loop: Header=BB97_147 Depth=1
	s_or_b32 exec_lo, exec_lo, s2
	s_set_vgpr_msb 0x44                     ;  msbs: dst=1 src0=0 src1=1 src2=0
	v_add_nc_u64_e32 v[48:49] /*v[304:305]*/, 5, v[40:41] /*v[296:297]*/
	v_mov_b32_e32 v47 /*v303*/, 0
	s_delay_alu instid0(VALU_DEP_2)
	v_cmp_gt_i64_e32 vcc_lo, s[4:5], v[48:49] /*v[304:305]*/
	v_mov_b32_e32 v48 /*v304*/, 0
	s_and_saveexec_b32 s2, vcc_lo
	s_set_vgpr_msb 0                        ;  msbs: dst=0 src0=0 src1=0 src2=0
	s_cbranch_execz .LBB97_162
; %bb.161:                              ;   in Loop: Header=BB97_147 Depth=1
	s_set_vgpr_msb 0x41                     ;  msbs: dst=1 src0=1 src1=0 src2=0
	v_add_nc_u64_e32 v[48:49] /*v[304:305]*/, v[16:17] /*v[272:273]*/, v[162:163]
	v_add_nc_u64_e32 v[50:51] /*v[306:307]*/, v[18:19] /*v[274:275]*/, v[162:163]
	s_set_vgpr_msb 1                        ;  msbs: dst=0 src0=1 src1=0 src2=0
	global_load_u16 v9, v[48:49] /*v[304:305]*/, off
	s_set_vgpr_msb 0x41                     ;  msbs: dst=1 src0=1 src1=0 src2=0
	global_load_u16 v52 /*v308*/, v[50:51] /*v[306:307]*/, off
	s_wait_loadcnt 0x1
	s_set_vgpr_msb 0                        ;  msbs: dst=0 src0=0 src1=0 src2=0
	v_lshlrev_b32_e32 v9, 16, v9
	s_wait_loadcnt 0x0
	s_set_vgpr_msb 0x44                     ;  msbs: dst=1 src0=0 src1=1 src2=0
	v_lshlrev_b32_e32 v48 /*v304*/, 16, v52 /*v308*/
.LBB97_162:                             ;   in Loop: Header=BB97_147 Depth=1
	s_or_b32 exec_lo, exec_lo, s2
	s_set_vgpr_msb 0x44                     ;  msbs: dst=1 src0=0 src1=1 src2=0
	v_add_nc_u64_e32 v[50:51] /*v[306:307]*/, 6, v[40:41] /*v[296:297]*/
	s_mov_b32 s2, exec_lo
	s_delay_alu instid0(VALU_DEP_1)
	v_cmpx_gt_i64_e64 s[4:5], v[50:51] /*v[306:307]*/
	s_set_vgpr_msb 0                        ;  msbs: dst=0 src0=0 src1=0 src2=0
	s_cbranch_execz .LBB97_164
; %bb.163:                              ;   in Loop: Header=BB97_147 Depth=1
	s_set_vgpr_msb 0x41                     ;  msbs: dst=1 src0=1 src1=0 src2=0
	v_add_nc_u64_e32 v[50:51] /*v[306:307]*/, v[12:13] /*v[268:269]*/, v[162:163]
	v_add_nc_u64_e32 v[52:53] /*v[308:309]*/, v[14:15] /*v[270:271]*/, v[162:163]
	s_set_vgpr_msb 1                        ;  msbs: dst=0 src0=1 src1=0 src2=0
	global_load_u16 v10, v[50:51] /*v[306:307]*/, off
	s_set_vgpr_msb 0x41                     ;  msbs: dst=1 src0=1 src1=0 src2=0
	global_load_u16 v47 /*v303*/, v[52:53] /*v[308:309]*/, off
	s_wait_loadcnt 0x1
	s_set_vgpr_msb 0                        ;  msbs: dst=0 src0=0 src1=0 src2=0
	v_lshlrev_b32_e32 v10, 16, v10
	s_wait_loadcnt 0x0
	s_set_vgpr_msb 0x44                     ;  msbs: dst=1 src0=0 src1=1 src2=0
	v_lshlrev_b32_e32 v47 /*v303*/, 16, v47 /*v303*/
.LBB97_164:                             ;   in Loop: Header=BB97_147 Depth=1
	s_or_b32 exec_lo, exec_lo, s2
	s_set_vgpr_msb 0x44                     ;  msbs: dst=1 src0=0 src1=1 src2=0
	v_add_nc_u64_e32 v[50:51] /*v[306:307]*/, 7, v[40:41] /*v[296:297]*/
	s_delay_alu instid0(VALU_DEP_1)
	v_cmp_gt_i64_e32 vcc_lo, s[4:5], v[50:51] /*v[306:307]*/
	v_dual_mov_b32 v50 /*v306*/, 0 :: v_dual_mov_b32 v51 /*v307*/, 0
	s_and_saveexec_b32 s2, vcc_lo
	s_set_vgpr_msb 0                        ;  msbs: dst=0 src0=0 src1=0 src2=0
	s_cbranch_execz .LBB97_166
; %bb.165:                              ;   in Loop: Header=BB97_147 Depth=1
	s_set_vgpr_msb 0x41                     ;  msbs: dst=1 src0=1 src1=0 src2=0
	v_add_nc_u64_e32 v[52:53] /*v[308:309]*/, v[8:9] /*v[264:265]*/, v[162:163]
	v_add_nc_u64_e32 v[54:55] /*v[310:311]*/, v[10:11] /*v[266:267]*/, v[162:163]
	s_set_vgpr_msb 1                        ;  msbs: dst=0 src0=1 src1=0 src2=0
	global_load_u16 v11, v[52:53] /*v[308:309]*/, off
	s_set_vgpr_msb 0x41                     ;  msbs: dst=1 src0=1 src1=0 src2=0
	global_load_u16 v49 /*v305*/, v[54:55] /*v[310:311]*/, off
	s_wait_loadcnt 0x1
	s_set_vgpr_msb 0                        ;  msbs: dst=0 src0=0 src1=0 src2=0
	v_lshlrev_b32_e32 v11, 16, v11
	s_wait_loadcnt 0x0
	s_set_vgpr_msb 0x44                     ;  msbs: dst=1 src0=0 src1=1 src2=0
	v_lshlrev_b32_e32 v51 /*v307*/, 16, v49 /*v305*/
.LBB97_166:                             ;   in Loop: Header=BB97_147 Depth=1
	s_or_b32 exec_lo, exec_lo, s2
	s_set_vgpr_msb 0x44                     ;  msbs: dst=1 src0=0 src1=1 src2=0
	v_add_nc_u64_e32 v[52:53] /*v[308:309]*/, 8, v[40:41] /*v[296:297]*/
	s_mov_b32 s2, exec_lo
	s_delay_alu instid0(VALU_DEP_1)
	v_cmpx_gt_i64_e64 s[4:5], v[52:53] /*v[308:309]*/
	s_set_vgpr_msb 0                        ;  msbs: dst=0 src0=0 src1=0 src2=0
	s_cbranch_execz .LBB97_168
; %bb.167:                              ;   in Loop: Header=BB97_147 Depth=1
	s_set_vgpr_msb 0x41                     ;  msbs: dst=1 src0=1 src1=0 src2=0
	v_add_nc_u64_e32 v[52:53] /*v[308:309]*/, v[4:5] /*v[260:261]*/, v[162:163]
	v_add_nc_u64_e32 v[54:55] /*v[310:311]*/, v[6:7] /*v[262:263]*/, v[162:163]
	s_set_vgpr_msb 1                        ;  msbs: dst=0 src0=1 src1=0 src2=0
	global_load_u16 v12, v[52:53] /*v[308:309]*/, off
	s_set_vgpr_msb 0x41                     ;  msbs: dst=1 src0=1 src1=0 src2=0
	global_load_u16 v49 /*v305*/, v[54:55] /*v[310:311]*/, off
	s_wait_loadcnt 0x1
	s_set_vgpr_msb 0                        ;  msbs: dst=0 src0=0 src1=0 src2=0
	v_lshlrev_b32_e32 v12, 16, v12
	s_wait_loadcnt 0x0
	s_set_vgpr_msb 0x44                     ;  msbs: dst=1 src0=0 src1=1 src2=0
	v_lshlrev_b32_e32 v50 /*v306*/, 16, v49 /*v305*/
.LBB97_168:                             ;   in Loop: Header=BB97_147 Depth=1
	s_or_b32 exec_lo, exec_lo, s2
	s_set_vgpr_msb 0x44                     ;  msbs: dst=1 src0=0 src1=1 src2=0
	v_add_nc_u64_e32 v[52:53] /*v[308:309]*/, 9, v[40:41] /*v[296:297]*/
	v_dual_mov_b32 v54 /*v310*/, 0 :: v_dual_mov_b32 v56 /*v312*/, 0
	s_mov_b32 s2, exec_lo
	s_delay_alu instid0(VALU_DEP_2)
	v_cmpx_gt_i64_e64 s[4:5], v[52:53] /*v[308:309]*/
	s_set_vgpr_msb 0                        ;  msbs: dst=0 src0=0 src1=0 src2=0
	s_cbranch_execz .LBB97_170
; %bb.169:                              ;   in Loop: Header=BB97_147 Depth=1
	s_set_vgpr_msb 0x41                     ;  msbs: dst=1 src0=1 src1=0 src2=0
	v_add_nc_u64_e32 v[52:53] /*v[308:309]*/, v[0:1] /*v[256:257]*/, v[162:163]
	v_add_nc_u64_e32 v[56:57] /*v[312:313]*/, v[2:3] /*v[258:259]*/, v[162:163]
	s_set_vgpr_msb 1                        ;  msbs: dst=0 src0=1 src1=0 src2=0
	global_load_u16 v13, v[52:53] /*v[308:309]*/, off
	s_set_vgpr_msb 0x41                     ;  msbs: dst=1 src0=1 src1=0 src2=0
	global_load_u16 v49 /*v305*/, v[56:57] /*v[312:313]*/, off
	s_wait_loadcnt 0x1
	s_set_vgpr_msb 0                        ;  msbs: dst=0 src0=0 src1=0 src2=0
	v_lshlrev_b32_e32 v13, 16, v13
	s_wait_loadcnt 0x0
	s_set_vgpr_msb 0x44                     ;  msbs: dst=1 src0=0 src1=1 src2=0
	v_lshlrev_b32_e32 v56 /*v312*/, 16, v49 /*v305*/
.LBB97_170:                             ;   in Loop: Header=BB97_147 Depth=1
	s_or_b32 exec_lo, exec_lo, s2
	s_set_vgpr_msb 0x44                     ;  msbs: dst=1 src0=0 src1=1 src2=0
	v_add_nc_u64_e32 v[52:53] /*v[308:309]*/, 10, v[40:41] /*v[296:297]*/
	s_mov_b32 s2, exec_lo
	s_delay_alu instid0(VALU_DEP_1)
	v_cmpx_gt_i64_e64 s[4:5], v[52:53] /*v[308:309]*/
	s_set_vgpr_msb 0                        ;  msbs: dst=0 src0=0 src1=0 src2=0
	s_cbranch_execz .LBB97_172
; %bb.171:                              ;   in Loop: Header=BB97_147 Depth=1
	s_set_vgpr_msb 64                       ;  msbs: dst=1 src0=0 src1=0 src2=0
	v_add_nc_u64_e32 v[52:53] /*v[308:309]*/, v[252:253], v[162:163]
	v_add_nc_u64_e32 v[54:55] /*v[310:311]*/, v[254:255], v[162:163]
	s_set_vgpr_msb 1                        ;  msbs: dst=0 src0=1 src1=0 src2=0
	global_load_u16 v14, v[52:53] /*v[308:309]*/, off
	s_set_vgpr_msb 0x41                     ;  msbs: dst=1 src0=1 src1=0 src2=0
	global_load_u16 v49 /*v305*/, v[54:55] /*v[310:311]*/, off
	s_wait_loadcnt 0x1
	s_set_vgpr_msb 0                        ;  msbs: dst=0 src0=0 src1=0 src2=0
	v_lshlrev_b32_e32 v14, 16, v14
	s_wait_loadcnt 0x0
	s_set_vgpr_msb 0x44                     ;  msbs: dst=1 src0=0 src1=1 src2=0
	v_lshlrev_b32_e32 v54 /*v310*/, 16, v49 /*v305*/
.LBB97_172:                             ;   in Loop: Header=BB97_147 Depth=1
	s_or_b32 exec_lo, exec_lo, s2
	s_set_vgpr_msb 0x44                     ;  msbs: dst=1 src0=0 src1=1 src2=0
	v_add_nc_u64_e32 v[52:53] /*v[308:309]*/, 11, v[40:41] /*v[296:297]*/
	v_mov_b32_e32 v49 /*v305*/, 0
	s_delay_alu instid0(VALU_DEP_2)
	v_cmp_gt_i64_e32 vcc_lo, s[4:5], v[52:53] /*v[308:309]*/
	v_mov_b32_e32 v52 /*v308*/, 0
	s_and_saveexec_b32 s2, vcc_lo
	s_set_vgpr_msb 0                        ;  msbs: dst=0 src0=0 src1=0 src2=0
	s_cbranch_execz .LBB97_174
; %bb.173:                              ;   in Loop: Header=BB97_147 Depth=1
	s_set_vgpr_msb 64                       ;  msbs: dst=1 src0=0 src1=0 src2=0
	v_add_nc_u64_e32 v[52:53] /*v[308:309]*/, v[248:249], v[162:163]
	v_add_nc_u64_e32 v[58:59] /*v[314:315]*/, v[250:251], v[162:163]
	s_set_vgpr_msb 1                        ;  msbs: dst=0 src0=1 src1=0 src2=0
	global_load_u16 v15, v[52:53] /*v[308:309]*/, off
	s_set_vgpr_msb 0x41                     ;  msbs: dst=1 src0=1 src1=0 src2=0
	global_load_u16 v55 /*v311*/, v[58:59] /*v[314:315]*/, off
	s_wait_loadcnt 0x1
	s_set_vgpr_msb 0                        ;  msbs: dst=0 src0=0 src1=0 src2=0
	v_lshlrev_b32_e32 v15, 16, v15
	s_wait_loadcnt 0x0
	s_set_vgpr_msb 0x44                     ;  msbs: dst=1 src0=0 src1=1 src2=0
	v_lshlrev_b32_e32 v52 /*v308*/, 16, v55 /*v311*/
.LBB97_174:                             ;   in Loop: Header=BB97_147 Depth=1
	s_or_b32 exec_lo, exec_lo, s2
	s_set_vgpr_msb 0x44                     ;  msbs: dst=1 src0=0 src1=1 src2=0
	v_add_nc_u64_e32 v[58:59] /*v[314:315]*/, 12, v[40:41] /*v[296:297]*/
	s_mov_b32 s2, exec_lo
	s_delay_alu instid0(VALU_DEP_1)
	v_cmpx_gt_i64_e64 s[4:5], v[58:59] /*v[314:315]*/
	s_set_vgpr_msb 0                        ;  msbs: dst=0 src0=0 src1=0 src2=0
	s_cbranch_execz .LBB97_176
; %bb.175:                              ;   in Loop: Header=BB97_147 Depth=1
	s_set_vgpr_msb 64                       ;  msbs: dst=1 src0=0 src1=0 src2=0
	v_add_nc_u64_e32 v[58:59] /*v[314:315]*/, v[244:245], v[162:163]
	v_add_nc_u64_e32 v[60:61] /*v[316:317]*/, v[246:247], v[162:163]
	s_set_vgpr_msb 1                        ;  msbs: dst=0 src0=1 src1=0 src2=0
	global_load_u16 v16, v[58:59] /*v[314:315]*/, off
	s_set_vgpr_msb 0x41                     ;  msbs: dst=1 src0=1 src1=0 src2=0
	global_load_u16 v49 /*v305*/, v[60:61] /*v[316:317]*/, off
	s_wait_loadcnt 0x1
	s_set_vgpr_msb 0                        ;  msbs: dst=0 src0=0 src1=0 src2=0
	v_lshlrev_b32_e32 v16, 16, v16
	s_wait_loadcnt 0x0
	s_set_vgpr_msb 0x44                     ;  msbs: dst=1 src0=0 src1=1 src2=0
	v_lshlrev_b32_e32 v49 /*v305*/, 16, v49 /*v305*/
.LBB97_176:                             ;   in Loop: Header=BB97_147 Depth=1
	s_or_b32 exec_lo, exec_lo, s2
	s_set_vgpr_msb 0x44                     ;  msbs: dst=1 src0=0 src1=1 src2=0
	v_add_nc_u64_e32 v[58:59] /*v[314:315]*/, 13, v[40:41] /*v[296:297]*/
	v_dual_mov_b32 v53 /*v309*/, 0 :: v_dual_mov_b32 v55 /*v311*/, 0
	s_mov_b32 s2, exec_lo
	s_delay_alu instid0(VALU_DEP_2)
	v_cmpx_gt_i64_e64 s[4:5], v[58:59] /*v[314:315]*/
	s_set_vgpr_msb 0                        ;  msbs: dst=0 src0=0 src1=0 src2=0
	s_cbranch_execz .LBB97_178
; %bb.177:                              ;   in Loop: Header=BB97_147 Depth=1
	s_set_vgpr_msb 64                       ;  msbs: dst=1 src0=0 src1=0 src2=0
	v_add_nc_u64_e32 v[58:59] /*v[314:315]*/, v[240:241], v[162:163]
	v_add_nc_u64_e32 v[60:61] /*v[316:317]*/, v[242:243], v[162:163]
	s_set_vgpr_msb 1                        ;  msbs: dst=0 src0=1 src1=0 src2=0
	global_load_u16 v17, v[58:59] /*v[314:315]*/, off
	s_set_vgpr_msb 0x41                     ;  msbs: dst=1 src0=1 src1=0 src2=0
	global_load_u16 v55 /*v311*/, v[60:61] /*v[316:317]*/, off
	s_wait_loadcnt 0x1
	s_set_vgpr_msb 0                        ;  msbs: dst=0 src0=0 src1=0 src2=0
	v_lshlrev_b32_e32 v17, 16, v17
	s_wait_loadcnt 0x0
	s_set_vgpr_msb 0x44                     ;  msbs: dst=1 src0=0 src1=1 src2=0
	v_lshlrev_b32_e32 v55 /*v311*/, 16, v55 /*v311*/
.LBB97_178:                             ;   in Loop: Header=BB97_147 Depth=1
	s_or_b32 exec_lo, exec_lo, s2
	s_set_vgpr_msb 0x44                     ;  msbs: dst=1 src0=0 src1=1 src2=0
	v_add_nc_u64_e32 v[58:59] /*v[314:315]*/, 14, v[40:41] /*v[296:297]*/
	s_mov_b32 s2, exec_lo
	s_delay_alu instid0(VALU_DEP_1)
	v_cmpx_gt_i64_e64 s[4:5], v[58:59] /*v[314:315]*/
	s_set_vgpr_msb 0                        ;  msbs: dst=0 src0=0 src1=0 src2=0
	s_cbranch_execz .LBB97_180
; %bb.179:                              ;   in Loop: Header=BB97_147 Depth=1
	s_set_vgpr_msb 64                       ;  msbs: dst=1 src0=0 src1=0 src2=0
	v_add_nc_u64_e32 v[58:59] /*v[314:315]*/, v[236:237], v[162:163]
	v_add_nc_u64_e32 v[60:61] /*v[316:317]*/, v[238:239], v[162:163]
	s_set_vgpr_msb 1                        ;  msbs: dst=0 src0=1 src1=0 src2=0
	global_load_u16 v18, v[58:59] /*v[314:315]*/, off
	s_set_vgpr_msb 0x41                     ;  msbs: dst=1 src0=1 src1=0 src2=0
	global_load_u16 v53 /*v309*/, v[60:61] /*v[316:317]*/, off
	s_wait_loadcnt 0x1
	s_set_vgpr_msb 0                        ;  msbs: dst=0 src0=0 src1=0 src2=0
	v_lshlrev_b32_e32 v18, 16, v18
	s_wait_loadcnt 0x0
	s_set_vgpr_msb 0x44                     ;  msbs: dst=1 src0=0 src1=1 src2=0
	v_lshlrev_b32_e32 v53 /*v309*/, 16, v53 /*v309*/
.LBB97_180:                             ;   in Loop: Header=BB97_147 Depth=1
	s_or_b32 exec_lo, exec_lo, s2
	s_set_vgpr_msb 0x44                     ;  msbs: dst=1 src0=0 src1=1 src2=0
	v_add_nc_u64_e32 v[58:59] /*v[314:315]*/, 15, v[40:41] /*v[296:297]*/
	v_mov_b32_e32 v57 /*v313*/, 0
	s_delay_alu instid0(VALU_DEP_2)
	v_cmp_gt_i64_e32 vcc_lo, s[4:5], v[58:59] /*v[314:315]*/
	v_mov_b32_e32 v58 /*v314*/, 0
	s_and_saveexec_b32 s2, vcc_lo
	s_set_vgpr_msb 0                        ;  msbs: dst=0 src0=0 src1=0 src2=0
	s_cbranch_execz .LBB97_182
; %bb.181:                              ;   in Loop: Header=BB97_147 Depth=1
	s_set_vgpr_msb 64                       ;  msbs: dst=1 src0=0 src1=0 src2=0
	v_add_nc_u64_e32 v[58:59] /*v[314:315]*/, v[232:233], v[162:163]
	v_add_nc_u64_e32 v[60:61] /*v[316:317]*/, v[234:235], v[162:163]
	s_set_vgpr_msb 1                        ;  msbs: dst=0 src0=1 src1=0 src2=0
	global_load_u16 v19, v[58:59] /*v[314:315]*/, off
	s_set_vgpr_msb 0x41                     ;  msbs: dst=1 src0=1 src1=0 src2=0
	global_load_u16 v62 /*v318*/, v[60:61] /*v[316:317]*/, off
	s_wait_loadcnt 0x1
	s_set_vgpr_msb 0                        ;  msbs: dst=0 src0=0 src1=0 src2=0
	v_lshlrev_b32_e32 v19, 16, v19
	s_wait_loadcnt 0x0
	s_set_vgpr_msb 0x44                     ;  msbs: dst=1 src0=0 src1=1 src2=0
	v_lshlrev_b32_e32 v58 /*v314*/, 16, v62 /*v318*/
.LBB97_182:                             ;   in Loop: Header=BB97_147 Depth=1
	s_or_b32 exec_lo, exec_lo, s2
	s_set_vgpr_msb 0x44                     ;  msbs: dst=1 src0=0 src1=1 src2=0
	v_add_nc_u64_e32 v[60:61] /*v[316:317]*/, 16, v[40:41] /*v[296:297]*/
	s_mov_b32 s2, exec_lo
	s_delay_alu instid0(VALU_DEP_1)
	v_cmpx_gt_i64_e64 s[4:5], v[60:61] /*v[316:317]*/
	s_set_vgpr_msb 0                        ;  msbs: dst=0 src0=0 src1=0 src2=0
	s_cbranch_execz .LBB97_184
; %bb.183:                              ;   in Loop: Header=BB97_147 Depth=1
	s_set_vgpr_msb 64                       ;  msbs: dst=1 src0=0 src1=0 src2=0
	v_add_nc_u64_e32 v[60:61] /*v[316:317]*/, v[228:229], v[162:163]
	v_add_nc_u64_e32 v[62:63] /*v[318:319]*/, v[230:231], v[162:163]
	s_set_vgpr_msb 1                        ;  msbs: dst=0 src0=1 src1=0 src2=0
	global_load_u16 v20, v[60:61] /*v[316:317]*/, off
	s_set_vgpr_msb 0x41                     ;  msbs: dst=1 src0=1 src1=0 src2=0
	global_load_u16 v57 /*v313*/, v[62:63] /*v[318:319]*/, off
	s_wait_loadcnt 0x1
	s_set_vgpr_msb 0                        ;  msbs: dst=0 src0=0 src1=0 src2=0
	v_lshlrev_b32_e32 v20, 16, v20
	s_wait_loadcnt 0x0
	s_set_vgpr_msb 0x44                     ;  msbs: dst=1 src0=0 src1=1 src2=0
	v_lshlrev_b32_e32 v57 /*v313*/, 16, v57 /*v313*/
.LBB97_184:                             ;   in Loop: Header=BB97_147 Depth=1
	s_or_b32 exec_lo, exec_lo, s2
	s_set_vgpr_msb 0x44                     ;  msbs: dst=1 src0=0 src1=1 src2=0
	v_add_nc_u64_e32 v[60:61] /*v[316:317]*/, 17, v[40:41] /*v[296:297]*/
	v_mov_b32_e32 v59 /*v315*/, 0
	s_delay_alu instid0(VALU_DEP_2)
	v_cmp_gt_i64_e32 vcc_lo, s[4:5], v[60:61] /*v[316:317]*/
	v_mov_b32_e32 v61 /*v317*/, 0
	s_and_saveexec_b32 s2, vcc_lo
	s_set_vgpr_msb 0                        ;  msbs: dst=0 src0=0 src1=0 src2=0
	s_cbranch_execz .LBB97_186
; %bb.185:                              ;   in Loop: Header=BB97_147 Depth=1
	s_set_vgpr_msb 64                       ;  msbs: dst=1 src0=0 src1=0 src2=0
	v_add_nc_u64_e32 v[60:61] /*v[316:317]*/, v[224:225], v[162:163]
	v_add_nc_u64_e32 v[62:63] /*v[318:319]*/, v[226:227], v[162:163]
	s_set_vgpr_msb 1                        ;  msbs: dst=0 src0=1 src1=0 src2=0
	global_load_u16 v21, v[60:61] /*v[316:317]*/, off
	s_set_vgpr_msb 0x41                     ;  msbs: dst=1 src0=1 src1=0 src2=0
	global_load_u16 v64 /*v320*/, v[62:63] /*v[318:319]*/, off
	s_wait_loadcnt 0x1
	s_set_vgpr_msb 0                        ;  msbs: dst=0 src0=0 src1=0 src2=0
	v_lshlrev_b32_e32 v21, 16, v21
	s_wait_loadcnt 0x0
	s_set_vgpr_msb 0x44                     ;  msbs: dst=1 src0=0 src1=1 src2=0
	v_lshlrev_b32_e32 v61 /*v317*/, 16, v64 /*v320*/
.LBB97_186:                             ;   in Loop: Header=BB97_147 Depth=1
	s_or_b32 exec_lo, exec_lo, s2
	s_set_vgpr_msb 0x44                     ;  msbs: dst=1 src0=0 src1=1 src2=0
	v_add_nc_u64_e32 v[62:63] /*v[318:319]*/, 18, v[40:41] /*v[296:297]*/
	s_mov_b32 s2, exec_lo
	s_delay_alu instid0(VALU_DEP_1)
	v_cmpx_gt_i64_e64 s[4:5], v[62:63] /*v[318:319]*/
	s_set_vgpr_msb 0                        ;  msbs: dst=0 src0=0 src1=0 src2=0
	s_cbranch_execz .LBB97_188
; %bb.187:                              ;   in Loop: Header=BB97_147 Depth=1
	s_set_vgpr_msb 64                       ;  msbs: dst=1 src0=0 src1=0 src2=0
	v_add_nc_u64_e32 v[62:63] /*v[318:319]*/, v[220:221], v[162:163]
	v_add_nc_u64_e32 v[64:65] /*v[320:321]*/, v[222:223], v[162:163]
	s_set_vgpr_msb 1                        ;  msbs: dst=0 src0=1 src1=0 src2=0
	global_load_u16 v22, v[62:63] /*v[318:319]*/, off
	s_set_vgpr_msb 0x41                     ;  msbs: dst=1 src0=1 src1=0 src2=0
	global_load_u16 v59 /*v315*/, v[64:65] /*v[320:321]*/, off
	s_wait_loadcnt 0x1
	s_set_vgpr_msb 0                        ;  msbs: dst=0 src0=0 src1=0 src2=0
	v_lshlrev_b32_e32 v22, 16, v22
	s_wait_loadcnt 0x0
	s_set_vgpr_msb 0x44                     ;  msbs: dst=1 src0=0 src1=1 src2=0
	v_lshlrev_b32_e32 v59 /*v315*/, 16, v59 /*v315*/
.LBB97_188:                             ;   in Loop: Header=BB97_147 Depth=1
	s_or_b32 exec_lo, exec_lo, s2
	s_set_vgpr_msb 0x44                     ;  msbs: dst=1 src0=0 src1=1 src2=0
	v_add_nc_u64_e32 v[62:63] /*v[318:319]*/, 19, v[40:41] /*v[296:297]*/
	v_dual_mov_b32 v64 /*v320*/, 0 :: v_dual_mov_b32 v65 /*v321*/, 0
	s_mov_b32 s2, exec_lo
	s_delay_alu instid0(VALU_DEP_2)
	v_cmpx_gt_i64_e64 s[4:5], v[62:63] /*v[318:319]*/
	s_set_vgpr_msb 0                        ;  msbs: dst=0 src0=0 src1=0 src2=0
	s_cbranch_execz .LBB97_190
; %bb.189:                              ;   in Loop: Header=BB97_147 Depth=1
	s_set_vgpr_msb 64                       ;  msbs: dst=1 src0=0 src1=0 src2=0
	v_add_nc_u64_e32 v[62:63] /*v[318:319]*/, v[216:217], v[162:163]
	v_add_nc_u64_e32 v[66:67] /*v[322:323]*/, v[218:219], v[162:163]
	s_set_vgpr_msb 1                        ;  msbs: dst=0 src0=1 src1=0 src2=0
	global_load_u16 v23, v[62:63] /*v[318:319]*/, off
	s_set_vgpr_msb 0x41                     ;  msbs: dst=1 src0=1 src1=0 src2=0
	global_load_u16 v60 /*v316*/, v[66:67] /*v[322:323]*/, off
	s_wait_loadcnt 0x1
	s_set_vgpr_msb 0                        ;  msbs: dst=0 src0=0 src1=0 src2=0
	v_lshlrev_b32_e32 v23, 16, v23
	s_wait_loadcnt 0x0
	s_set_vgpr_msb 0x44                     ;  msbs: dst=1 src0=0 src1=1 src2=0
	v_lshlrev_b32_e32 v65 /*v321*/, 16, v60 /*v316*/
.LBB97_190:                             ;   in Loop: Header=BB97_147 Depth=1
	s_or_b32 exec_lo, exec_lo, s2
	s_set_vgpr_msb 0x44                     ;  msbs: dst=1 src0=0 src1=1 src2=0
	v_add_nc_u64_e32 v[62:63] /*v[318:319]*/, 20, v[40:41] /*v[296:297]*/
	s_mov_b32 s2, exec_lo
	s_delay_alu instid0(VALU_DEP_1)
	v_cmpx_gt_i64_e64 s[4:5], v[62:63] /*v[318:319]*/
	s_set_vgpr_msb 0                        ;  msbs: dst=0 src0=0 src1=0 src2=0
	s_cbranch_execz .LBB97_192
; %bb.191:                              ;   in Loop: Header=BB97_147 Depth=1
	s_set_vgpr_msb 64                       ;  msbs: dst=1 src0=0 src1=0 src2=0
	v_add_nc_u64_e32 v[62:63] /*v[318:319]*/, v[212:213], v[162:163]
	v_add_nc_u64_e32 v[66:67] /*v[322:323]*/, v[214:215], v[162:163]
	s_set_vgpr_msb 1                        ;  msbs: dst=0 src0=1 src1=0 src2=0
	global_load_u16 v24, v[62:63] /*v[318:319]*/, off
	s_set_vgpr_msb 0x41                     ;  msbs: dst=1 src0=1 src1=0 src2=0
	global_load_u16 v60 /*v316*/, v[66:67] /*v[322:323]*/, off
	s_wait_loadcnt 0x1
	s_set_vgpr_msb 0                        ;  msbs: dst=0 src0=0 src1=0 src2=0
	v_lshlrev_b32_e32 v24, 16, v24
	s_wait_loadcnt 0x0
	s_set_vgpr_msb 0x44                     ;  msbs: dst=1 src0=0 src1=1 src2=0
	v_lshlrev_b32_e32 v64 /*v320*/, 16, v60 /*v316*/
.LBB97_192:                             ;   in Loop: Header=BB97_147 Depth=1
	s_or_b32 exec_lo, exec_lo, s2
	s_set_vgpr_msb 0x44                     ;  msbs: dst=1 src0=0 src1=1 src2=0
	v_add_nc_u64_e32 v[62:63] /*v[318:319]*/, 21, v[40:41] /*v[296:297]*/
	v_dual_mov_b32 v60 /*v316*/, 0 :: v_dual_mov_b32 v71 /*v327*/, 0
	s_mov_b32 s2, exec_lo
	s_delay_alu instid0(VALU_DEP_2)
	v_cmpx_gt_i64_e64 s[4:5], v[62:63] /*v[318:319]*/
	s_set_vgpr_msb 0                        ;  msbs: dst=0 src0=0 src1=0 src2=0
	s_cbranch_execz .LBB97_194
; %bb.193:                              ;   in Loop: Header=BB97_147 Depth=1
	s_set_vgpr_msb 64                       ;  msbs: dst=1 src0=0 src1=0 src2=0
	v_add_nc_u64_e32 v[62:63] /*v[318:319]*/, v[208:209], v[162:163]
	v_add_nc_u64_e32 v[66:67] /*v[322:323]*/, v[210:211], v[162:163]
	s_set_vgpr_msb 1                        ;  msbs: dst=0 src0=1 src1=0 src2=0
	global_load_u16 v25, v[62:63] /*v[318:319]*/, off
	s_set_vgpr_msb 0x41                     ;  msbs: dst=1 src0=1 src1=0 src2=0
	global_load_u16 v68 /*v324*/, v[66:67] /*v[322:323]*/, off
	s_wait_loadcnt 0x1
	s_set_vgpr_msb 0                        ;  msbs: dst=0 src0=0 src1=0 src2=0
	v_lshlrev_b32_e32 v25, 16, v25
	s_wait_loadcnt 0x0
	s_set_vgpr_msb 0x44                     ;  msbs: dst=1 src0=0 src1=1 src2=0
	v_lshlrev_b32_e32 v71 /*v327*/, 16, v68 /*v324*/
.LBB97_194:                             ;   in Loop: Header=BB97_147 Depth=1
	s_or_b32 exec_lo, exec_lo, s2
	s_set_vgpr_msb 0x44                     ;  msbs: dst=1 src0=0 src1=1 src2=0
	v_add_nc_u64_e32 v[62:63] /*v[318:319]*/, 22, v[40:41] /*v[296:297]*/
	s_mov_b32 s2, exec_lo
	s_delay_alu instid0(VALU_DEP_1)
	v_cmpx_gt_i64_e64 s[4:5], v[62:63] /*v[318:319]*/
	s_set_vgpr_msb 0                        ;  msbs: dst=0 src0=0 src1=0 src2=0
	s_cbranch_execz .LBB97_196
; %bb.195:                              ;   in Loop: Header=BB97_147 Depth=1
	s_set_vgpr_msb 64                       ;  msbs: dst=1 src0=0 src1=0 src2=0
	v_add_nc_u64_e32 v[62:63] /*v[318:319]*/, v[204:205], v[162:163]
	v_add_nc_u64_e32 v[66:67] /*v[322:323]*/, v[206:207], v[162:163]
	s_set_vgpr_msb 1                        ;  msbs: dst=0 src0=1 src1=0 src2=0
	global_load_u16 v26, v[62:63] /*v[318:319]*/, off
	s_set_vgpr_msb 0x41                     ;  msbs: dst=1 src0=1 src1=0 src2=0
	global_load_u16 v60 /*v316*/, v[66:67] /*v[322:323]*/, off
	s_wait_loadcnt 0x1
	s_set_vgpr_msb 0                        ;  msbs: dst=0 src0=0 src1=0 src2=0
	v_lshlrev_b32_e32 v26, 16, v26
	s_wait_loadcnt 0x0
	s_set_vgpr_msb 0x44                     ;  msbs: dst=1 src0=0 src1=1 src2=0
	v_lshlrev_b32_e32 v60 /*v316*/, 16, v60 /*v316*/
.LBB97_196:                             ;   in Loop: Header=BB97_147 Depth=1
	s_or_b32 exec_lo, exec_lo, s2
	s_set_vgpr_msb 0x44                     ;  msbs: dst=1 src0=0 src1=1 src2=0
	v_add_nc_u64_e32 v[62:63] /*v[318:319]*/, 23, v[40:41] /*v[296:297]*/
	s_delay_alu instid0(VALU_DEP_1)
	v_cmp_gt_i64_e32 vcc_lo, s[4:5], v[62:63] /*v[318:319]*/
	v_dual_mov_b32 v62 /*v318*/, 0 :: v_dual_mov_b32 v63 /*v319*/, 0
	s_and_saveexec_b32 s2, vcc_lo
	s_set_vgpr_msb 0                        ;  msbs: dst=0 src0=0 src1=0 src2=0
	s_cbranch_execz .LBB97_198
; %bb.197:                              ;   in Loop: Header=BB97_147 Depth=1
	s_set_vgpr_msb 64                       ;  msbs: dst=1 src0=0 src1=0 src2=0
	v_add_nc_u64_e32 v[66:67] /*v[322:323]*/, v[200:201], v[162:163]
	v_add_nc_u64_e32 v[68:69] /*v[324:325]*/, v[202:203], v[162:163]
	s_set_vgpr_msb 1                        ;  msbs: dst=0 src0=1 src1=0 src2=0
	global_load_u16 v27, v[66:67] /*v[322:323]*/, off
	s_set_vgpr_msb 0x41                     ;  msbs: dst=1 src0=1 src1=0 src2=0
	global_load_u16 v63 /*v319*/, v[68:69] /*v[324:325]*/, off
	s_wait_loadcnt 0x1
	s_set_vgpr_msb 0                        ;  msbs: dst=0 src0=0 src1=0 src2=0
	v_lshlrev_b32_e32 v27, 16, v27
	s_wait_loadcnt 0x0
	s_set_vgpr_msb 0x44                     ;  msbs: dst=1 src0=0 src1=1 src2=0
	v_lshlrev_b32_e32 v63 /*v319*/, 16, v63 /*v319*/
.LBB97_198:                             ;   in Loop: Header=BB97_147 Depth=1
	s_or_b32 exec_lo, exec_lo, s2
	s_set_vgpr_msb 0x44                     ;  msbs: dst=1 src0=0 src1=1 src2=0
	v_add_nc_u64_e32 v[66:67] /*v[322:323]*/, 24, v[40:41] /*v[296:297]*/
	s_mov_b32 s2, exec_lo
	s_delay_alu instid0(VALU_DEP_1)
	v_cmpx_gt_i64_e64 s[4:5], v[66:67] /*v[322:323]*/
	s_set_vgpr_msb 0                        ;  msbs: dst=0 src0=0 src1=0 src2=0
	s_cbranch_execz .LBB97_200
; %bb.199:                              ;   in Loop: Header=BB97_147 Depth=1
	s_set_vgpr_msb 64                       ;  msbs: dst=1 src0=0 src1=0 src2=0
	v_add_nc_u64_e32 v[66:67] /*v[322:323]*/, v[196:197], v[162:163]
	v_add_nc_u64_e32 v[68:69] /*v[324:325]*/, v[198:199], v[162:163]
	s_set_vgpr_msb 1                        ;  msbs: dst=0 src0=1 src1=0 src2=0
	global_load_u16 v28, v[66:67] /*v[322:323]*/, off
	s_set_vgpr_msb 0x41                     ;  msbs: dst=1 src0=1 src1=0 src2=0
	global_load_u16 v62 /*v318*/, v[68:69] /*v[324:325]*/, off
	s_wait_loadcnt 0x1
	s_set_vgpr_msb 0                        ;  msbs: dst=0 src0=0 src1=0 src2=0
	v_lshlrev_b32_e32 v28, 16, v28
	s_wait_loadcnt 0x0
	s_set_vgpr_msb 0x44                     ;  msbs: dst=1 src0=0 src1=1 src2=0
	v_lshlrev_b32_e32 v62 /*v318*/, 16, v62 /*v318*/
.LBB97_200:                             ;   in Loop: Header=BB97_147 Depth=1
	s_or_b32 exec_lo, exec_lo, s2
	s_set_vgpr_msb 0x44                     ;  msbs: dst=1 src0=0 src1=1 src2=0
	v_add_nc_u64_e32 v[66:67] /*v[322:323]*/, 25, v[40:41] /*v[296:297]*/
	s_delay_alu instid0(VALU_DEP_1)
	v_cmp_gt_i64_e32 vcc_lo, s[4:5], v[66:67] /*v[322:323]*/
	v_dual_mov_b32 v66 /*v322*/, 0 :: v_dual_mov_b32 v67 /*v323*/, 0
	s_and_saveexec_b32 s2, vcc_lo
	;; [unrolled: 47-line block ×4, first 2 shown]
	s_set_vgpr_msb 0                        ;  msbs: dst=0 src0=0 src1=0 src2=0
	s_cbranch_execz .LBB97_210
; %bb.209:                              ;   in Loop: Header=BB97_147 Depth=1
	s_set_vgpr_msb 64                       ;  msbs: dst=1 src0=0 src1=0 src2=0
	v_add_nc_u64_e32 v[74:75] /*v[330:331]*/, v[176:177], v[162:163]
	v_add_nc_u64_e32 v[76:77] /*v[332:333]*/, v[178:179], v[162:163]
	s_set_vgpr_msb 1                        ;  msbs: dst=0 src0=1 src1=0 src2=0
	global_load_u16 v33, v[74:75] /*v[330:331]*/, off
	s_set_vgpr_msb 0x41                     ;  msbs: dst=1 src0=1 src1=0 src2=0
	global_load_u16 v70 /*v326*/, v[76:77] /*v[332:333]*/, off
	s_wait_loadcnt 0x1
	s_set_vgpr_msb 0                        ;  msbs: dst=0 src0=0 src1=0 src2=0
	v_lshlrev_b32_e32 v33, 16, v33
	s_wait_loadcnt 0x0
	s_set_vgpr_msb 0x44                     ;  msbs: dst=1 src0=0 src1=1 src2=0
	v_lshlrev_b32_e32 v73 /*v329*/, 16, v70 /*v326*/
.LBB97_210:                             ;   in Loop: Header=BB97_147 Depth=1
	s_or_b32 exec_lo, exec_lo, s2
	s_set_vgpr_msb 0x44                     ;  msbs: dst=1 src0=0 src1=1 src2=0
	v_add_nc_u64_e32 v[74:75] /*v[330:331]*/, 30, v[40:41] /*v[296:297]*/
	s_mov_b32 s2, exec_lo
	s_delay_alu instid0(VALU_DEP_1)
	v_cmpx_gt_i64_e64 s[4:5], v[74:75] /*v[330:331]*/
	s_set_vgpr_msb 0                        ;  msbs: dst=0 src0=0 src1=0 src2=0
	s_cbranch_execz .LBB97_212
; %bb.211:                              ;   in Loop: Header=BB97_147 Depth=1
	s_set_vgpr_msb 64                       ;  msbs: dst=1 src0=0 src1=0 src2=0
	v_add_nc_u64_e32 v[74:75] /*v[330:331]*/, v[172:173], v[162:163]
	v_add_nc_u64_e32 v[76:77] /*v[332:333]*/, v[174:175], v[162:163]
	s_set_vgpr_msb 1                        ;  msbs: dst=0 src0=1 src1=0 src2=0
	global_load_u16 v34, v[74:75] /*v[330:331]*/, off
	s_set_vgpr_msb 0x41                     ;  msbs: dst=1 src0=1 src1=0 src2=0
	global_load_u16 v70 /*v326*/, v[76:77] /*v[332:333]*/, off
	s_wait_loadcnt 0x1
	s_set_vgpr_msb 0                        ;  msbs: dst=0 src0=0 src1=0 src2=0
	v_lshlrev_b32_e32 v34, 16, v34
	s_wait_loadcnt 0x0
	s_set_vgpr_msb 0x44                     ;  msbs: dst=1 src0=0 src1=1 src2=0
	v_lshlrev_b32_e32 v72 /*v328*/, 16, v70 /*v326*/
.LBB97_212:                             ;   in Loop: Header=BB97_147 Depth=1
	s_or_b32 exec_lo, exec_lo, s2
	s_set_vgpr_msb 0x44                     ;  msbs: dst=1 src0=0 src1=1 src2=0
	v_add_nc_u64_e32 v[74:75] /*v[330:331]*/, 31, v[40:41] /*v[296:297]*/
	v_mov_b32_e32 v70 /*v326*/, 0
	s_mov_b32 s2, exec_lo
	s_delay_alu instid0(VALU_DEP_2)
	v_cmpx_gt_i64_e64 s[4:5], v[74:75] /*v[330:331]*/
	s_set_vgpr_msb 0                        ;  msbs: dst=0 src0=0 src1=0 src2=0
	s_cbranch_execz .LBB97_214
; %bb.213:                              ;   in Loop: Header=BB97_147 Depth=1
	s_set_vgpr_msb 64                       ;  msbs: dst=1 src0=0 src1=0 src2=0
	v_add_nc_u64_e32 v[74:75] /*v[330:331]*/, v[168:169], v[162:163]
	v_add_nc_u64_e32 v[76:77] /*v[332:333]*/, v[170:171], v[162:163]
	s_set_vgpr_msb 1                        ;  msbs: dst=0 src0=1 src1=0 src2=0
	global_load_u16 v35, v[74:75] /*v[330:331]*/, off
	s_set_vgpr_msb 0x41                     ;  msbs: dst=1 src0=1 src1=0 src2=0
	global_load_u16 v70 /*v326*/, v[76:77] /*v[332:333]*/, off
	s_wait_loadcnt 0x1
	s_set_vgpr_msb 0                        ;  msbs: dst=0 src0=0 src1=0 src2=0
	v_lshlrev_b32_e32 v35, 16, v35
	s_wait_loadcnt 0x0
	s_set_vgpr_msb 0x44                     ;  msbs: dst=1 src0=0 src1=1 src2=0
	v_lshlrev_b32_e32 v70 /*v326*/, 16, v70 /*v326*/
.LBB97_214:                             ;   in Loop: Header=BB97_147 Depth=1
	s_or_b32 exec_lo, exec_lo, s2
	s_wait_loadcnt 0x1
	s_set_vgpr_msb 0x44                     ;  msbs: dst=1 src0=0 src1=1 src2=0
	ds_bpermute_b32 v75 /*v331*/, v2, v36 /*v292*/
	s_wait_loadcnt 0x0
	ds_bpermute_b32 v74 /*v330*/, v2, v37 /*v293*/
	v_dual_mov_b32 v78 /*v334*/, v6 :: v_dual_mov_b32 v84 /*v340*/, v12
	v_dual_mov_b32 v86 /*v342*/, v13 :: v_dual_mov_b32 v88 /*v344*/, v14
	s_mov_b32 s2, 0
	v_dual_mov_b32 v80 /*v336*/, v7 :: v_dual_mov_b32 v76 /*v332*/, v5
	v_mov_b32_e32 v82 /*v338*/, v9
	s_wait_dscnt 0x1
	s_set_vgpr_msb 0x45                     ;  msbs: dst=1 src0=1 src1=1 src2=0
	v_sub_f32_e32 v43 /*v299*/, v43 /*v299*/, v75 /*v331*/
	s_set_vgpr_msb 0x44                     ;  msbs: dst=1 src0=0 src1=1 src2=0
	s_delay_alu instid0(VALU_DEP_1) | instskip(SKIP_2) | instid1(VALU_DEP_1)
	v_mul_f32_e32 v43 /*v299*/, v4, v43 /*v299*/
	s_wait_dscnt 0x0
	s_set_vgpr_msb 0x45                     ;  msbs: dst=1 src0=1 src1=1 src2=0
	v_mul_f32_e32 v75 /*v331*/, v43 /*v299*/, v74 /*v330*/
	s_set_vgpr_msb 0x44                     ;  msbs: dst=1 src0=0 src1=1 src2=0
	ds_bpermute_b32 v74 /*v330*/, v2, v36 /*v292*/ offset:4
	ds_bpermute_b32 v43 /*v299*/, v2, v37 /*v293*/ offset:4
	s_wait_dscnt 0x1
	s_set_vgpr_msb 0x45                     ;  msbs: dst=1 src0=1 src1=1 src2=0
	v_sub_f32_e32 v44 /*v300*/, v44 /*v300*/, v74 /*v330*/
	s_set_vgpr_msb 0x44                     ;  msbs: dst=1 src0=0 src1=1 src2=0
	s_delay_alu instid0(VALU_DEP_1) | instskip(SKIP_2) | instid1(VALU_DEP_1)
	v_dual_mov_b32 v74 /*v330*/, v4 :: v_dual_mul_f32 v44 /*v300*/, v5, v44 /*v300*/
	s_wait_dscnt 0x0
	s_set_vgpr_msb 0x45                     ;  msbs: dst=1 src0=1 src1=1 src2=0
	v_mul_f32_e32 v77 /*v333*/, v44 /*v300*/, v43 /*v299*/
	s_set_vgpr_msb 0x44                     ;  msbs: dst=1 src0=0 src1=1 src2=0
	ds_bpermute_b32 v44 /*v300*/, v2, v36 /*v292*/ offset:8
	ds_bpermute_b32 v43 /*v299*/, v2, v37 /*v293*/ offset:8
	s_set_vgpr_msb 0x45                     ;  msbs: dst=1 src0=1 src1=1 src2=0
	v_pk_add_f32 v[74:75] /*v[330:331]*/, v[38:39] /*v[294:295]*/, v[74:75] /*v[330:331]*/
	s_set_vgpr_msb 5                        ;  msbs: dst=0 src0=1 src1=1 src2=0
	s_delay_alu instid0(VALU_DEP_1)
	v_pk_add_f32 v[4:5], v[76:77] /*v[332:333]*/, v[74:75] /*v[330:331]*/
	s_wait_dscnt 0x1
	s_set_vgpr_msb 4                        ;  msbs: dst=0 src0=0 src1=1 src2=0
	v_sub_f32_e32 v3, v3, v44 /*v300*/
	s_set_vgpr_msb 64                       ;  msbs: dst=1 src0=0 src1=0 src2=0
	v_mov_b32_e32 v44 /*v300*/, v8
	s_set_vgpr_msb 0                        ;  msbs: dst=0 src0=0 src1=0 src2=0
	s_delay_alu instid0(VALU_DEP_2)
	v_mul_f32_e32 v3, v6, v3
	s_set_vgpr_msb 4                        ;  msbs: dst=0 src0=0 src1=1 src2=0
	ds_bpermute_b32 v6, v2, v36 /*v292*/ offset:44
	s_wait_dscnt 0x0
	s_set_vgpr_msb 1                        ;  msbs: dst=0 src0=1 src1=0 src2=0
	v_sub_f32_e32 v6, v52 /*v308*/, v6
	s_set_vgpr_msb 64                       ;  msbs: dst=1 src0=0 src1=0 src2=0
	v_mov_b32_e32 v52 /*v308*/, v23
	s_set_vgpr_msb 0                        ;  msbs: dst=0 src0=0 src1=0 src2=0
	s_delay_alu instid0(VALU_DEP_2)
	v_mul_f32_e32 v6, v15, v6
	s_set_vgpr_msb 0x44                     ;  msbs: dst=1 src0=0 src1=1 src2=0
	v_mul_f32_e32 v79 /*v335*/, v3, v43 /*v299*/
	ds_bpermute_b32 v43 /*v299*/, v2, v36 /*v292*/ offset:12
	s_set_vgpr_msb 4                        ;  msbs: dst=0 src0=0 src1=1 src2=0
	ds_bpermute_b32 v3, v2, v37 /*v293*/ offset:12
	s_wait_dscnt 0x1
	s_set_vgpr_msb 0x45                     ;  msbs: dst=1 src0=1 src1=1 src2=0
	v_sub_f32_e32 v43 /*v299*/, v46 /*v302*/, v43 /*v299*/
	s_set_vgpr_msb 0x44                     ;  msbs: dst=1 src0=0 src1=1 src2=0
	s_delay_alu instid0(VALU_DEP_1) | instskip(SKIP_2) | instid1(VALU_DEP_1)
	v_dual_mov_b32 v46 /*v302*/, v10 :: v_dual_mul_f32 v43 /*v299*/, v7, v43 /*v299*/
	s_wait_dscnt 0x0
	s_set_vgpr_msb 0x41                     ;  msbs: dst=1 src0=1 src1=0 src2=0
	v_mul_f32_e32 v81 /*v337*/, v43 /*v299*/, v3
	s_set_vgpr_msb 0x44                     ;  msbs: dst=1 src0=0 src1=1 src2=0
	ds_bpermute_b32 v43 /*v299*/, v2, v36 /*v292*/ offset:16
	s_set_vgpr_msb 4                        ;  msbs: dst=0 src0=0 src1=1 src2=0
	ds_bpermute_b32 v3, v2, v37 /*v293*/ offset:16
	s_wait_dscnt 0x1
	s_set_vgpr_msb 0x45                     ;  msbs: dst=1 src0=1 src1=1 src2=0
	v_sub_f32_e32 v43 /*v299*/, v45 /*v301*/, v43 /*v299*/
	s_set_vgpr_msb 0x44                     ;  msbs: dst=1 src0=0 src1=1 src2=0
	s_delay_alu instid0(VALU_DEP_1)
	v_mul_f32_e32 v43 /*v299*/, v8, v43 /*v299*/
	s_set_vgpr_msb 1                        ;  msbs: dst=0 src0=1 src1=0 src2=0
	v_pk_add_f32 v[4:5], v[78:79] /*v[334:335]*/, v[4:5]
	s_set_vgpr_msb 0                        ;  msbs: dst=0 src0=0 src1=0 src2=0
	v_mov_b32_e32 v8, v16
	s_wait_dscnt 0x0
	s_set_vgpr_msb 0x41                     ;  msbs: dst=1 src0=1 src1=0 src2=0
	v_mul_f32_e32 v45 /*v301*/, v43 /*v299*/, v3
	s_set_vgpr_msb 0x44                     ;  msbs: dst=1 src0=0 src1=1 src2=0
	ds_bpermute_b32 v43 /*v299*/, v2, v36 /*v292*/ offset:20
	s_set_vgpr_msb 4                        ;  msbs: dst=0 src0=0 src1=1 src2=0
	ds_bpermute_b32 v3, v2, v37 /*v293*/ offset:20
	s_set_vgpr_msb 1                        ;  msbs: dst=0 src0=1 src1=0 src2=0
	v_pk_add_f32 v[4:5], v[80:81] /*v[336:337]*/, v[4:5]
	s_delay_alu instid0(VALU_DEP_1)
	v_pk_add_f32 v[4:5], v[44:45] /*v[300:301]*/, v[4:5]
	s_set_vgpr_msb 64                       ;  msbs: dst=1 src0=0 src1=0 src2=0
	v_mov_b32_e32 v44 /*v300*/, v19
	s_wait_dscnt 0x1
	s_set_vgpr_msb 0x45                     ;  msbs: dst=1 src0=1 src1=1 src2=0
	v_sub_f32_e32 v43 /*v299*/, v48 /*v304*/, v43 /*v299*/
	s_set_vgpr_msb 0x44                     ;  msbs: dst=1 src0=0 src1=1 src2=0
	v_mov_b32_e32 v48 /*v304*/, v21
	s_delay_alu instid0(VALU_DEP_2) | instskip(SKIP_2) | instid1(VALU_DEP_1)
	v_mul_f32_e32 v43 /*v299*/, v9, v43 /*v299*/
	s_wait_dscnt 0x0
	s_set_vgpr_msb 0x41                     ;  msbs: dst=1 src0=1 src1=0 src2=0
	v_mul_f32_e32 v83 /*v339*/, v43 /*v299*/, v3
	s_set_vgpr_msb 0x44                     ;  msbs: dst=1 src0=0 src1=1 src2=0
	ds_bpermute_b32 v43 /*v299*/, v2, v36 /*v292*/ offset:24
	s_set_vgpr_msb 4                        ;  msbs: dst=0 src0=0 src1=1 src2=0
	ds_bpermute_b32 v3, v2, v37 /*v293*/ offset:24
	s_wait_dscnt 0x1
	s_set_vgpr_msb 0x45                     ;  msbs: dst=1 src0=1 src1=1 src2=0
	v_sub_f32_e32 v43 /*v299*/, v47 /*v303*/, v43 /*v299*/
	s_set_vgpr_msb 0x44                     ;  msbs: dst=1 src0=0 src1=1 src2=0
	s_delay_alu instid0(VALU_DEP_1)
	v_mul_f32_e32 v43 /*v299*/, v10, v43 /*v299*/
	s_set_vgpr_msb 0                        ;  msbs: dst=0 src0=0 src1=0 src2=0
	v_mov_b32_e32 v10, v17
	s_wait_dscnt 0x0
	s_set_vgpr_msb 0x41                     ;  msbs: dst=1 src0=1 src1=0 src2=0
	v_mul_f32_e32 v47 /*v303*/, v43 /*v299*/, v3
	s_set_vgpr_msb 0x44                     ;  msbs: dst=1 src0=0 src1=1 src2=0
	ds_bpermute_b32 v43 /*v299*/, v2, v36 /*v292*/ offset:28
	s_set_vgpr_msb 4                        ;  msbs: dst=0 src0=0 src1=1 src2=0
	ds_bpermute_b32 v3, v2, v37 /*v293*/ offset:28
	s_set_vgpr_msb 1                        ;  msbs: dst=0 src0=1 src1=0 src2=0
	v_pk_add_f32 v[4:5], v[82:83] /*v[338:339]*/, v[4:5]
	s_delay_alu instid0(VALU_DEP_1)
	v_pk_add_f32 v[4:5], v[46:47] /*v[302:303]*/, v[4:5]
	s_set_vgpr_msb 64                       ;  msbs: dst=1 src0=0 src1=0 src2=0
	v_mov_b32_e32 v46 /*v302*/, v20
	s_wait_dscnt 0x1
	s_set_vgpr_msb 0x45                     ;  msbs: dst=1 src0=1 src1=1 src2=0
	v_sub_f32_e32 v43 /*v299*/, v51 /*v307*/, v43 /*v299*/
	s_set_vgpr_msb 0x44                     ;  msbs: dst=1 src0=0 src1=1 src2=0
	s_delay_alu instid0(VALU_DEP_1) | instskip(SKIP_2) | instid1(VALU_DEP_1)
	v_mul_f32_e32 v43 /*v299*/, v11, v43 /*v299*/
	s_wait_dscnt 0x0
	s_set_vgpr_msb 0x41                     ;  msbs: dst=1 src0=1 src1=0 src2=0
	v_mul_f32_e32 v51 /*v307*/, v43 /*v299*/, v3
	s_set_vgpr_msb 0x44                     ;  msbs: dst=1 src0=0 src1=1 src2=0
	ds_bpermute_b32 v43 /*v299*/, v2, v36 /*v292*/ offset:32
	s_set_vgpr_msb 4                        ;  msbs: dst=0 src0=0 src1=1 src2=0
	ds_bpermute_b32 v3, v2, v37 /*v293*/ offset:32
	s_wait_dscnt 0x1
	s_set_vgpr_msb 0x45                     ;  msbs: dst=1 src0=1 src1=1 src2=0
	v_sub_f32_e32 v43 /*v299*/, v50 /*v306*/, v43 /*v299*/
	s_set_vgpr_msb 0x44                     ;  msbs: dst=1 src0=0 src1=1 src2=0
	s_delay_alu instid0(VALU_DEP_1)
	v_dual_mov_b32 v50 /*v306*/, v11 :: v_dual_mul_f32 v43 /*v299*/, v12, v43 /*v299*/
	s_set_vgpr_msb 0                        ;  msbs: dst=0 src0=0 src1=0 src2=0
	v_mov_b32_e32 v12, v18
	s_wait_dscnt 0x0
	s_set_vgpr_msb 0x41                     ;  msbs: dst=1 src0=1 src1=0 src2=0
	v_mul_f32_e32 v85 /*v341*/, v43 /*v299*/, v3
	s_set_vgpr_msb 0x44                     ;  msbs: dst=1 src0=0 src1=1 src2=0
	ds_bpermute_b32 v43 /*v299*/, v2, v36 /*v292*/ offset:36
	s_set_vgpr_msb 4                        ;  msbs: dst=0 src0=0 src1=1 src2=0
	ds_bpermute_b32 v3, v2, v37 /*v293*/ offset:36
	s_set_vgpr_msb 1                        ;  msbs: dst=0 src0=1 src1=0 src2=0
	v_pk_add_f32 v[4:5], v[50:51] /*v[306:307]*/, v[4:5]
	s_set_vgpr_msb 64                       ;  msbs: dst=1 src0=0 src1=0 src2=0
	v_mov_b32_e32 v50 /*v306*/, v22
	s_set_vgpr_msb 1                        ;  msbs: dst=0 src0=1 src1=0 src2=0
	s_delay_alu instid0(VALU_DEP_2)
	v_pk_add_f32 v[4:5], v[84:85] /*v[340:341]*/, v[4:5]
	s_wait_dscnt 0x1
	s_set_vgpr_msb 0x45                     ;  msbs: dst=1 src0=1 src1=1 src2=0
	v_sub_f32_e32 v43 /*v299*/, v56 /*v312*/, v43 /*v299*/
	s_set_vgpr_msb 0x44                     ;  msbs: dst=1 src0=0 src1=1 src2=0
	v_mov_b32_e32 v56 /*v312*/, v25
	s_delay_alu instid0(VALU_DEP_2) | instskip(SKIP_2) | instid1(VALU_DEP_1)
	v_mul_f32_e32 v43 /*v299*/, v13, v43 /*v299*/
	s_wait_dscnt 0x0
	s_set_vgpr_msb 0x41                     ;  msbs: dst=1 src0=1 src1=0 src2=0
	v_mul_f32_e32 v87 /*v343*/, v43 /*v299*/, v3
	s_set_vgpr_msb 0x44                     ;  msbs: dst=1 src0=0 src1=1 src2=0
	ds_bpermute_b32 v43 /*v299*/, v2, v36 /*v292*/ offset:40
	s_set_vgpr_msb 4                        ;  msbs: dst=0 src0=0 src1=1 src2=0
	ds_bpermute_b32 v3, v2, v37 /*v293*/ offset:40
	s_wait_dscnt 0x1
	s_set_vgpr_msb 0x45                     ;  msbs: dst=1 src0=1 src1=1 src2=0
	v_sub_f32_e32 v43 /*v299*/, v54 /*v310*/, v43 /*v299*/
	s_set_vgpr_msb 0x44                     ;  msbs: dst=1 src0=0 src1=1 src2=0
	s_delay_alu instid0(VALU_DEP_1)
	v_dual_mov_b32 v54 /*v310*/, v24 :: v_dual_mul_f32 v43 /*v299*/, v14, v43 /*v299*/
	s_set_vgpr_msb 0                        ;  msbs: dst=0 src0=0 src1=0 src2=0
	v_mov_b32_e32 v14, v30
	s_wait_dscnt 0x0
	s_set_vgpr_msb 0x41                     ;  msbs: dst=1 src0=1 src1=0 src2=0
	v_mul_f32_e32 v89 /*v345*/, v43 /*v299*/, v3
	s_set_vgpr_msb 4                        ;  msbs: dst=0 src0=0 src1=1 src2=0
	ds_bpermute_b32 v3, v2, v37 /*v293*/ offset:44
	s_set_vgpr_msb 1                        ;  msbs: dst=0 src0=1 src1=0 src2=0
	v_pk_add_f32 v[4:5], v[86:87] /*v[342:343]*/, v[4:5]
	s_delay_alu instid0(VALU_DEP_1)
	v_pk_add_f32 v[4:5], v[88:89] /*v[344:345]*/, v[4:5]
	s_wait_dscnt 0x0
	s_set_vgpr_msb 0                        ;  msbs: dst=0 src0=0 src1=0 src2=0
	v_mul_f32_e32 v7, v6, v3
	s_set_vgpr_msb 4                        ;  msbs: dst=0 src0=0 src1=1 src2=0
	ds_bpermute_b32 v6, v2, v36 /*v292*/ offset:48
	ds_bpermute_b32 v3, v2, v37 /*v293*/ offset:48
	s_wait_dscnt 0x1
	s_set_vgpr_msb 1                        ;  msbs: dst=0 src0=1 src1=0 src2=0
	v_sub_f32_e32 v6, v49 /*v305*/, v6
	s_set_vgpr_msb 0                        ;  msbs: dst=0 src0=0 src1=0 src2=0
	s_delay_alu instid0(VALU_DEP_1) | instskip(SKIP_1) | instid1(VALU_DEP_1)
	v_dual_mul_f32 v6, v16, v6 :: v_dual_mov_b32 v16, v31
	s_wait_dscnt 0x0
	v_mul_f32_e32 v9, v6, v3
	s_set_vgpr_msb 4                        ;  msbs: dst=0 src0=0 src1=1 src2=0
	ds_bpermute_b32 v6, v2, v36 /*v292*/ offset:52
	ds_bpermute_b32 v3, v2, v37 /*v293*/ offset:52
	s_wait_dscnt 0x1
	s_set_vgpr_msb 1                        ;  msbs: dst=0 src0=1 src1=0 src2=0
	v_sub_f32_e32 v6, v55 /*v311*/, v6
	s_set_vgpr_msb 0                        ;  msbs: dst=0 src0=0 src1=0 src2=0
	s_delay_alu instid0(VALU_DEP_1) | instskip(SKIP_1) | instid1(VALU_DEP_1)
	v_mul_f32_e32 v6, v17, v6
	s_wait_dscnt 0x0
	v_mul_f32_e32 v11, v6, v3
	s_set_vgpr_msb 4                        ;  msbs: dst=0 src0=0 src1=1 src2=0
	ds_bpermute_b32 v6, v2, v36 /*v292*/ offset:56
	ds_bpermute_b32 v3, v2, v37 /*v293*/ offset:56
	s_wait_dscnt 0x1
	s_set_vgpr_msb 1                        ;  msbs: dst=0 src0=1 src1=0 src2=0
	v_sub_f32_e32 v6, v53 /*v309*/, v6
	s_set_vgpr_msb 0                        ;  msbs: dst=0 src0=0 src1=0 src2=0
	s_delay_alu instid0(VALU_DEP_1) | instskip(SKIP_1) | instid1(VALU_DEP_1)
	v_dual_mul_f32 v6, v18, v6 :: v_dual_mov_b32 v18, v32
	s_wait_dscnt 0x0
	v_mul_f32_e32 v13, v6, v3
	s_set_vgpr_msb 4                        ;  msbs: dst=0 src0=0 src1=1 src2=0
	ds_bpermute_b32 v6, v2, v36 /*v292*/ offset:60
	ds_bpermute_b32 v3, v2, v37 /*v293*/ offset:60
	s_wait_dscnt 0x1
	s_set_vgpr_msb 1                        ;  msbs: dst=0 src0=1 src1=0 src2=0
	v_sub_f32_e32 v6, v58 /*v314*/, v6
	s_set_vgpr_msb 0                        ;  msbs: dst=0 src0=0 src1=0 src2=0
	s_delay_alu instid0(VALU_DEP_1) | instskip(SKIP_2) | instid1(VALU_DEP_1)
	v_mul_f32_e32 v6, v19, v6
	s_wait_dscnt 0x0
	s_set_vgpr_msb 64                       ;  msbs: dst=1 src0=0 src1=0 src2=0
	v_mul_f32_e32 v45 /*v301*/, v6, v3
	s_set_vgpr_msb 4                        ;  msbs: dst=0 src0=0 src1=1 src2=0
	ds_bpermute_b32 v6, v2, v36 /*v292*/ offset:64
	ds_bpermute_b32 v3, v2, v37 /*v293*/ offset:64
	s_wait_dscnt 0x1
	s_set_vgpr_msb 1                        ;  msbs: dst=0 src0=1 src1=0 src2=0
	v_sub_f32_e32 v6, v57 /*v313*/, v6
	s_set_vgpr_msb 0                        ;  msbs: dst=0 src0=0 src1=0 src2=0
	s_delay_alu instid0(VALU_DEP_1) | instskip(SKIP_2) | instid1(VALU_DEP_1)
	v_dual_mul_f32 v6, v20, v6 :: v_dual_mov_b32 v20, v33
	s_wait_dscnt 0x0
	s_set_vgpr_msb 64                       ;  msbs: dst=1 src0=0 src1=0 src2=0
	v_mul_f32_e32 v47 /*v303*/, v6, v3
	s_set_vgpr_msb 4                        ;  msbs: dst=0 src0=0 src1=1 src2=0
	ds_bpermute_b32 v6, v2, v36 /*v292*/ offset:68
	ds_bpermute_b32 v3, v2, v37 /*v293*/ offset:68
	s_wait_dscnt 0x1
	s_set_vgpr_msb 1                        ;  msbs: dst=0 src0=1 src1=0 src2=0
	v_sub_f32_e32 v6, v61 /*v317*/, v6
	s_set_vgpr_msb 0                        ;  msbs: dst=0 src0=0 src1=0 src2=0
	s_delay_alu instid0(VALU_DEP_1) | instskip(SKIP_2) | instid1(VALU_DEP_1)
	v_mul_f32_e32 v6, v21, v6
	s_wait_dscnt 0x0
	s_set_vgpr_msb 64                       ;  msbs: dst=1 src0=0 src1=0 src2=0
	v_mul_f32_e32 v49 /*v305*/, v6, v3
	s_set_vgpr_msb 4                        ;  msbs: dst=0 src0=0 src1=1 src2=0
	ds_bpermute_b32 v6, v2, v36 /*v292*/ offset:72
	ds_bpermute_b32 v3, v2, v37 /*v293*/ offset:72
	s_wait_dscnt 0x1
	s_set_vgpr_msb 1                        ;  msbs: dst=0 src0=1 src1=0 src2=0
	v_sub_f32_e32 v6, v59 /*v315*/, v6
	s_set_vgpr_msb 0                        ;  msbs: dst=0 src0=0 src1=0 src2=0
	s_delay_alu instid0(VALU_DEP_1) | instskip(SKIP_3) | instid1(VALU_DEP_2)
	v_mul_f32_e32 v6, v22, v6
	v_mov_b32_e32 v22, v34
	s_wait_dscnt 0x0
	s_set_vgpr_msb 64                       ;  msbs: dst=1 src0=0 src1=0 src2=0
	v_mul_f32_e32 v51 /*v307*/, v6, v3
	s_set_vgpr_msb 4                        ;  msbs: dst=0 src0=0 src1=1 src2=0
	ds_bpermute_b32 v6, v2, v36 /*v292*/ offset:76
	ds_bpermute_b32 v3, v2, v37 /*v293*/ offset:76
	s_wait_dscnt 0x1
	s_set_vgpr_msb 1                        ;  msbs: dst=0 src0=1 src1=0 src2=0
	v_sub_f32_e32 v6, v65 /*v321*/, v6
	s_set_vgpr_msb 0                        ;  msbs: dst=0 src0=0 src1=0 src2=0
	s_delay_alu instid0(VALU_DEP_1) | instskip(SKIP_2) | instid1(VALU_DEP_1)
	v_mul_f32_e32 v6, v23, v6
	s_wait_dscnt 0x0
	s_set_vgpr_msb 64                       ;  msbs: dst=1 src0=0 src1=0 src2=0
	v_mul_f32_e32 v53 /*v309*/, v6, v3
	s_set_vgpr_msb 4                        ;  msbs: dst=0 src0=0 src1=1 src2=0
	ds_bpermute_b32 v6, v2, v36 /*v292*/ offset:80
	ds_bpermute_b32 v3, v2, v37 /*v293*/ offset:80
	s_wait_dscnt 0x1
	s_set_vgpr_msb 1                        ;  msbs: dst=0 src0=1 src1=0 src2=0
	v_sub_f32_e32 v6, v64 /*v320*/, v6
	s_set_vgpr_msb 0                        ;  msbs: dst=0 src0=0 src1=0 src2=0
	s_delay_alu instid0(VALU_DEP_1) | instskip(SKIP_2) | instid1(VALU_DEP_1)
	v_mul_f32_e32 v6, v24, v6
	;; [unrolled: 12-line block ×3, first 2 shown]
	s_wait_dscnt 0x0
	s_set_vgpr_msb 64                       ;  msbs: dst=1 src0=0 src1=0 src2=0
	v_mul_f32_e32 v57 /*v313*/, v6, v3
	s_set_vgpr_msb 4                        ;  msbs: dst=0 src0=0 src1=1 src2=0
	v_mov_b32_e32 v6, v15
	ds_bpermute_b32 v3, v2, v37 /*v293*/ offset:88
	s_set_vgpr_msb 0                        ;  msbs: dst=0 src0=0 src1=0 src2=0
	v_pk_add_f32 v[4:5], v[6:7], v[4:5]
	s_set_vgpr_msb 4                        ;  msbs: dst=0 src0=0 src1=1 src2=0
	ds_bpermute_b32 v6, v2, v36 /*v292*/ offset:88
	s_set_vgpr_msb 0                        ;  msbs: dst=0 src0=0 src1=0 src2=0
	v_pk_add_f32 v[4:5], v[8:9], v[4:5]
	v_mov_b32_e32 v8, v27
	s_delay_alu instid0(VALU_DEP_2) | instskip(SKIP_1) | instid1(VALU_DEP_2)
	v_pk_add_f32 v[4:5], v[10:11], v[4:5]
	v_mov_b32_e32 v10, v28
	v_pk_add_f32 v[4:5], v[12:13], v[4:5]
	v_mov_b32_e32 v12, v29
	s_set_vgpr_msb 1                        ;  msbs: dst=0 src0=1 src1=0 src2=0
	s_delay_alu instid0(VALU_DEP_2) | instskip(SKIP_2) | instid1(VALU_DEP_2)
	v_pk_add_f32 v[4:5], v[44:45] /*v[300:301]*/, v[4:5]
	s_wait_dscnt 0x0
	v_sub_f32_e32 v6, v60 /*v316*/, v6
	v_pk_add_f32 v[4:5], v[46:47] /*v[302:303]*/, v[4:5]
	s_set_vgpr_msb 0                        ;  msbs: dst=0 src0=0 src1=0 src2=0
	s_delay_alu instid0(VALU_DEP_2) | instskip(SKIP_1) | instid1(VALU_DEP_2)
	v_mul_f32_e32 v6, v26, v6
	s_set_vgpr_msb 1                        ;  msbs: dst=0 src0=1 src1=0 src2=0
	v_pk_add_f32 v[4:5], v[48:49] /*v[304:305]*/, v[4:5]
	s_set_vgpr_msb 0                        ;  msbs: dst=0 src0=0 src1=0 src2=0
	s_delay_alu instid0(VALU_DEP_2)
	v_mul_f32_e32 v7, v6, v3
	s_set_vgpr_msb 4                        ;  msbs: dst=0 src0=0 src1=1 src2=0
	ds_bpermute_b32 v6, v2, v36 /*v292*/ offset:92
	ds_bpermute_b32 v3, v2, v37 /*v293*/ offset:92
	s_set_vgpr_msb 1                        ;  msbs: dst=0 src0=1 src1=0 src2=0
	v_pk_add_f32 v[4:5], v[50:51] /*v[306:307]*/, v[4:5]
	s_delay_alu instid0(VALU_DEP_1) | instskip(NEXT) | instid1(VALU_DEP_1)
	v_pk_add_f32 v[4:5], v[52:53] /*v[308:309]*/, v[4:5]
	v_pk_add_f32 v[4:5], v[54:55] /*v[310:311]*/, v[4:5]
	s_delay_alu instid0(VALU_DEP_1) | instskip(SKIP_3) | instid1(VALU_DEP_1)
	v_pk_add_f32 v[4:5], v[56:57] /*v[312:313]*/, v[4:5]
	s_wait_dscnt 0x1
	v_sub_f32_e32 v6, v63 /*v319*/, v6
	s_set_vgpr_msb 0                        ;  msbs: dst=0 src0=0 src1=0 src2=0
	v_mul_f32_e32 v6, v27, v6
	s_wait_dscnt 0x0
	s_delay_alu instid0(VALU_DEP_1)
	v_mul_f32_e32 v9, v6, v3
	s_set_vgpr_msb 4                        ;  msbs: dst=0 src0=0 src1=1 src2=0
	ds_bpermute_b32 v6, v2, v36 /*v292*/ offset:96
	ds_bpermute_b32 v3, v2, v37 /*v293*/ offset:96
	s_wait_dscnt 0x1
	s_set_vgpr_msb 1                        ;  msbs: dst=0 src0=1 src1=0 src2=0
	v_sub_f32_e32 v6, v62 /*v318*/, v6
	s_set_vgpr_msb 0                        ;  msbs: dst=0 src0=0 src1=0 src2=0
	s_delay_alu instid0(VALU_DEP_1) | instskip(SKIP_1) | instid1(VALU_DEP_1)
	v_mul_f32_e32 v6, v28, v6
	s_wait_dscnt 0x0
	v_mul_f32_e32 v11, v6, v3
	s_set_vgpr_msb 4                        ;  msbs: dst=0 src0=0 src1=1 src2=0
	ds_bpermute_b32 v6, v2, v36 /*v292*/ offset:100
	ds_bpermute_b32 v3, v2, v37 /*v293*/ offset:100
	s_wait_dscnt 0x1
	s_set_vgpr_msb 1                        ;  msbs: dst=0 src0=1 src1=0 src2=0
	v_sub_f32_e32 v6, v67 /*v323*/, v6
	s_set_vgpr_msb 0                        ;  msbs: dst=0 src0=0 src1=0 src2=0
	s_delay_alu instid0(VALU_DEP_1) | instskip(SKIP_1) | instid1(VALU_DEP_1)
	v_mul_f32_e32 v6, v29, v6
	s_wait_dscnt 0x0
	;; [unrolled: 11-line block ×7, first 2 shown]
	v_mul_f32_e32 v23, v6, v3
	v_mov_b32_e32 v6, v26
	s_set_vgpr_msb 4                        ;  msbs: dst=0 src0=0 src1=1 src2=0
	ds_bpermute_b32 v3, v2, v37 /*v293*/ offset:124
	s_set_vgpr_msb 0                        ;  msbs: dst=0 src0=0 src1=0 src2=0
	v_pk_add_f32 v[4:5], v[6:7], v[4:5]
	s_set_vgpr_msb 4                        ;  msbs: dst=0 src0=0 src1=1 src2=0
	ds_bpermute_b32 v6, v2, v36 /*v292*/ offset:124
	s_set_vgpr_msb 0                        ;  msbs: dst=0 src0=0 src1=0 src2=0
	v_pk_add_f32 v[4:5], v[8:9], v[4:5]
	s_delay_alu instid0(VALU_DEP_1) | instskip(NEXT) | instid1(VALU_DEP_1)
	v_pk_add_f32 v[4:5], v[10:11], v[4:5]
	v_pk_add_f32 v[4:5], v[12:13], v[4:5]
	s_delay_alu instid0(VALU_DEP_1)
	v_pk_add_f32 v[4:5], v[14:15], v[4:5]
	s_wait_dscnt 0x0
	s_set_vgpr_msb 1                        ;  msbs: dst=0 src0=1 src1=0 src2=0
	v_sub_f32_e32 v6, v70 /*v326*/, v6
	s_set_vgpr_msb 0                        ;  msbs: dst=0 src0=0 src1=0 src2=0
	v_pk_add_f32 v[4:5], v[16:17], v[4:5]
	s_delay_alu instid0(VALU_DEP_2) | instskip(NEXT) | instid1(VALU_DEP_2)
	v_mul_f32_e32 v6, v35, v6
	v_pk_add_f32 v[4:5], v[18:19], v[4:5]
	s_delay_alu instid0(VALU_DEP_2) | instskip(NEXT) | instid1(VALU_DEP_2)
	v_dual_mul_f32 v7, v6, v3 :: v_dual_mov_b32 v6, v35
	v_pk_add_f32 v[4:5], v[20:21], v[4:5]
	s_delay_alu instid0(VALU_DEP_1) | instskip(SKIP_1) | instid1(VALU_DEP_1)
	v_pk_add_f32 v[4:5], v[22:23], v[4:5]
	s_set_vgpr_msb 64                       ;  msbs: dst=1 src0=0 src1=0 src2=0
	v_pk_add_f32 v[36:37] /*v[292:293]*/, v[6:7], v[4:5]
.LBB97_215:                             ;   in Loop: Header=BB97_147 Depth=1
	s_and_b32 vcc_lo, exec_lo, s2
	s_set_vgpr_msb 0                        ;  msbs: dst=0 src0=0 src1=0 src2=0
	s_cbranch_vccz .LBB97_146
; %bb.216:                              ;   in Loop: Header=BB97_147 Depth=1
	s_load_b32 s2, s[20:21], 0x0
	v_dual_mov_b32 v5, v2 :: v_dual_mov_b32 v6, 0
	s_wait_kmcnt 0x0
	s_cmp_lt_u32 s16, s2
	s_cselect_b32 s2, 12, 18
	s_delay_alu instid0(SALU_CYCLE_1)
	s_add_nc_u64 s[26:27], s[20:21], s[2:3]
	s_load_u16 s2, s[26:27], 0x0
	s_wait_kmcnt 0x0
	s_set_vgpr_msb 16                       ;  msbs: dst=0 src0=0 src1=0 src2=1
	v_mad_u32_u24 v3, v1, s2, v42 /*v298*/
	s_mov_b32 s2, exec_lo
	s_delay_alu instid0(VALU_DEP_1) | instskip(SKIP_1) | instid1(VALU_DEP_1)
	v_dual_mov_b32 v3, 0 :: v_dual_bitop2_b32 v4, 31, v3 bitop3:0x40
	s_set_vgpr_msb 1                        ;  msbs: dst=0 src0=1 src1=0 src2=0
	v_add_nc_u64_e32 v[4:5], v[40:41] /*v[296:297]*/, v[4:5]
	s_delay_alu instid0(VALU_DEP_1)
	v_cmpx_gt_i64_e64 s[4:5], v[4:5]
	s_set_vgpr_msb 0                        ;  msbs: dst=0 src0=0 src1=0 src2=0
	s_cbranch_execz .LBB97_145
; %bb.217:                              ;   in Loop: Header=BB97_147 Depth=1
	v_lshlrev_b64_e32 v[4:5], 2, v[4:5]
	s_delay_alu instid0(VALU_DEP_1)
	v_add_nc_u64_e32 v[8:9], s[12:13], v[4:5]
	v_add_nc_u64_e32 v[4:5], s[14:15], v[4:5]
	global_load_b32 v6, v[8:9], off
	global_load_b32 v3, v[4:5], off
	s_branch .LBB97_145
.LBB97_218:
	s_set_vgpr_msb 64                       ;  msbs: dst=1 src0=0 src1=0 src2=0
	v_mov_b64_e32 v[36:37] /*v[292:293]*/, 0
.LBB97_219:
	s_mov_b32 s17, 0
	s_delay_alu instid0(SALU_CYCLE_1) | instskip(SKIP_4) | instid1(VALU_DEP_1)
	s_lshl_b64 s[2:3], s[16:17], 6
	s_set_vgpr_msb 0                        ;  msbs: dst=0 src0=0 src1=0 src2=0
	v_and_or_b32 v2, 0x3ff, v0, s2
	v_mov_b32_e32 v3, s3
	s_mov_b32 s2, exec_lo
	v_cmpx_gt_i64_e64 s[6:7], v[2:3]
	s_cbranch_execz .LBB97_224
; %bb.220:
	s_load_u16 s2, s[0:1], 0x4e
	v_bfe_u32 v0, v0, 10, 10
	v_mov_b32_e32 v1, 0
	s_wait_kmcnt 0x0
	s_delay_alu instid0(VALU_DEP_1) | instskip(SKIP_1) | instid1(VALU_DEP_1)
	v_mad_nc_u64_u32 v[0:1], s2, s33, v[0:1]
	s_load_b128 s[0:3], s[0:1], 0x30
	v_mul_u64_e32 v[0:1], s[6:7], v[0:1]
	s_wait_kmcnt 0x0
	s_cmp_eq_u64 s[0:1], 0
	s_cbranch_scc1 .LBB97_222
; %bb.221:
	s_set_vgpr_msb 5                        ;  msbs: dst=0 src0=1 src1=1 src2=0
	v_bfe_u32 v4, v37 /*v293*/, 16, 1
	v_cmp_o_f32_e32 vcc_lo, v37 /*v293*/, v37 /*v293*/
	s_set_vgpr_msb 1                        ;  msbs: dst=0 src0=1 src1=0 src2=0
	s_delay_alu instid0(VALU_DEP_2) | instskip(NEXT) | instid1(VALU_DEP_1)
	v_add3_u32 v4, v37 /*v293*/, v4, 0x7fff
	v_lshrrev_b32_e32 v6, 16, v4
	s_set_vgpr_msb 0                        ;  msbs: dst=0 src0=0 src1=0 src2=0
	v_lshl_add_u64 v[4:5], v[0:1], 1, s[0:1]
	s_delay_alu instid0(VALU_DEP_2) | instskip(NEXT) | instid1(VALU_DEP_2)
	v_cndmask_b32_e32 v6, 0x7fc0, v6, vcc_lo
	v_lshl_add_u64 v[4:5], v[2:3], 1, v[4:5]
	global_store_b16 v[4:5], v6, off
.LBB97_222:
	s_cmp_eq_u64 s[2:3], 0
	s_cbranch_scc1 .LBB97_224
; %bb.223:
	s_wait_xcnt 0x0
	s_set_vgpr_msb 1                        ;  msbs: dst=0 src0=1 src1=0 src2=0
	v_bfe_u32 v4, v36 /*v292*/, 16, 1
	s_set_vgpr_msb 0                        ;  msbs: dst=0 src0=0 src1=0 src2=0
	s_delay_alu instid0(VALU_DEP_2)
	v_lshl_add_u64 v[0:1], v[0:1], 1, s[2:3]
	s_set_vgpr_msb 5                        ;  msbs: dst=0 src0=1 src1=1 src2=0
	v_cmp_o_f32_e32 vcc_lo, v36 /*v292*/, v36 /*v292*/
	s_set_vgpr_msb 1                        ;  msbs: dst=0 src0=1 src1=0 src2=0
	v_add3_u32 v4, v36 /*v292*/, v4, 0x7fff
	s_set_vgpr_msb 0                        ;  msbs: dst=0 src0=0 src1=0 src2=0
	v_lshl_add_u64 v[0:1], v[2:3], 1, v[0:1]
	s_delay_alu instid0(VALU_DEP_2) | instskip(NEXT) | instid1(VALU_DEP_1)
	v_lshrrev_b32_e32 v4, 16, v4
	v_cndmask_b32_e32 v4, 0x7fc0, v4, vcc_lo
	global_store_b16 v[0:1], v4, off
.LBB97_224:
	s_sendmsg sendmsg(MSG_DEALLOC_VGPRS)
	s_endpgm
	.section	.rodata,"a",@progbits
	.p2align	6, 0x0
	.amdhsa_kernel _ZN2at6native12_GLOBAL__N_135GammaBetaBackwardCUDAKernelTemplateIN3c108BFloat16EfLj64ELj1ELj32ELb1ELb0ELb0EEEvllPKT_S7_PKT0_SA_PS5_SB_
		.amdhsa_group_segment_fixed_size 0
		.amdhsa_private_segment_fixed_size 0
		.amdhsa_kernarg_size 320
		.amdhsa_user_sgpr_count 2
		.amdhsa_user_sgpr_dispatch_ptr 0
		.amdhsa_user_sgpr_queue_ptr 0
		.amdhsa_user_sgpr_kernarg_segment_ptr 1
		.amdhsa_user_sgpr_dispatch_id 0
		.amdhsa_user_sgpr_kernarg_preload_length 0
		.amdhsa_user_sgpr_kernarg_preload_offset 0
		.amdhsa_user_sgpr_private_segment_size 0
		.amdhsa_wavefront_size32 1
		.amdhsa_uses_dynamic_stack 0
		.amdhsa_enable_private_segment 0
		.amdhsa_system_sgpr_workgroup_id_x 1
		.amdhsa_system_sgpr_workgroup_id_y 1
		.amdhsa_system_sgpr_workgroup_id_z 0
		.amdhsa_system_sgpr_workgroup_info 0
		.amdhsa_system_vgpr_workitem_id 1
		.amdhsa_next_free_vgpr 346
		.amdhsa_next_free_sgpr 36
		.amdhsa_named_barrier_count 0
		.amdhsa_reserve_vcc 1
		.amdhsa_float_round_mode_32 0
		.amdhsa_float_round_mode_16_64 0
		.amdhsa_float_denorm_mode_32 3
		.amdhsa_float_denorm_mode_16_64 3
		.amdhsa_fp16_overflow 0
		.amdhsa_memory_ordered 1
		.amdhsa_forward_progress 1
		.amdhsa_inst_pref_size 185
		.amdhsa_round_robin_scheduling 0
		.amdhsa_exception_fp_ieee_invalid_op 0
		.amdhsa_exception_fp_denorm_src 0
		.amdhsa_exception_fp_ieee_div_zero 0
		.amdhsa_exception_fp_ieee_overflow 0
		.amdhsa_exception_fp_ieee_underflow 0
		.amdhsa_exception_fp_ieee_inexact 0
		.amdhsa_exception_int_div_zero 0
	.end_amdhsa_kernel
	.section	.text._ZN2at6native12_GLOBAL__N_135GammaBetaBackwardCUDAKernelTemplateIN3c108BFloat16EfLj64ELj1ELj32ELb1ELb0ELb0EEEvllPKT_S7_PKT0_SA_PS5_SB_,"axG",@progbits,_ZN2at6native12_GLOBAL__N_135GammaBetaBackwardCUDAKernelTemplateIN3c108BFloat16EfLj64ELj1ELj32ELb1ELb0ELb0EEEvllPKT_S7_PKT0_SA_PS5_SB_,comdat
.Lfunc_end97:
	.size	_ZN2at6native12_GLOBAL__N_135GammaBetaBackwardCUDAKernelTemplateIN3c108BFloat16EfLj64ELj1ELj32ELb1ELb0ELb0EEEvllPKT_S7_PKT0_SA_PS5_SB_, .Lfunc_end97-_ZN2at6native12_GLOBAL__N_135GammaBetaBackwardCUDAKernelTemplateIN3c108BFloat16EfLj64ELj1ELj32ELb1ELb0ELb0EEEvllPKT_S7_PKT0_SA_PS5_SB_
                                        ; -- End function
	.set _ZN2at6native12_GLOBAL__N_135GammaBetaBackwardCUDAKernelTemplateIN3c108BFloat16EfLj64ELj1ELj32ELb1ELb0ELb0EEEvllPKT_S7_PKT0_SA_PS5_SB_.num_vgpr, 346
	.set _ZN2at6native12_GLOBAL__N_135GammaBetaBackwardCUDAKernelTemplateIN3c108BFloat16EfLj64ELj1ELj32ELb1ELb0ELb0EEEvllPKT_S7_PKT0_SA_PS5_SB_.num_agpr, 0
	.set _ZN2at6native12_GLOBAL__N_135GammaBetaBackwardCUDAKernelTemplateIN3c108BFloat16EfLj64ELj1ELj32ELb1ELb0ELb0EEEvllPKT_S7_PKT0_SA_PS5_SB_.numbered_sgpr, 36
	.set _ZN2at6native12_GLOBAL__N_135GammaBetaBackwardCUDAKernelTemplateIN3c108BFloat16EfLj64ELj1ELj32ELb1ELb0ELb0EEEvllPKT_S7_PKT0_SA_PS5_SB_.num_named_barrier, 0
	.set _ZN2at6native12_GLOBAL__N_135GammaBetaBackwardCUDAKernelTemplateIN3c108BFloat16EfLj64ELj1ELj32ELb1ELb0ELb0EEEvllPKT_S7_PKT0_SA_PS5_SB_.private_seg_size, 0
	.set _ZN2at6native12_GLOBAL__N_135GammaBetaBackwardCUDAKernelTemplateIN3c108BFloat16EfLj64ELj1ELj32ELb1ELb0ELb0EEEvllPKT_S7_PKT0_SA_PS5_SB_.uses_vcc, 1
	.set _ZN2at6native12_GLOBAL__N_135GammaBetaBackwardCUDAKernelTemplateIN3c108BFloat16EfLj64ELj1ELj32ELb1ELb0ELb0EEEvllPKT_S7_PKT0_SA_PS5_SB_.uses_flat_scratch, 0
	.set _ZN2at6native12_GLOBAL__N_135GammaBetaBackwardCUDAKernelTemplateIN3c108BFloat16EfLj64ELj1ELj32ELb1ELb0ELb0EEEvllPKT_S7_PKT0_SA_PS5_SB_.has_dyn_sized_stack, 0
	.set _ZN2at6native12_GLOBAL__N_135GammaBetaBackwardCUDAKernelTemplateIN3c108BFloat16EfLj64ELj1ELj32ELb1ELb0ELb0EEEvllPKT_S7_PKT0_SA_PS5_SB_.has_recursion, 0
	.set _ZN2at6native12_GLOBAL__N_135GammaBetaBackwardCUDAKernelTemplateIN3c108BFloat16EfLj64ELj1ELj32ELb1ELb0ELb0EEEvllPKT_S7_PKT0_SA_PS5_SB_.has_indirect_call, 0
	.section	.AMDGPU.csdata,"",@progbits
; Kernel info:
; codeLenInByte = 23652
; TotalNumSgprs: 38
; NumVgprs: 346
; ScratchSize: 0
; MemoryBound: 0
; FloatMode: 240
; IeeeMode: 1
; LDSByteSize: 0 bytes/workgroup (compile time only)
; SGPRBlocks: 0
; VGPRBlocks: 21
; NumSGPRsForWavesPerEU: 38
; NumVGPRsForWavesPerEU: 346
; NamedBarCnt: 0
; Occupancy: 2
; WaveLimiterHint : 0
; COMPUTE_PGM_RSRC2:SCRATCH_EN: 0
; COMPUTE_PGM_RSRC2:USER_SGPR: 2
; COMPUTE_PGM_RSRC2:TRAP_HANDLER: 0
; COMPUTE_PGM_RSRC2:TGID_X_EN: 1
; COMPUTE_PGM_RSRC2:TGID_Y_EN: 1
; COMPUTE_PGM_RSRC2:TGID_Z_EN: 0
; COMPUTE_PGM_RSRC2:TIDIG_COMP_CNT: 1
	.section	.text._ZN2at6native12_GLOBAL__N_135GammaBetaBackwardCUDAKernelTemplateIN3c108BFloat16EfLj64ELj1ELj8ELb1ELb1ELb0EEEvllPKT_S7_PKT0_SA_PS5_SB_,"axG",@progbits,_ZN2at6native12_GLOBAL__N_135GammaBetaBackwardCUDAKernelTemplateIN3c108BFloat16EfLj64ELj1ELj8ELb1ELb1ELb0EEEvllPKT_S7_PKT0_SA_PS5_SB_,comdat
	.globl	_ZN2at6native12_GLOBAL__N_135GammaBetaBackwardCUDAKernelTemplateIN3c108BFloat16EfLj64ELj1ELj8ELb1ELb1ELb0EEEvllPKT_S7_PKT0_SA_PS5_SB_ ; -- Begin function _ZN2at6native12_GLOBAL__N_135GammaBetaBackwardCUDAKernelTemplateIN3c108BFloat16EfLj64ELj1ELj8ELb1ELb1ELb0EEEvllPKT_S7_PKT0_SA_PS5_SB_
	.p2align	8
	.type	_ZN2at6native12_GLOBAL__N_135GammaBetaBackwardCUDAKernelTemplateIN3c108BFloat16EfLj64ELj1ELj8ELb1ELb1ELb0EEEvllPKT_S7_PKT0_SA_PS5_SB_,@function
_ZN2at6native12_GLOBAL__N_135GammaBetaBackwardCUDAKernelTemplateIN3c108BFloat16EfLj64ELj1ELj8ELb1ELb1ELb0EEEvllPKT_S7_PKT0_SA_PS5_SB_: ; @_ZN2at6native12_GLOBAL__N_135GammaBetaBackwardCUDAKernelTemplateIN3c108BFloat16EfLj64ELj1ELj8ELb1ELb1ELb0EEEvllPKT_S7_PKT0_SA_PS5_SB_
; %bb.0:
	s_load_b128 s[12:15], s[0:1], 0x0
	s_bfe_u32 s3, ttmp6, 0x4000c
	s_bfe_u32 s4, ttmp6, 0x40010
	s_add_co_i32 s3, s3, 1
	s_add_co_i32 s4, s4, 1
	s_and_b32 s2, ttmp6, 15
	s_bfe_u32 s5, ttmp6, 0x40004
	s_mul_i32 s3, ttmp9, s3
	s_mul_i32 s4, ttmp7, s4
	s_getreg_b32 s6, hwreg(HW_REG_IB_STS2, 6, 4)
	s_add_co_i32 s2, s2, s3
	s_add_co_i32 s5, s5, s4
	s_cmp_eq_u32 s6, 0
	s_mov_b32 s19, 0
	s_cselect_b32 s17, ttmp7, s5
	s_cselect_b32 s16, ttmp9, s2
	s_lshl_b32 s18, s17, 3
	v_bfe_u32 v1, v0, 10, 10
	s_add_nc_u64 s[20:21], s[0:1], 64
	s_wait_kmcnt 0x0
	v_cmp_gt_i64_e64 s2, s[12:13], s[18:19]
	s_and_b32 vcc_lo, exec_lo, s2
	s_cbranch_vccnz .LBB98_2
; %bb.1:
	v_bfe_u32 v2, v0, 10, 10
	s_add_nc_u64 s[4:5], s[0:1], 64
	s_mov_b32 s2, s19
	s_branch .LBB98_3
.LBB98_2:
	s_mov_b32 s2, -1
                                        ; implicit-def: $sgpr4_sgpr5
                                        ; implicit-def: $vgpr2
.LBB98_3:
	v_mov_b32_e32 v5, 0
	v_and_b32_e32 v0, 0x3ff, v0
	s_and_not1_b32 vcc_lo, exec_lo, s2
	s_delay_alu instid0(VALU_DEP_2)
	v_mov_b32_e32 v4, v5
	s_cbranch_vccnz .LBB98_11
; %bb.4:
	v_dual_mov_b32 v3, 0 :: v_dual_lshlrev_b32 v2, 3, v1
	s_clause 0x2
	s_load_b32 s2, s[0:1], 0x4c
	s_load_b32 s3, s[0:1], 0x44
	s_load_b256 s[4:11], s[0:1], 0x10
	v_mov_b32_e32 v13, 12
	v_lshl_add_u32 v8, s16, 6, v0
	v_add_nc_u64_e32 v[4:5], s[18:19], v[2:3]
	v_mov_b32_e32 v19, v3
	s_mov_b32 s23, 0
	v_dual_mov_b32 v2, 8 :: v_dual_mov_b32 v12, 4
	v_dual_mov_b32 v14, 16 :: v_dual_mov_b32 v15, 20
	s_delay_alu instid0(VALU_DEP_4)
	v_mul_u64_e32 v[10:11], s[14:15], v[4:5]
	v_dual_mov_b32 v16, 24 :: v_dual_mov_b32 v17, 28
	s_lshl_b64 s[28:29], s[14:15], 1
	v_mov_b32_e32 v9, v3
	s_wait_kmcnt 0x0
	s_and_b32 s2, s2, 0xffff
	s_lshl_b32 s22, s3, 3
	v_mad_u32_u24 v6, v1, s2, v0
	s_mul_u64 s[26:27], s[14:15], s[22:23]
	s_lshl_b64 s[24:25], s[22:23], 2
	s_lshl_b64 s[26:27], s[26:27], 1
	v_lshlrev_b64_e32 v[20:21], 1, v[8:9]
	v_and_b32_e32 v18, 31, v6
	s_delay_alu instid0(VALU_DEP_1) | instskip(SKIP_2) | instid1(VALU_DEP_3)
	v_add_nc_u64_e32 v[6:7], v[4:5], v[18:19]
	v_dual_mov_b32 v4, 0 :: v_dual_mov_b32 v5, v3
	v_cmp_gt_u32_e64 s2, 8, v18
	v_lshlrev_b64_e32 v[8:9], 2, v[6:7]
	v_lshl_add_u64 v[10:11], v[10:11], 1, v[20:21]
	s_branch .LBB98_7
.LBB98_5:                               ;   in Loop: Header=BB98_7 Depth=1
	s_wait_xcnt 0x0
	s_or_b32 exec_lo, exec_lo, s30
.LBB98_6:                               ;   in Loop: Header=BB98_7 Depth=1
	s_delay_alu instid0(SALU_CYCLE_1)
	s_or_b32 exec_lo, exec_lo, s3
	v_add_nc_u64_e32 v[20:21], s[6:7], v[10:11]
	v_add_nc_u64_e32 v[22:23], s[4:5], v[10:11]
	s_wait_loadcnt 0x1
	ds_bpermute_b32 v43, v2, v19
	ds_bpermute_b32 v45, v13, v19
	s_wait_loadcnt 0x0
	ds_bpermute_b32 v42, v2, v18
	ds_bpermute_b32 v46, v14, v19
	;; [unrolled: 1-line block ×3, first 2 shown]
	v_add_nc_u64_e32 v[24:25], s[28:29], v[20:21]
	v_add_nc_u64_e32 v[26:27], s[28:29], v[22:23]
	global_load_u16 v28, v[20:21], off
	global_load_u16 v29, v[22:23], off
	ds_bpermute_b32 v47, v15, v18
	ds_bpermute_b32 v48, v16, v18
	s_add_nc_u64 s[18:19], s[18:19], s[22:23]
	s_wait_xcnt 0x1
	v_add_nc_u64_e32 v[20:21], s[28:29], v[24:25]
	s_wait_xcnt 0x0
	v_add_nc_u64_e32 v[22:23], s[28:29], v[26:27]
	global_load_u16 v30, v[24:25], off
	global_load_u16 v31, v[26:27], off
	v_cmp_lt_i64_e64 s3, s[18:19], s[12:13]
	v_add_nc_u64_e32 v[8:9], s[24:25], v[8:9]
	v_add_nc_u64_e32 v[6:7], s[22:23], v[6:7]
	;; [unrolled: 1-line block ×3, first 2 shown]
	s_wait_xcnt 0x1
	v_add_nc_u64_e32 v[24:25], s[28:29], v[20:21]
	s_wait_xcnt 0x0
	v_add_nc_u64_e32 v[26:27], s[28:29], v[22:23]
	global_load_u16 v32, v[20:21], off
	global_load_u16 v33, v[22:23], off
	s_and_b32 vcc_lo, exec_lo, s3
	global_load_u16 v34, v[24:25], off
	global_load_u16 v35, v[26:27], off
	s_wait_xcnt 0x3
	v_add_nc_u64_e32 v[20:21], s[28:29], v[24:25]
	s_wait_xcnt 0x2
	v_add_nc_u64_e32 v[22:23], s[28:29], v[26:27]
	s_wait_xcnt 0x1
	s_delay_alu instid0(VALU_DEP_2)
	v_add_nc_u64_e32 v[24:25], s[28:29], v[20:21]
	global_load_u16 v26, v[20:21], off
	s_wait_xcnt 0x0
	v_add_nc_u64_e32 v[20:21], s[28:29], v[22:23]
	global_load_u16 v27, v[22:23], off
	global_load_u16 v36, v[24:25], off
	;; [unrolled: 1-line block ×3, first 2 shown]
	s_wait_xcnt 0x2
	v_add_nc_u64_e32 v[22:23], s[28:29], v[24:25]
	global_load_u16 v38, v[22:23], off
	s_wait_xcnt 0x2
	v_add_nc_u64_e32 v[24:25], s[28:29], v[20:21]
	s_wait_xcnt 0x1
	v_add_nc_u64_e32 v[20:21], s[28:29], v[22:23]
	s_wait_xcnt 0x0
	s_delay_alu instid0(VALU_DEP_2)
	v_add_nc_u64_e32 v[22:23], s[28:29], v[24:25]
	global_load_u16 v39, v[24:25], off
	global_load_u16 v40, v[20:21], off
	;; [unrolled: 1-line block ×3, first 2 shown]
	s_wait_xcnt 0x1
	ds_bpermute_b32 v21, v3, v19
	s_wait_xcnt 0x0
	ds_bpermute_b32 v23, v12, v19
	ds_bpermute_b32 v24, v3, v18
	;; [unrolled: 1-line block ×3, first 2 shown]
	s_wait_loadcnt 0xe
	v_dual_lshlrev_b32 v22, 16, v28 :: v_dual_lshlrev_b32 v20, 16, v29
	ds_bpermute_b32 v28, v14, v18
	s_wait_loadcnt_dscnt 0xd04
	v_dual_sub_f32 v21, v22, v21 :: v_dual_lshlrev_b32 v29, 16, v30
	ds_bpermute_b32 v30, v15, v19
	s_wait_loadcnt 0xc
	v_dual_mul_f32 v21, v21, v20 :: v_dual_lshlrev_b32 v22, 16, v31
	s_wait_dscnt 0x4
	v_sub_f32_e32 v23, v29, v23
	ds_bpermute_b32 v29, v16, v19
	s_wait_loadcnt 0xb
	v_lshlrev_b32_e32 v31, 16, v32
	ds_bpermute_b32 v32, v17, v19
	s_wait_dscnt 0x5
	v_dual_mul_f32 v21, v21, v24 :: v_dual_mul_f32 v19, v23, v22
	s_wait_loadcnt 0xa
	v_dual_sub_f32 v31, v31, v43 :: v_dual_lshlrev_b32 v24, 16, v33
	s_wait_loadcnt 0x9
	v_lshlrev_b32_e32 v33, 16, v34
	v_pk_add_f32 v[4:5], v[4:5], v[20:21]
	s_wait_loadcnt_dscnt 0x804
	v_dual_mul_f32 v23, v19, v25 :: v_dual_lshlrev_b32 v20, 16, v35
	s_delay_alu instid0(VALU_DEP_3) | instskip(NEXT) | instid1(VALU_DEP_2)
	v_dual_mul_f32 v19, v31, v24 :: v_dual_sub_f32 v21, v33, v45
	v_pk_add_f32 v[4:5], v[4:5], v[22:23]
	s_wait_loadcnt 0x7
	v_lshlrev_b32_e32 v26, 16, v26
	s_wait_loadcnt 0x6
	v_dual_mul_f32 v25, v19, v42 :: v_dual_lshlrev_b32 v22, 16, v27
	s_delay_alu instid0(VALU_DEP_2)
	v_dual_mul_f32 v19, v21, v20 :: v_dual_sub_f32 v23, v26, v46
	s_wait_loadcnt 0x5
	v_lshlrev_b32_e32 v27, 16, v36
	ds_bpermute_b32 v26, v17, v18
	v_pk_add_f32 v[4:5], v[4:5], v[24:25]
	s_wait_loadcnt 0x4
	v_dual_mul_f32 v21, v19, v44 :: v_dual_lshlrev_b32 v18, 16, v37
	v_mul_f32_e32 v19, v23, v22
	s_wait_dscnt 0x3
	v_sub_f32_e32 v24, v27, v30
	s_delay_alu instid0(VALU_DEP_3) | instskip(SKIP_3) | instid1(VALU_DEP_1)
	v_pk_add_f32 v[4:5], v[4:5], v[20:21]
	s_wait_loadcnt 0x3
	v_dual_lshlrev_b32 v25, 16, v38 :: v_dual_mul_f32 v23, v19, v28
	s_wait_dscnt 0x2
	v_sub_f32_e32 v21, v25, v29
	s_delay_alu instid0(VALU_DEP_2) | instskip(SKIP_4) | instid1(VALU_DEP_2)
	v_pk_add_f32 v[4:5], v[4:5], v[22:23]
	s_wait_loadcnt 0x2
	v_dual_mul_f32 v19, v24, v18 :: v_dual_lshlrev_b32 v20, 16, v39
	s_wait_loadcnt 0x0
	v_dual_lshlrev_b32 v24, 16, v40 :: v_dual_lshlrev_b32 v22, 16, v41
	v_dual_mul_f32 v21, v21, v20 :: v_dual_mul_f32 v19, v19, v47
	s_wait_dscnt 0x1
	s_delay_alu instid0(VALU_DEP_2) | instskip(NEXT) | instid1(VALU_DEP_2)
	v_sub_f32_e32 v23, v24, v32
	v_mul_f32_e32 v21, v21, v48
	s_delay_alu instid0(VALU_DEP_3) | instskip(NEXT) | instid1(VALU_DEP_3)
	v_pk_add_f32 v[4:5], v[4:5], v[18:19]
	v_mul_f32_e32 v18, v23, v22
	s_delay_alu instid0(VALU_DEP_2) | instskip(SKIP_1) | instid1(VALU_DEP_2)
	v_pk_add_f32 v[4:5], v[4:5], v[20:21]
	s_wait_dscnt 0x0
	v_mul_f32_e32 v23, v18, v26
	s_delay_alu instid0(VALU_DEP_1)
	v_pk_add_f32 v[4:5], v[4:5], v[22:23]
	s_cbranch_vccz .LBB98_10
.LBB98_7:                               ; =>This Inner Loop Header: Depth=1
	v_dual_mov_b32 v18, 0 :: v_dual_mov_b32 v19, 0
	s_and_saveexec_b32 s3, s2
	s_cbranch_execz .LBB98_6
; %bb.8:                                ;   in Loop: Header=BB98_7 Depth=1
	v_dual_mov_b32 v19, 0 :: v_dual_mov_b32 v18, 0
	s_mov_b32 s30, exec_lo
	v_cmpx_gt_i64_e64 s[12:13], v[6:7]
	s_cbranch_execz .LBB98_5
; %bb.9:                                ;   in Loop: Header=BB98_7 Depth=1
	v_add_nc_u64_e32 v[20:21], s[8:9], v[8:9]
	v_add_nc_u64_e32 v[22:23], s[10:11], v[8:9]
	global_load_b32 v19, v[20:21], off
	global_load_b32 v18, v[22:23], off
	s_branch .LBB98_5
.LBB98_10:
	v_mov_b32_e32 v2, v1
	s_mov_b64 s[4:5], s[20:21]
.LBB98_11:
	s_load_b128 s[0:3], s[0:1], 0x30
	s_nop 0
	s_load_u16 s4, s[4:5], 0xe
	v_mov_b32_e32 v1, 0
	s_delay_alu instid0(VALU_DEP_1) | instskip(SKIP_1) | instid1(VALU_DEP_1)
	v_mov_b32_e32 v3, v1
	s_wait_kmcnt 0x0
	v_mad_nc_u64_u32 v[2:3], s4, s17, v[2:3]
	s_mov_b32 s17, 0
	s_delay_alu instid0(SALU_CYCLE_1) | instskip(SKIP_2) | instid1(VALU_DEP_2)
	s_lshl_b64 s[4:5], s[16:17], 6
	s_cmp_eq_u64 s[0:1], 0
	v_add_nc_u64_e32 v[0:1], s[4:5], v[0:1]
	v_mul_u64_e32 v[2:3], s[14:15], v[2:3]
	s_cbranch_scc1 .LBB98_13
; %bb.12:
	v_bfe_u32 v6, v5, 16, 1
	v_cmp_o_f32_e32 vcc_lo, v5, v5
	s_delay_alu instid0(VALU_DEP_2) | instskip(NEXT) | instid1(VALU_DEP_1)
	v_add3_u32 v6, v5, v6, 0x7fff
	v_lshrrev_b32_e32 v8, 16, v6
	v_lshl_add_u64 v[6:7], v[2:3], 1, s[0:1]
	s_delay_alu instid0(VALU_DEP_2) | instskip(NEXT) | instid1(VALU_DEP_2)
	v_cndmask_b32_e32 v5, 0x7fc0, v8, vcc_lo
	v_lshl_add_u64 v[6:7], v[0:1], 1, v[6:7]
	global_store_b16 v[6:7], v5, off
.LBB98_13:
	s_cmp_eq_u64 s[2:3], 0
	s_cbranch_scc1 .LBB98_15
; %bb.14:
	s_wait_xcnt 0x0
	v_bfe_u32 v5, v4, 16, 1
	s_delay_alu instid0(VALU_DEP_2) | instskip(SKIP_1) | instid1(VALU_DEP_3)
	v_lshl_add_u64 v[2:3], v[2:3], 1, s[2:3]
	v_cmp_o_f32_e32 vcc_lo, v4, v4
	v_add3_u32 v5, v4, v5, 0x7fff
	s_delay_alu instid0(VALU_DEP_3) | instskip(NEXT) | instid1(VALU_DEP_2)
	v_lshl_add_u64 v[0:1], v[0:1], 1, v[2:3]
	v_lshrrev_b32_e32 v5, 16, v5
	s_delay_alu instid0(VALU_DEP_1)
	v_cndmask_b32_e32 v4, 0x7fc0, v5, vcc_lo
	global_store_b16 v[0:1], v4, off
.LBB98_15:
	s_endpgm
	.section	.rodata,"a",@progbits
	.p2align	6, 0x0
	.amdhsa_kernel _ZN2at6native12_GLOBAL__N_135GammaBetaBackwardCUDAKernelTemplateIN3c108BFloat16EfLj64ELj1ELj8ELb1ELb1ELb0EEEvllPKT_S7_PKT0_SA_PS5_SB_
		.amdhsa_group_segment_fixed_size 0
		.amdhsa_private_segment_fixed_size 0
		.amdhsa_kernarg_size 320
		.amdhsa_user_sgpr_count 2
		.amdhsa_user_sgpr_dispatch_ptr 0
		.amdhsa_user_sgpr_queue_ptr 0
		.amdhsa_user_sgpr_kernarg_segment_ptr 1
		.amdhsa_user_sgpr_dispatch_id 0
		.amdhsa_user_sgpr_kernarg_preload_length 0
		.amdhsa_user_sgpr_kernarg_preload_offset 0
		.amdhsa_user_sgpr_private_segment_size 0
		.amdhsa_wavefront_size32 1
		.amdhsa_uses_dynamic_stack 0
		.amdhsa_enable_private_segment 0
		.amdhsa_system_sgpr_workgroup_id_x 1
		.amdhsa_system_sgpr_workgroup_id_y 1
		.amdhsa_system_sgpr_workgroup_id_z 0
		.amdhsa_system_sgpr_workgroup_info 0
		.amdhsa_system_vgpr_workitem_id 1
		.amdhsa_next_free_vgpr 49
		.amdhsa_next_free_sgpr 31
		.amdhsa_named_barrier_count 0
		.amdhsa_reserve_vcc 1
		.amdhsa_float_round_mode_32 0
		.amdhsa_float_round_mode_16_64 0
		.amdhsa_float_denorm_mode_32 3
		.amdhsa_float_denorm_mode_16_64 3
		.amdhsa_fp16_overflow 0
		.amdhsa_memory_ordered 1
		.amdhsa_forward_progress 1
		.amdhsa_inst_pref_size 13
		.amdhsa_round_robin_scheduling 0
		.amdhsa_exception_fp_ieee_invalid_op 0
		.amdhsa_exception_fp_denorm_src 0
		.amdhsa_exception_fp_ieee_div_zero 0
		.amdhsa_exception_fp_ieee_overflow 0
		.amdhsa_exception_fp_ieee_underflow 0
		.amdhsa_exception_fp_ieee_inexact 0
		.amdhsa_exception_int_div_zero 0
	.end_amdhsa_kernel
	.section	.text._ZN2at6native12_GLOBAL__N_135GammaBetaBackwardCUDAKernelTemplateIN3c108BFloat16EfLj64ELj1ELj8ELb1ELb1ELb0EEEvllPKT_S7_PKT0_SA_PS5_SB_,"axG",@progbits,_ZN2at6native12_GLOBAL__N_135GammaBetaBackwardCUDAKernelTemplateIN3c108BFloat16EfLj64ELj1ELj8ELb1ELb1ELb0EEEvllPKT_S7_PKT0_SA_PS5_SB_,comdat
.Lfunc_end98:
	.size	_ZN2at6native12_GLOBAL__N_135GammaBetaBackwardCUDAKernelTemplateIN3c108BFloat16EfLj64ELj1ELj8ELb1ELb1ELb0EEEvllPKT_S7_PKT0_SA_PS5_SB_, .Lfunc_end98-_ZN2at6native12_GLOBAL__N_135GammaBetaBackwardCUDAKernelTemplateIN3c108BFloat16EfLj64ELj1ELj8ELb1ELb1ELb0EEEvllPKT_S7_PKT0_SA_PS5_SB_
                                        ; -- End function
	.set _ZN2at6native12_GLOBAL__N_135GammaBetaBackwardCUDAKernelTemplateIN3c108BFloat16EfLj64ELj1ELj8ELb1ELb1ELb0EEEvllPKT_S7_PKT0_SA_PS5_SB_.num_vgpr, 49
	.set _ZN2at6native12_GLOBAL__N_135GammaBetaBackwardCUDAKernelTemplateIN3c108BFloat16EfLj64ELj1ELj8ELb1ELb1ELb0EEEvllPKT_S7_PKT0_SA_PS5_SB_.num_agpr, 0
	.set _ZN2at6native12_GLOBAL__N_135GammaBetaBackwardCUDAKernelTemplateIN3c108BFloat16EfLj64ELj1ELj8ELb1ELb1ELb0EEEvllPKT_S7_PKT0_SA_PS5_SB_.numbered_sgpr, 31
	.set _ZN2at6native12_GLOBAL__N_135GammaBetaBackwardCUDAKernelTemplateIN3c108BFloat16EfLj64ELj1ELj8ELb1ELb1ELb0EEEvllPKT_S7_PKT0_SA_PS5_SB_.num_named_barrier, 0
	.set _ZN2at6native12_GLOBAL__N_135GammaBetaBackwardCUDAKernelTemplateIN3c108BFloat16EfLj64ELj1ELj8ELb1ELb1ELb0EEEvllPKT_S7_PKT0_SA_PS5_SB_.private_seg_size, 0
	.set _ZN2at6native12_GLOBAL__N_135GammaBetaBackwardCUDAKernelTemplateIN3c108BFloat16EfLj64ELj1ELj8ELb1ELb1ELb0EEEvllPKT_S7_PKT0_SA_PS5_SB_.uses_vcc, 1
	.set _ZN2at6native12_GLOBAL__N_135GammaBetaBackwardCUDAKernelTemplateIN3c108BFloat16EfLj64ELj1ELj8ELb1ELb1ELb0EEEvllPKT_S7_PKT0_SA_PS5_SB_.uses_flat_scratch, 0
	.set _ZN2at6native12_GLOBAL__N_135GammaBetaBackwardCUDAKernelTemplateIN3c108BFloat16EfLj64ELj1ELj8ELb1ELb1ELb0EEEvllPKT_S7_PKT0_SA_PS5_SB_.has_dyn_sized_stack, 0
	.set _ZN2at6native12_GLOBAL__N_135GammaBetaBackwardCUDAKernelTemplateIN3c108BFloat16EfLj64ELj1ELj8ELb1ELb1ELb0EEEvllPKT_S7_PKT0_SA_PS5_SB_.has_recursion, 0
	.set _ZN2at6native12_GLOBAL__N_135GammaBetaBackwardCUDAKernelTemplateIN3c108BFloat16EfLj64ELj1ELj8ELb1ELb1ELb0EEEvllPKT_S7_PKT0_SA_PS5_SB_.has_indirect_call, 0
	.section	.AMDGPU.csdata,"",@progbits
; Kernel info:
; codeLenInByte = 1548
; TotalNumSgprs: 33
; NumVgprs: 49
; ScratchSize: 0
; MemoryBound: 0
; FloatMode: 240
; IeeeMode: 1
; LDSByteSize: 0 bytes/workgroup (compile time only)
; SGPRBlocks: 0
; VGPRBlocks: 3
; NumSGPRsForWavesPerEU: 33
; NumVGPRsForWavesPerEU: 49
; NamedBarCnt: 0
; Occupancy: 16
; WaveLimiterHint : 0
; COMPUTE_PGM_RSRC2:SCRATCH_EN: 0
; COMPUTE_PGM_RSRC2:USER_SGPR: 2
; COMPUTE_PGM_RSRC2:TRAP_HANDLER: 0
; COMPUTE_PGM_RSRC2:TGID_X_EN: 1
; COMPUTE_PGM_RSRC2:TGID_Y_EN: 1
; COMPUTE_PGM_RSRC2:TGID_Z_EN: 0
; COMPUTE_PGM_RSRC2:TIDIG_COMP_CNT: 1
	.section	.text._ZN2at6native12_GLOBAL__N_135GammaBetaBackwardCUDAKernelTemplateIN3c108BFloat16EfLj64ELj1ELj8ELb1ELb0ELb0EEEvllPKT_S7_PKT0_SA_PS5_SB_,"axG",@progbits,_ZN2at6native12_GLOBAL__N_135GammaBetaBackwardCUDAKernelTemplateIN3c108BFloat16EfLj64ELj1ELj8ELb1ELb0ELb0EEEvllPKT_S7_PKT0_SA_PS5_SB_,comdat
	.globl	_ZN2at6native12_GLOBAL__N_135GammaBetaBackwardCUDAKernelTemplateIN3c108BFloat16EfLj64ELj1ELj8ELb1ELb0ELb0EEEvllPKT_S7_PKT0_SA_PS5_SB_ ; -- Begin function _ZN2at6native12_GLOBAL__N_135GammaBetaBackwardCUDAKernelTemplateIN3c108BFloat16EfLj64ELj1ELj8ELb1ELb0ELb0EEEvllPKT_S7_PKT0_SA_PS5_SB_
	.p2align	8
	.type	_ZN2at6native12_GLOBAL__N_135GammaBetaBackwardCUDAKernelTemplateIN3c108BFloat16EfLj64ELj1ELj8ELb1ELb0ELb0EEEvllPKT_S7_PKT0_SA_PS5_SB_,@function
_ZN2at6native12_GLOBAL__N_135GammaBetaBackwardCUDAKernelTemplateIN3c108BFloat16EfLj64ELj1ELj8ELb1ELb0ELb0EEEvllPKT_S7_PKT0_SA_PS5_SB_: ; @_ZN2at6native12_GLOBAL__N_135GammaBetaBackwardCUDAKernelTemplateIN3c108BFloat16EfLj64ELj1ELj8ELb1ELb0ELb0EEEvllPKT_S7_PKT0_SA_PS5_SB_
; %bb.0:
	s_load_b256 s[4:11], s[0:1], 0x0
	s_bfe_u32 s3, ttmp6, 0x4000c
	s_bfe_u32 s12, ttmp6, 0x40010
	s_add_co_i32 s3, s3, 1
	s_add_co_i32 s12, s12, 1
	s_and_b32 s2, ttmp6, 15
	s_bfe_u32 s13, ttmp6, 0x40004
	s_mul_i32 s3, ttmp9, s3
	s_mul_i32 s12, ttmp7, s12
	s_getreg_b32 s14, hwreg(HW_REG_IB_STS2, 6, 4)
	s_add_co_i32 s2, s2, s3
	s_add_co_i32 s3, s13, s12
	s_cmp_eq_u32 s14, 0
	s_mov_b32 s19, 0
	s_cselect_b32 s16, ttmp9, s2
	s_cselect_b32 s33, ttmp7, s3
	s_lshl_b32 s3, s16, 6
	s_load_b128 s[12:15], s[0:1], 0x20
	s_or_b32 s18, s3, 63
	s_wait_kmcnt 0x0
	v_cmp_le_i64_e64 s2, s[6:7], s[18:19]
	s_lshl_b32 s18, s33, 3
	s_delay_alu instid0(SALU_CYCLE_1) | instskip(SKIP_2) | instid1(VALU_DEP_1)
	v_cmp_gt_i64_e64 s17, s[4:5], s[18:19]
	s_and_b32 vcc_lo, exec_lo, s2
	v_cndmask_b32_e64 v1, 0, 1, s17
	v_cmp_ne_u32_e64 s2, 1, v1
	s_cbranch_vccz .LBB99_48
; %bb.1:
	v_mov_b32_e32 v23, 0
	s_and_b32 vcc_lo, exec_lo, s2
	s_delay_alu instid0(VALU_DEP_1)
	v_mov_b32_e32 v22, v23
	s_cbranch_vccnz .LBB99_49
; %bb.2:
	v_bfe_u32 v1, v0, 10, 10
	v_mov_b32_e32 v2, 0
	v_and_b32_e32 v62, 0x3ff, v0
	s_load_b32 s20, s[0:1], 0x44
	s_mov_b32 s21, 0
	s_delay_alu instid0(VALU_DEP_2) | instskip(NEXT) | instid1(VALU_DEP_2)
	v_dual_mov_b32 v21, v2 :: v_dual_lshlrev_b32 v20, 3, v1
	v_dual_mov_b32 v19, v2 :: v_dual_add_nc_u32 v18, s3, v62
	s_mov_b32 s25, s21
	s_add_nc_u64 s[22:23], s[0:1], 64
	s_delay_alu instid0(VALU_DEP_2) | instskip(SKIP_2) | instid1(VALU_DEP_1)
	v_add_nc_u64_e32 v[4:5], s[18:19], v[20:21]
	s_mov_b64 s[28:29], 7
	s_mov_b64 s[30:31], s[18:19]
	v_mul_u64_e32 v[6:7], s[6:7], v[4:5]
	v_add_nc_u64_e32 v[8:9], 7, v[4:5]
	v_add_nc_u64_e32 v[10:11], 6, v[4:5]
	;; [unrolled: 1-line block ×6, first 2 shown]
	s_wait_kmcnt 0x0
	s_lshl_b32 s24, s20, 3
	v_mul_u64_e32 v[8:9], s[6:7], v[8:9]
	v_mul_u64_e32 v[10:11], s[6:7], v[10:11]
	;; [unrolled: 1-line block ×6, first 2 shown]
	s_mul_u64 s[26:27], s[6:7], s[24:25]
	s_delay_alu instid0(SALU_CYCLE_1) | instskip(SKIP_2) | instid1(VALU_DEP_2)
	s_lshl_b64 s[26:27], s[26:27], 1
	v_lshlrev_b64_e32 v[22:23], 1, v[6:7]
	v_add_nc_u64_e32 v[6:7], s[6:7], v[6:7]
	v_add_nc_u64_e32 v[26:27], s[8:9], v[22:23]
	v_lshlrev_b64_e32 v[8:9], 1, v[8:9]
	v_lshlrev_b64_e32 v[10:11], 1, v[10:11]
	;; [unrolled: 1-line block ×7, first 2 shown]
	v_add_nc_u64_e32 v[28:29], s[10:11], v[22:23]
	v_add_nc_u64_e32 v[30:31], s[8:9], v[8:9]
	v_add_nc_u64_e32 v[32:33], s[10:11], v[8:9]
	v_add_nc_u64_e32 v[34:35], s[8:9], v[10:11]
	v_add_nc_u64_e32 v[36:37], s[10:11], v[10:11]
	v_add_nc_u64_e32 v[38:39], s[8:9], v[12:13]
	v_add_nc_u64_e32 v[40:41], s[10:11], v[12:13]
	v_add_nc_u64_e32 v[42:43], s[8:9], v[14:15]
	v_add_nc_u64_e32 v[44:45], s[10:11], v[14:15]
	v_add_nc_u64_e32 v[46:47], s[8:9], v[16:17]
	v_add_nc_u64_e32 v[48:49], s[10:11], v[16:17]
	v_add_nc_u64_e32 v[50:51], s[8:9], v[4:5]
	v_add_nc_u64_e32 v[52:53], s[10:11], v[4:5]
	v_add_nc_u64_e32 v[54:55], s[8:9], v[6:7]
	v_add_nc_u64_e32 v[56:57], s[10:11], v[6:7]
	v_mov_b32_e32 v22, 0
	v_cmp_gt_i64_e64 s2, s[6:7], v[18:19]
	v_lshlrev_b64_e32 v[24:25], 1, v[18:19]
	v_mov_b32_e32 v23, v2
	s_branch .LBB99_5
.LBB99_3:                               ;   in Loop: Header=BB99_5 Depth=1
	s_or_b32 exec_lo, exec_lo, s20
	s_wait_loadcnt 0x1
	ds_bpermute_b32 v3, v2, v60
	ds_bpermute_b32 v59, v2, v60 offset:4
	ds_bpermute_b32 v63, v2, v60 offset:8
	s_wait_loadcnt 0x0
	ds_bpermute_b32 v64, v2, v61
	ds_bpermute_b32 v65, v2, v60 offset:12
	ds_bpermute_b32 v66, v2, v61 offset:4
	;; [unrolled: 1-line block ×9, first 2 shown]
	s_wait_dscnt 0xc
	v_dual_mov_b32 v58, v5 :: v_dual_sub_f32 v3, v12, v3
	s_wait_dscnt 0xb
	v_dual_mov_b32 v12, v4 :: v_dual_sub_f32 v13, v13, v59
	s_wait_dscnt 0xa
	v_sub_f32_e32 v59, v14, v63
	v_dual_mul_f32 v3, v4, v3 :: v_dual_mov_b32 v4, v6
	s_delay_alu instid0(VALU_DEP_3) | instskip(SKIP_1) | instid1(VALU_DEP_2)
	v_dual_mul_f32 v5, v5, v13 :: v_dual_mov_b32 v14, v7
	s_wait_dscnt 0x9
	v_dual_mul_f32 v6, v6, v59 :: v_dual_mul_f32 v13, v3, v64
	s_wait_dscnt 0x7
	s_delay_alu instid0(VALU_DEP_2) | instskip(SKIP_1) | instid1(VALU_DEP_2)
	v_dual_sub_f32 v3, v15, v65 :: v_dual_mul_f32 v59, v5, v66
	s_wait_dscnt 0x6
	v_mul_f32_e32 v5, v6, v67
	v_pk_add_f32 v[12:13], v[22:23], v[12:13]
	ds_bpermute_b32 v22, v2, v61 offset:24
	s_wait_dscnt 0x6
	v_dual_sub_f32 v15, v16, v69 :: v_dual_mul_f32 v3, v7, v3
	v_pk_add_f32 v[6:7], v[58:59], v[12:13]
	s_wait_dscnt 0x4
	v_dual_mov_b32 v12, v8 :: v_dual_sub_f32 v13, v17, v72
	s_delay_alu instid0(VALU_DEP_3) | instskip(NEXT) | instid1(VALU_DEP_3)
	v_dual_mul_f32 v8, v8, v15 :: v_dual_mul_f32 v15, v3, v68
	v_pk_add_f32 v[4:5], v[4:5], v[6:7]
	ds_bpermute_b32 v3, v2, v61 offset:28
	s_wait_dscnt 0x3
	v_sub_f32_e32 v16, v18, v73
	v_dual_mul_f32 v17, v9, v13 :: v_dual_mul_f32 v13, v8, v70
	v_pk_add_f32 v[6:7], v[14:15], v[4:5]
	ds_bpermute_b32 v4, v2, v60 offset:28
	v_dual_mov_b32 v8, v9 :: v_dual_mul_f32 v5, v10, v16
	s_wait_dscnt 0x3
	v_mul_f32_e32 v9, v17, v71
	v_pk_add_f32 v[6:7], v[12:13], v[6:7]
	s_wait_dscnt 0x2
	v_dual_mov_b32 v12, v10 :: v_dual_mul_f32 v13, v5, v22
	s_delay_alu instid0(VALU_DEP_2) | instskip(NEXT) | instid1(VALU_DEP_1)
	v_pk_add_f32 v[6:7], v[8:9], v[6:7]
	v_pk_add_f32 v[60:61], v[12:13], v[6:7]
.LBB99_4:                               ;   in Loop: Header=BB99_5 Depth=1
	s_wait_dscnt 0x0
	v_sub_f32_e32 v5, v19, v4
	v_mov_b32_e32 v4, v11
	s_add_nc_u64 s[30:31], s[30:31], s[24:25]
	v_add_nc_u64_e32 v[26:27], s[26:27], v[26:27]
	v_cmp_lt_i64_e64 s20, s[30:31], s[4:5]
	v_mul_f32_e32 v5, v11, v5
	v_add_nc_u64_e32 v[28:29], s[26:27], v[28:29]
	v_add_nc_u64_e32 v[30:31], s[26:27], v[30:31]
	;; [unrolled: 1-line block ×4, first 2 shown]
	v_mul_f32_e32 v5, v5, v3
	v_add_nc_u64_e32 v[36:37], s[26:27], v[36:37]
	v_add_nc_u64_e32 v[38:39], s[26:27], v[38:39]
	;; [unrolled: 1-line block ×12, first 2 shown]
	v_pk_add_f32 v[22:23], v[60:61], v[4:5]
	s_and_b32 vcc_lo, exec_lo, s20
	s_add_nc_u64 s[28:29], s[28:29], s[24:25]
	s_cbranch_vccz .LBB99_49
.LBB99_5:                               ; =>This Inner Loop Header: Depth=1
	s_add_nc_u64 s[34:35], s[18:19], s[28:29]
	s_delay_alu instid0(VALU_DEP_2)
	v_add_nc_u64_e32 v[58:59], s[18:19], v[20:21]
	v_cmp_ge_i64_e64 s20, s[34:35], s[4:5]
                                        ; implicit-def: $vgpr4_vgpr5_vgpr6_vgpr7_vgpr8_vgpr9_vgpr10_vgpr11
                                        ; implicit-def: $vgpr60_vgpr61
                                        ; implicit-def: $vgpr3
                                        ; implicit-def: $vgpr12_vgpr13_vgpr14_vgpr15_vgpr16_vgpr17_vgpr18_vgpr19
                                        ; implicit-def: $vgpr4
	s_and_b32 vcc_lo, exec_lo, s20
	s_mov_b32 s20, -1
	s_cbranch_vccz .LBB99_27
; %bb.6:                                ;   in Loop: Header=BB99_5 Depth=1
	s_load_b32 s20, s[22:23], 0xc
	v_dual_mov_b32 v60, 0 :: v_dual_mov_b32 v61, 0
	s_wait_kmcnt 0x0
	s_and_b32 s20, s20, 0xffff
	s_delay_alu instid0(SALU_CYCLE_1) | instskip(SKIP_1) | instid1(VALU_DEP_1)
	v_mad_u32_u24 v3, v1, s20, v62
	s_mov_b32 s20, exec_lo
	v_and_b32_e32 v4, 31, v3
	s_delay_alu instid0(VALU_DEP_1)
	v_cmpx_gt_u32_e32 8, v4
	s_cbranch_execz .LBB99_10
; %bb.7:                                ;   in Loop: Header=BB99_5 Depth=1
	v_dual_mov_b32 v5, v2 :: v_dual_mov_b32 v60, 0
	v_mov_b32_e32 v61, 0
	s_mov_b32 s34, exec_lo
	s_delay_alu instid0(VALU_DEP_2) | instskip(NEXT) | instid1(VALU_DEP_1)
	v_add_nc_u64_e32 v[4:5], v[58:59], v[4:5]
	v_cmpx_gt_i64_e64 s[4:5], v[4:5]
	s_cbranch_execz .LBB99_9
; %bb.8:                                ;   in Loop: Header=BB99_5 Depth=1
	v_lshlrev_b64_e32 v[4:5], 2, v[4:5]
	s_delay_alu instid0(VALU_DEP_1)
	v_add_nc_u64_e32 v[6:7], s[12:13], v[4:5]
	v_add_nc_u64_e32 v[4:5], s[14:15], v[4:5]
	global_load_b32 v60, v[6:7], off
	global_load_b32 v61, v[4:5], off
.LBB99_9:                               ;   in Loop: Header=BB99_5 Depth=1
	s_wait_xcnt 0x0
	s_or_b32 exec_lo, exec_lo, s34
.LBB99_10:                              ;   in Loop: Header=BB99_5 Depth=1
	s_delay_alu instid0(SALU_CYCLE_1)
	s_or_b32 exec_lo, exec_lo, s20
	v_dual_mov_b32 v7, v2 :: v_dual_mov_b32 v8, v2
	v_dual_mov_b32 v9, v2 :: v_dual_mov_b32 v3, v2
	;; [unrolled: 1-line block ×3, first 2 shown]
	v_mov_b32_e32 v6, v2
	v_cmp_gt_i64_e32 vcc_lo, s[4:5], v[58:59]
	s_delay_alu instid0(VALU_DEP_4)
	v_mov_b64_e32 v[18:19], v[8:9]
	v_mov_b64_e32 v[12:13], v[2:3]
	;; [unrolled: 1-line block ×8, first 2 shown]
	s_and_b32 s34, s2, vcc_lo
	s_delay_alu instid0(SALU_CYCLE_1)
	s_and_saveexec_b32 s20, s34
	s_cbranch_execz .LBB99_12
; %bb.11:                               ;   in Loop: Header=BB99_5 Depth=1
	v_add_nc_u64_e32 v[4:5], v[26:27], v[24:25]
	v_add_nc_u64_e32 v[6:7], v[28:29], v[24:25]
	v_dual_mov_b32 v9, v2 :: v_dual_mov_b32 v10, v2
	v_dual_mov_b32 v11, v2 :: v_dual_mov_b32 v13, v2
	;; [unrolled: 1-line block ×3, first 2 shown]
	global_load_u16 v3, v[4:5], off
	global_load_u16 v12, v[6:7], off
	s_wait_xcnt 0x0
	v_dual_mov_b32 v5, v2 :: v_dual_mov_b32 v6, v2
	v_dual_mov_b32 v7, v2 :: v_dual_mov_b32 v8, v2
	;; [unrolled: 1-line block ×4, first 2 shown]
	s_wait_loadcnt 0x0
	v_dual_lshlrev_b32 v4, 16, v3 :: v_dual_lshlrev_b32 v12, 16, v12
.LBB99_12:                              ;   in Loop: Header=BB99_5 Depth=1
	s_or_b32 exec_lo, exec_lo, s20
	v_add_nc_u64_e32 v[64:65], 1, v[58:59]
	s_delay_alu instid0(VALU_DEP_1) | instskip(SKIP_1) | instid1(SALU_CYCLE_1)
	v_cmp_gt_i64_e32 vcc_lo, s[4:5], v[64:65]
	s_and_b32 s34, s2, vcc_lo
	s_and_saveexec_b32 s20, s34
	s_cbranch_execz .LBB99_14
; %bb.13:                               ;   in Loop: Header=BB99_5 Depth=1
	v_add_nc_u64_e32 v[64:65], v[54:55], v[24:25]
	v_add_nc_u64_e32 v[66:67], v[56:57], v[24:25]
	global_load_u16 v3, v[64:65], off
	global_load_u16 v13, v[66:67], off
	s_wait_loadcnt 0x0
	v_dual_lshlrev_b32 v5, 16, v3 :: v_dual_lshlrev_b32 v13, 16, v13
.LBB99_14:                              ;   in Loop: Header=BB99_5 Depth=1
	s_or_b32 exec_lo, exec_lo, s20
	v_add_nc_u64_e32 v[64:65], 2, v[58:59]
	s_delay_alu instid0(VALU_DEP_1) | instskip(SKIP_1) | instid1(SALU_CYCLE_1)
	v_cmp_gt_i64_e32 vcc_lo, s[4:5], v[64:65]
	s_and_b32 s34, s2, vcc_lo
	s_and_saveexec_b32 s20, s34
	s_cbranch_execz .LBB99_16
; %bb.15:                               ;   in Loop: Header=BB99_5 Depth=1
	v_add_nc_u64_e32 v[64:65], v[50:51], v[24:25]
	v_add_nc_u64_e32 v[66:67], v[52:53], v[24:25]
	global_load_u16 v3, v[64:65], off
	global_load_u16 v14, v[66:67], off
	s_wait_loadcnt 0x0
	v_dual_lshlrev_b32 v6, 16, v3 :: v_dual_lshlrev_b32 v14, 16, v14
.LBB99_16:                              ;   in Loop: Header=BB99_5 Depth=1
	s_or_b32 exec_lo, exec_lo, s20
	v_add_nc_u64_e32 v[64:65], 3, v[58:59]
	s_delay_alu instid0(VALU_DEP_1) | instskip(SKIP_1) | instid1(SALU_CYCLE_1)
	v_cmp_gt_i64_e32 vcc_lo, s[4:5], v[64:65]
	s_and_b32 s34, s2, vcc_lo
	s_and_saveexec_b32 s20, s34
	s_cbranch_execz .LBB99_18
; %bb.17:                               ;   in Loop: Header=BB99_5 Depth=1
	v_add_nc_u64_e32 v[64:65], v[46:47], v[24:25]
	v_add_nc_u64_e32 v[66:67], v[48:49], v[24:25]
	global_load_u16 v3, v[64:65], off
	global_load_u16 v15, v[66:67], off
	s_wait_loadcnt 0x1
	v_lshlrev_b32_e32 v7, 16, v3
	s_wait_loadcnt 0x0
	v_lshlrev_b32_e32 v15, 16, v15
.LBB99_18:                              ;   in Loop: Header=BB99_5 Depth=1
	s_or_b32 exec_lo, exec_lo, s20
	v_add_nc_u64_e32 v[64:65], 4, v[58:59]
	s_delay_alu instid0(VALU_DEP_1) | instskip(SKIP_1) | instid1(SALU_CYCLE_1)
	v_cmp_gt_i64_e32 vcc_lo, s[4:5], v[64:65]
	s_and_b32 s34, s2, vcc_lo
	s_and_saveexec_b32 s20, s34
	s_cbranch_execz .LBB99_20
; %bb.19:                               ;   in Loop: Header=BB99_5 Depth=1
	v_add_nc_u64_e32 v[64:65], v[42:43], v[24:25]
	v_add_nc_u64_e32 v[66:67], v[44:45], v[24:25]
	global_load_u16 v3, v[64:65], off
	global_load_u16 v16, v[66:67], off
	s_wait_loadcnt 0x0
	v_dual_lshlrev_b32 v8, 16, v3 :: v_dual_lshlrev_b32 v16, 16, v16
.LBB99_20:                              ;   in Loop: Header=BB99_5 Depth=1
	s_or_b32 exec_lo, exec_lo, s20
	v_add_nc_u64_e32 v[64:65], 5, v[58:59]
	s_delay_alu instid0(VALU_DEP_1) | instskip(SKIP_1) | instid1(SALU_CYCLE_1)
	v_cmp_gt_i64_e32 vcc_lo, s[4:5], v[64:65]
	s_and_b32 s34, s2, vcc_lo
	s_and_saveexec_b32 s20, s34
	s_cbranch_execz .LBB99_22
; %bb.21:                               ;   in Loop: Header=BB99_5 Depth=1
	v_add_nc_u64_e32 v[64:65], v[38:39], v[24:25]
	v_add_nc_u64_e32 v[66:67], v[40:41], v[24:25]
	global_load_u16 v3, v[64:65], off
	global_load_u16 v17, v[66:67], off
	s_wait_loadcnt 0x0
	v_dual_lshlrev_b32 v9, 16, v3 :: v_dual_lshlrev_b32 v17, 16, v17
.LBB99_22:                              ;   in Loop: Header=BB99_5 Depth=1
	;; [unrolled: 15-line block ×3, first 2 shown]
	s_or_b32 exec_lo, exec_lo, s20
	v_add_nc_u64_e32 v[64:65], 7, v[58:59]
	s_delay_alu instid0(VALU_DEP_1) | instskip(SKIP_1) | instid1(SALU_CYCLE_1)
	v_cmp_gt_i64_e32 vcc_lo, s[4:5], v[64:65]
	s_and_b32 s34, s2, vcc_lo
	s_and_saveexec_b32 s20, s34
	s_cbranch_execz .LBB99_26
; %bb.25:                               ;   in Loop: Header=BB99_5 Depth=1
	v_add_nc_u64_e32 v[64:65], v[30:31], v[24:25]
	v_add_nc_u64_e32 v[66:67], v[32:33], v[24:25]
	global_load_u16 v3, v[64:65], off
	global_load_u16 v19, v[66:67], off
	s_wait_loadcnt 0x1
	v_lshlrev_b32_e32 v11, 16, v3
	s_wait_loadcnt 0x0
	v_lshlrev_b32_e32 v19, 16, v19
.LBB99_26:                              ;   in Loop: Header=BB99_5 Depth=1
	s_or_b32 exec_lo, exec_lo, s20
	s_wait_loadcnt 0x1
	ds_bpermute_b32 v3, v2, v60
	ds_bpermute_b32 v63, v2, v60 offset:4
	ds_bpermute_b32 v65, v2, v60 offset:8
	s_wait_loadcnt 0x0
	ds_bpermute_b32 v66, v2, v61
	ds_bpermute_b32 v67, v2, v60 offset:12
	ds_bpermute_b32 v68, v2, v61 offset:4
	;; [unrolled: 1-line block ×8, first 2 shown]
	s_mov_b32 s20, 0
	s_wait_dscnt 0xb
	v_dual_mov_b32 v64, v5 :: v_dual_sub_f32 v3, v12, v3
	s_wait_dscnt 0xa
	v_dual_mov_b32 v12, v4 :: v_dual_sub_f32 v13, v13, v63
	ds_bpermute_b32 v63, v2, v60 offset:24
	v_dual_mul_f32 v3, v4, v3 :: v_dual_mov_b32 v4, v6
	s_wait_dscnt 0xa
	v_sub_f32_e32 v65, v14, v65
	v_dual_mul_f32 v5, v5, v13 :: v_dual_mov_b32 v14, v7
	s_wait_dscnt 0x9
	v_mul_f32_e32 v13, v3, v66
	s_wait_dscnt 0x8
	v_dual_sub_f32 v3, v15, v67 :: v_dual_mul_f32 v6, v6, v65
	s_wait_dscnt 0x5
	v_dual_mul_f32 v65, v5, v68 :: v_dual_sub_f32 v15, v16, v71
	v_pk_add_f32 v[12:13], v[22:23], v[12:13]
	ds_bpermute_b32 v66, v2, v61 offset:24
	v_dual_mul_f32 v3, v7, v3 :: v_dual_mul_f32 v5, v6, v69
	v_pk_add_f32 v[6:7], v[64:65], v[12:13]
	s_wait_dscnt 0x4
	v_dual_mov_b32 v12, v8 :: v_dual_sub_f32 v13, v17, v74
	s_delay_alu instid0(VALU_DEP_3) | instskip(NEXT) | instid1(VALU_DEP_3)
	v_dual_mul_f32 v8, v8, v15 :: v_dual_mul_f32 v15, v3, v70
	v_pk_add_f32 v[4:5], v[4:5], v[6:7]
	ds_bpermute_b32 v3, v2, v61 offset:28
	s_wait_dscnt 0x2
	v_dual_sub_f32 v16, v18, v63 :: v_dual_mul_f32 v17, v9, v13
	v_dual_mul_f32 v13, v8, v72 :: v_dual_mov_b32 v8, v9
	v_pk_add_f32 v[6:7], v[14:15], v[4:5]
	ds_bpermute_b32 v4, v2, v60 offset:28
	v_dual_mul_f32 v5, v10, v16 :: v_dual_mul_f32 v9, v17, v73
	v_pk_add_f32 v[6:7], v[12:13], v[6:7]
	s_wait_dscnt 0x2
	s_delay_alu instid0(VALU_DEP_2) | instskip(NEXT) | instid1(VALU_DEP_2)
	v_dual_mov_b32 v12, v10 :: v_dual_mul_f32 v13, v5, v66
	v_pk_add_f32 v[6:7], v[8:9], v[6:7]
	s_delay_alu instid0(VALU_DEP_1)
	v_pk_add_f32 v[60:61], v[12:13], v[6:7]
.LBB99_27:                              ;   in Loop: Header=BB99_5 Depth=1
	s_and_b32 vcc_lo, exec_lo, s20
	s_cbranch_vccz .LBB99_4
; %bb.28:                               ;   in Loop: Header=BB99_5 Depth=1
	s_load_b32 s20, s[22:23], 0x0
	v_dual_mov_b32 v60, 0 :: v_dual_mov_b32 v61, 0
	s_wait_kmcnt 0x0
	s_cmp_lt_u32 s16, s20
	s_cselect_b32 s20, 12, 18
	s_delay_alu instid0(SALU_CYCLE_1)
	s_add_nc_u64 s[34:35], s[22:23], s[20:21]
	s_load_u16 s20, s[34:35], 0x0
	s_wait_dscnt 0x1
	s_wait_kmcnt 0x0
	v_mad_u32_u24 v3, v1, s20, v62
	s_mov_b32 s20, exec_lo
	s_wait_dscnt 0x0
	s_delay_alu instid0(VALU_DEP_1) | instskip(NEXT) | instid1(VALU_DEP_1)
	v_and_b32_e32 v4, 31, v3
	v_cmpx_gt_u32_e32 8, v4
	s_cbranch_execz .LBB99_32
; %bb.29:                               ;   in Loop: Header=BB99_5 Depth=1
	v_dual_mov_b32 v5, v2 :: v_dual_mov_b32 v60, 0
	v_mov_b32_e32 v61, 0
	s_mov_b32 s34, exec_lo
	s_delay_alu instid0(VALU_DEP_2) | instskip(NEXT) | instid1(VALU_DEP_1)
	v_add_nc_u64_e32 v[4:5], v[58:59], v[4:5]
	v_cmpx_gt_i64_e64 s[4:5], v[4:5]
	s_cbranch_execz .LBB99_31
; %bb.30:                               ;   in Loop: Header=BB99_5 Depth=1
	v_lshlrev_b64_e32 v[4:5], 2, v[4:5]
	s_delay_alu instid0(VALU_DEP_1)
	v_add_nc_u64_e32 v[6:7], s[12:13], v[4:5]
	v_add_nc_u64_e32 v[4:5], s[14:15], v[4:5]
	global_load_b32 v60, v[6:7], off
	global_load_b32 v61, v[4:5], off
.LBB99_31:                              ;   in Loop: Header=BB99_5 Depth=1
	s_wait_xcnt 0x0
	s_or_b32 exec_lo, exec_lo, s34
.LBB99_32:                              ;   in Loop: Header=BB99_5 Depth=1
	s_delay_alu instid0(SALU_CYCLE_1) | instskip(SKIP_4) | instid1(VALU_DEP_3)
	s_or_b32 exec_lo, exec_lo, s20
	v_dual_mov_b32 v7, v2 :: v_dual_mov_b32 v8, v2
	v_dual_mov_b32 v9, v2 :: v_dual_mov_b32 v3, v2
	;; [unrolled: 1-line block ×3, first 2 shown]
	v_mov_b32_e32 v6, v2
	v_mov_b64_e32 v[18:19], v[8:9]
	s_delay_alu instid0(VALU_DEP_4) | instskip(NEXT) | instid1(VALU_DEP_4)
	v_mov_b64_e32 v[12:13], v[2:3]
	v_mov_b64_e32 v[14:15], v[4:5]
	s_delay_alu instid0(VALU_DEP_4)
	v_mov_b64_e32 v[16:17], v[6:7]
	v_mov_b64_e32 v[10:11], v[8:9]
	;; [unrolled: 1-line block ×5, first 2 shown]
	s_and_saveexec_b32 s20, s2
	s_cbranch_execnz .LBB99_40
; %bb.33:                               ;   in Loop: Header=BB99_5 Depth=1
	s_or_b32 exec_lo, exec_lo, s20
	s_and_saveexec_b32 s20, s2
	s_cbranch_execnz .LBB99_41
.LBB99_34:                              ;   in Loop: Header=BB99_5 Depth=1
	s_or_b32 exec_lo, exec_lo, s20
	s_and_saveexec_b32 s20, s2
	s_cbranch_execnz .LBB99_42
.LBB99_35:                              ;   in Loop: Header=BB99_5 Depth=1
	s_or_b32 exec_lo, exec_lo, s20
	s_and_saveexec_b32 s20, s2
	s_cbranch_execnz .LBB99_43
.LBB99_36:                              ;   in Loop: Header=BB99_5 Depth=1
	s_or_b32 exec_lo, exec_lo, s20
	s_and_saveexec_b32 s20, s2
	s_cbranch_execnz .LBB99_44
.LBB99_37:                              ;   in Loop: Header=BB99_5 Depth=1
	s_or_b32 exec_lo, exec_lo, s20
	s_and_saveexec_b32 s20, s2
	s_cbranch_execnz .LBB99_45
.LBB99_38:                              ;   in Loop: Header=BB99_5 Depth=1
	s_or_b32 exec_lo, exec_lo, s20
	s_and_saveexec_b32 s20, s2
	s_cbranch_execnz .LBB99_46
.LBB99_39:                              ;   in Loop: Header=BB99_5 Depth=1
	s_or_b32 exec_lo, exec_lo, s20
	s_and_saveexec_b32 s20, s2
	s_cbranch_execz .LBB99_3
	s_branch .LBB99_47
.LBB99_40:                              ;   in Loop: Header=BB99_5 Depth=1
	v_add_nc_u64_e32 v[4:5], v[26:27], v[24:25]
	v_add_nc_u64_e32 v[6:7], v[28:29], v[24:25]
	v_dual_mov_b32 v9, v2 :: v_dual_mov_b32 v10, v2
	v_dual_mov_b32 v11, v2 :: v_dual_mov_b32 v13, v2
	;; [unrolled: 1-line block ×3, first 2 shown]
	global_load_u16 v3, v[4:5], off
	global_load_u16 v12, v[6:7], off
	s_wait_xcnt 0x0
	v_dual_mov_b32 v5, v2 :: v_dual_mov_b32 v6, v2
	v_dual_mov_b32 v7, v2 :: v_dual_mov_b32 v8, v2
	;; [unrolled: 1-line block ×4, first 2 shown]
	s_wait_loadcnt 0x0
	v_dual_lshlrev_b32 v4, 16, v3 :: v_dual_lshlrev_b32 v12, 16, v12
	s_or_b32 exec_lo, exec_lo, s20
	s_and_saveexec_b32 s20, s2
	s_cbranch_execz .LBB99_34
.LBB99_41:                              ;   in Loop: Header=BB99_5 Depth=1
	v_add_nc_u64_e32 v[58:59], v[54:55], v[24:25]
	v_add_nc_u64_e32 v[64:65], v[56:57], v[24:25]
	global_load_u16 v3, v[58:59], off
	global_load_u16 v13, v[64:65], off
	s_wait_loadcnt 0x0
	v_dual_lshlrev_b32 v5, 16, v3 :: v_dual_lshlrev_b32 v13, 16, v13
	s_or_b32 exec_lo, exec_lo, s20
	s_and_saveexec_b32 s20, s2
	s_cbranch_execz .LBB99_35
.LBB99_42:                              ;   in Loop: Header=BB99_5 Depth=1
	v_add_nc_u64_e32 v[58:59], v[50:51], v[24:25]
	v_add_nc_u64_e32 v[64:65], v[52:53], v[24:25]
	global_load_u16 v3, v[58:59], off
	global_load_u16 v14, v[64:65], off
	s_wait_loadcnt 0x0
	v_dual_lshlrev_b32 v6, 16, v3 :: v_dual_lshlrev_b32 v14, 16, v14
	s_or_b32 exec_lo, exec_lo, s20
	s_and_saveexec_b32 s20, s2
	s_cbranch_execz .LBB99_36
.LBB99_43:                              ;   in Loop: Header=BB99_5 Depth=1
	v_add_nc_u64_e32 v[58:59], v[46:47], v[24:25]
	v_add_nc_u64_e32 v[64:65], v[48:49], v[24:25]
	global_load_u16 v3, v[58:59], off
	global_load_u16 v15, v[64:65], off
	s_wait_loadcnt 0x1
	v_lshlrev_b32_e32 v7, 16, v3
	s_wait_loadcnt 0x0
	v_lshlrev_b32_e32 v15, 16, v15
	s_or_b32 exec_lo, exec_lo, s20
	s_and_saveexec_b32 s20, s2
	s_cbranch_execz .LBB99_37
.LBB99_44:                              ;   in Loop: Header=BB99_5 Depth=1
	v_add_nc_u64_e32 v[58:59], v[42:43], v[24:25]
	v_add_nc_u64_e32 v[64:65], v[44:45], v[24:25]
	global_load_u16 v3, v[58:59], off
	global_load_u16 v16, v[64:65], off
	s_wait_loadcnt 0x0
	v_dual_lshlrev_b32 v8, 16, v3 :: v_dual_lshlrev_b32 v16, 16, v16
	s_or_b32 exec_lo, exec_lo, s20
	s_and_saveexec_b32 s20, s2
	s_cbranch_execz .LBB99_38
.LBB99_45:                              ;   in Loop: Header=BB99_5 Depth=1
	v_add_nc_u64_e32 v[58:59], v[38:39], v[24:25]
	v_add_nc_u64_e32 v[64:65], v[40:41], v[24:25]
	global_load_u16 v3, v[58:59], off
	global_load_u16 v17, v[64:65], off
	s_wait_loadcnt 0x0
	v_dual_lshlrev_b32 v9, 16, v3 :: v_dual_lshlrev_b32 v17, 16, v17
	s_or_b32 exec_lo, exec_lo, s20
	s_and_saveexec_b32 s20, s2
	s_cbranch_execz .LBB99_39
.LBB99_46:                              ;   in Loop: Header=BB99_5 Depth=1
	v_add_nc_u64_e32 v[58:59], v[34:35], v[24:25]
	v_add_nc_u64_e32 v[64:65], v[36:37], v[24:25]
	global_load_u16 v3, v[58:59], off
	global_load_u16 v18, v[64:65], off
	s_wait_loadcnt 0x0
	v_dual_lshlrev_b32 v10, 16, v3 :: v_dual_lshlrev_b32 v18, 16, v18
	s_or_b32 exec_lo, exec_lo, s20
	s_and_saveexec_b32 s20, s2
	s_cbranch_execz .LBB99_3
.LBB99_47:                              ;   in Loop: Header=BB99_5 Depth=1
	v_add_nc_u64_e32 v[58:59], v[30:31], v[24:25]
	v_add_nc_u64_e32 v[64:65], v[32:33], v[24:25]
	global_load_u16 v3, v[58:59], off
	global_load_u16 v19, v[64:65], off
	s_wait_loadcnt 0x1
	v_lshlrev_b32_e32 v11, 16, v3
	s_wait_loadcnt 0x0
	v_lshlrev_b32_e32 v19, 16, v19
	s_branch .LBB99_3
.LBB99_48:
                                        ; implicit-def: $vgpr23
	s_branch .LBB99_50
.LBB99_49:
	s_cbranch_execnz .LBB99_81
.LBB99_50:
	v_mov_b32_e32 v23, 0
	s_and_not1_b32 vcc_lo, exec_lo, s17
	s_delay_alu instid0(VALU_DEP_1)
	v_mov_b32_e32 v22, v23
	s_cbranch_vccnz .LBB99_81
; %bb.51:
	v_bfe_u32 v1, v0, 10, 10
	v_mov_b32_e32 v2, 0
	v_and_b32_e32 v90, 0x3ff, v0
	s_load_b32 s2, s[0:1], 0x44
	s_add_nc_u64 s[20:21], s[0:1], 64
	s_delay_alu instid0(VALU_DEP_2) | instskip(SKIP_1) | instid1(VALU_DEP_2)
	v_dual_mov_b32 v5, v2 :: v_dual_lshlrev_b32 v4, 4, v1
	v_dual_mov_b32 v21, v2 :: v_dual_lshlrev_b32 v20, 3, v1
	v_lshl_add_u64 v[4:5], s[18:19], 1, v[4:5]
	s_delay_alu instid0(VALU_DEP_2) | instskip(NEXT) | instid1(VALU_DEP_2)
	v_add_nc_u64_e32 v[8:9], s[18:19], v[20:21]
	v_add_nc_u64_e32 v[6:7], 2, v[4:5]
	;; [unrolled: 1-line block ×6, first 2 shown]
	v_mul_u64_e32 v[22:23], s[6:7], v[8:9]
	v_add_nc_u64_e32 v[48:49], 4, v[8:9]
	v_mad_nc_u64_u32 v[24:25], s6, v6, s[8:9]
	v_mul_lo_u32 v3, s6, v7
	v_mul_lo_u32 v44, s7, v6
	v_mad_nc_u64_u32 v[34:35], s6, v6, s[10:11]
	v_add_nc_u64_e32 v[6:7], 7, v[8:9]
	v_mad_nc_u64_u32 v[26:27], s6, v10, s[8:9]
	v_mul_lo_u32 v50, s6, v11
	v_mul_lo_u32 v51, s7, v10
	v_mad_nc_u64_u32 v[28:29], s6, v12, s[8:9]
	v_mul_lo_u32 v52, s6, v13
	v_mul_lo_u32 v53, s7, v12
	v_mad_nc_u64_u32 v[36:37], s6, v10, s[10:11]
	v_mad_nc_u64_u32 v[40:41], s6, v12, s[10:11]
	v_add_nc_u64_e32 v[10:11], 6, v[8:9]
	v_mul_u64_e32 v[6:7], s[6:7], v[6:7]
	v_add_nc_u64_e32 v[12:13], 5, v[8:9]
	v_mad_nc_u64_u32 v[30:31], s6, v14, s[8:9]
	v_mul_lo_u32 v54, s6, v15
	v_mul_lo_u32 v55, s7, v14
	v_add3_u32 v25, v44, v25, v3
	v_add3_u32 v35, v44, v35, v3
	v_mul_u64_e32 v[10:11], s[6:7], v[10:11]
	v_mad_nc_u64_u32 v[44:45], s6, v14, s[10:11]
	v_add_nc_u64_e32 v[14:15], 3, v[8:9]
	v_add_nc_u64_e32 v[8:9], 2, v[8:9]
	v_mul_u64_e32 v[12:13], s[6:7], v[12:13]
	v_mad_nc_u64_u32 v[32:33], s6, v16, s[8:9]
	v_mul_lo_u32 v56, s6, v17
	v_mul_lo_u32 v57, s7, v16
	v_mad_nc_u64_u32 v[46:47], s6, v16, s[10:11]
	v_mul_u64_e32 v[16:17], s[6:7], v[48:49]
	v_mul_u64_e32 v[14:15], s[6:7], v[14:15]
	;; [unrolled: 1-line block ×3, first 2 shown]
	v_add_nc_u64_e32 v[18:19], 12, v[4:5]
	v_add_nc_u64_e32 v[4:5], 14, v[4:5]
	v_add3_u32 v27, v51, v27, v50
	v_add3_u32 v37, v51, v37, v50
	v_add3_u32 v29, v53, v29, v52
	v_add3_u32 v41, v53, v41, v52
	v_add3_u32 v31, v55, v31, v54
	v_mad_nc_u64_u32 v[38:39], s6, v18, s[8:9]
	v_mul_lo_u32 v19, s6, v19
	v_mul_lo_u32 v58, s7, v18
	v_mad_nc_u64_u32 v[42:43], s6, v4, s[8:9]
	v_mad_nc_u64_u32 v[48:49], s6, v18, s[10:11]
	v_mul_lo_u32 v3, s6, v5
	v_mul_lo_u32 v18, s7, v4
	v_mad_nc_u64_u32 v[50:51], s6, v4, s[10:11]
	v_lshlrev_b64_e32 v[6:7], 1, v[6:7]
	v_dual_mov_b32 v5, v2 :: v_dual_add_nc_u32 v4, s3, v90
	s_mov_b32 s3, 0
	v_add3_u32 v33, v57, v33, v56
	v_add3_u32 v39, v58, v39, v19
	;; [unrolled: 1-line block ×4, first 2 shown]
	v_add_nc_u64_e32 v[58:59], s[8:9], v[6:7]
	v_add3_u32 v43, v18, v43, v3
	v_add3_u32 v51, v18, v51, v3
	v_lshlrev_b64_e32 v[18:19], 1, v[22:23]
	v_add_nc_u64_e32 v[60:61], s[10:11], v[6:7]
	v_lshlrev_b64_e32 v[6:7], 1, v[12:13]
	v_add_nc_u64_e32 v[12:13], s[6:7], v[22:23]
	v_mov_b32_e32 v22, 0
	v_lshlrev_b64_e32 v[52:53], 1, v[4:5]
	v_lshlrev_b64_e32 v[4:5], 1, v[10:11]
	;; [unrolled: 1-line block ×4, first 2 shown]
	v_add_nc_u64_e32 v[66:67], s[8:9], v[6:7]
	v_add_nc_u64_e32 v[68:69], s[10:11], v[6:7]
	v_lshlrev_b64_e32 v[6:7], 1, v[12:13]
	v_add3_u32 v47, v57, v47, v56
	v_add_nc_u64_e32 v[62:63], s[8:9], v[4:5]
	v_add_nc_u64_e32 v[64:65], s[10:11], v[4:5]
	v_lshlrev_b64_e32 v[4:5], 1, v[14:15]
	v_add_nc_u64_e32 v[54:55], s[8:9], v[18:19]
	v_add_nc_u64_e32 v[56:57], s[10:11], v[18:19]
	;; [unrolled: 1-line block ×10, first 2 shown]
	s_wait_kmcnt 0x0
	s_lshl_b32 s22, s2, 3
	s_mov_b32 s23, s3
	v_mov_b32_e32 v23, v2
	s_mul_u64 s[24:25], s[6:7], s[22:23]
	s_mov_b64 s[10:11], 7
	s_lshl_b64 s[8:9], s[24:25], 1
	s_mov_b64 s[24:25], s[18:19]
	s_branch .LBB99_55
.LBB99_52:                              ;   in Loop: Header=BB99_55 Depth=1
	s_wait_xcnt 0x0
	s_or_b32 exec_lo, exec_lo, s17
.LBB99_53:                              ;   in Loop: Header=BB99_55 Depth=1
	s_delay_alu instid0(SALU_CYCLE_1)
	s_or_b32 exec_lo, exec_lo, s2
	v_add_nc_u64_e32 v[4:5], v[54:55], v[52:53]
	v_add_nc_u64_e32 v[8:9], v[56:57], v[52:53]
	;; [unrolled: 1-line block ×5, first 2 shown]
	s_wait_loadcnt 0x1
	ds_bpermute_b32 v98, v2, v3 offset:12
	s_wait_loadcnt 0x0
	ds_bpermute_b32 v96, v2, v6 offset:8
	global_load_u16 v7, v[4:5], off
	global_load_u16 v16, v[8:9], off
	;; [unrolled: 1-line block ×3, first 2 shown]
	s_wait_xcnt 0x2
	v_add_nc_u64_e32 v[4:5], v[36:37], v[52:53]
	s_wait_xcnt 0x1
	v_add_nc_u64_e32 v[8:9], v[28:29], v[52:53]
	global_load_u16 v18, v[12:13], off
	global_load_u16 v19, v[14:15], off
	s_wait_xcnt 0x2
	v_add_nc_u64_e32 v[10:11], v[40:41], v[52:53]
	s_wait_xcnt 0x1
	v_add_nc_u64_e32 v[12:13], v[30:31], v[52:53]
	;; [unrolled: 2-line block ×3, first 2 shown]
	global_load_u16 v22, v[4:5], off
	global_load_u16 v23, v[8:9], off
	;; [unrolled: 1-line block ×3, first 2 shown]
	s_wait_xcnt 0x2
	v_add_nc_u64_e32 v[4:5], v[32:33], v[52:53]
	global_load_u16 v89, v[12:13], off
	global_load_u16 v91, v[14:15], off
	s_wait_xcnt 0x3
	v_add_nc_u64_e32 v[8:9], v[46:47], v[52:53]
	s_wait_xcnt 0x2
	v_add_nc_u64_e32 v[10:11], v[42:43], v[52:53]
	s_wait_xcnt 0x1
	ds_bpermute_b32 v12, v2, v3 offset:4
	s_wait_xcnt 0x0
	ds_bpermute_b32 v14, v2, v3 offset:8
	global_load_u16 v13, v[4:5], off
	s_wait_xcnt 0x0
	v_add_nc_u64_e32 v[4:5], v[48:49], v[52:53]
	ds_bpermute_b32 v97, v2, v6 offset:12
	global_load_u16 v15, v[8:9], off
	s_wait_xcnt 0x0
	v_add_nc_u64_e32 v[8:9], v[38:39], v[52:53]
	ds_bpermute_b32 v99, v2, v6 offset:16
	ds_bpermute_b32 v100, v2, v3 offset:16
	;; [unrolled: 1-line block ×3, first 2 shown]
	global_load_u16 v92, v[4:5], off
	s_wait_xcnt 0x0
	v_add_nc_u64_e32 v[4:5], v[50:51], v[52:53]
	global_load_u16 v93, v[8:9], off
	global_load_u16 v94, v[4:5], off
	;; [unrolled: 1-line block ×3, first 2 shown]
	s_wait_xcnt 0x2
	ds_bpermute_b32 v9, v2, v3
	s_wait_xcnt 0x1
	ds_bpermute_b32 v5, v2, v6
	s_wait_xcnt 0x0
	ds_bpermute_b32 v11, v2, v6 offset:4
	ds_bpermute_b32 v103, v2, v6 offset:24
	;; [unrolled: 1-line block ×6, first 2 shown]
	s_wait_loadcnt 0xe
	v_dual_lshlrev_b32 v4, 16, v7 :: v_dual_lshlrev_b32 v10, 16, v16
	s_wait_loadcnt 0xc
	v_dual_lshlrev_b32 v6, 16, v17 :: v_dual_lshlrev_b32 v7, 16, v18
	s_wait_loadcnt_dscnt 0xb07
	s_delay_alu instid0(VALU_DEP_2) | instskip(SKIP_3) | instid1(VALU_DEP_3)
	v_dual_sub_f32 v9, v10, v9 :: v_dual_lshlrev_b32 v8, 16, v19
	s_wait_loadcnt 0x9
	v_dual_lshlrev_b32 v16, 16, v22 :: v_dual_lshlrev_b32 v10, 16, v23
	v_sub_f32_e32 v7, v7, v12
	v_mul_f32_e32 v9, v9, v4
	s_wait_loadcnt 0x7
	v_dual_lshlrev_b32 v17, 16, v88 :: v_dual_lshlrev_b32 v12, 16, v89
	s_wait_loadcnt 0x6
	v_dual_lshlrev_b32 v18, 16, v91 :: v_dual_sub_f32 v16, v16, v14
	s_wait_dscnt 0x6
	v_dual_mul_f32 v7, v7, v6 :: v_dual_mul_f32 v5, v9, v5
	s_wait_loadcnt 0x5
	v_dual_sub_f32 v9, v17, v98 :: v_dual_lshlrev_b32 v14, 16, v13
	s_wait_dscnt 0x5
	s_delay_alu instid0(VALU_DEP_2)
	v_dual_mul_f32 v13, v16, v8 :: v_dual_mul_f32 v7, v7, v11
	v_pk_add_f32 v[4:5], v[86:87], v[4:5]
	s_wait_loadcnt 0x4
	v_dual_lshlrev_b32 v11, 16, v15 :: v_dual_sub_f32 v15, v18, v100
	v_mul_f32_e32 v16, v9, v10
	v_mul_f32_e32 v9, v13, v96
	v_pk_add_f32 v[4:5], v[4:5], v[6:7]
	s_wait_loadcnt_dscnt 0x302
	v_dual_lshlrev_b32 v7, 16, v92 :: v_dual_sub_f32 v13, v11, v102
	v_dual_mul_f32 v15, v15, v12 :: v_dual_mul_f32 v11, v16, v97
	s_delay_alu instid0(VALU_DEP_3) | instskip(SKIP_1) | instid1(VALU_DEP_3)
	v_pk_add_f32 v[4:5], v[4:5], v[8:9]
	s_wait_loadcnt_dscnt 0x201
	v_dual_sub_f32 v7, v7, v104 :: v_dual_lshlrev_b32 v6, 16, v93
	s_delay_alu instid0(VALU_DEP_3) | instskip(NEXT) | instid1(VALU_DEP_3)
	v_dual_mul_f32 v9, v13, v14 :: v_dual_mul_f32 v13, v15, v99
	v_pk_add_f32 v[4:5], v[4:5], v[10:11]
	s_wait_loadcnt 0x0
	v_dual_lshlrev_b32 v10, 16, v94 :: v_dual_lshlrev_b32 v8, 16, v95
	s_delay_alu instid0(VALU_DEP_3) | instskip(NEXT) | instid1(VALU_DEP_3)
	v_dual_mul_f32 v7, v7, v6 :: v_dual_mul_f32 v15, v9, v101
	v_pk_add_f32 v[4:5], v[4:5], v[12:13]
	s_wait_dscnt 0x0
	s_delay_alu instid0(VALU_DEP_3) | instskip(NEXT) | instid1(VALU_DEP_3)
	v_sub_f32_e32 v3, v10, v3
	v_mul_f32_e32 v7, v7, v103
	s_delay_alu instid0(VALU_DEP_3) | instskip(NEXT) | instid1(VALU_DEP_3)
	v_pk_add_f32 v[4:5], v[4:5], v[14:15]
	v_mul_f32_e32 v3, v3, v8
	s_delay_alu instid0(VALU_DEP_2) | instskip(NEXT) | instid1(VALU_DEP_2)
	v_pk_add_f32 v[4:5], v[4:5], v[6:7]
	v_mul_f32_e32 v9, v3, v105
	s_delay_alu instid0(VALU_DEP_1)
	v_pk_add_f32 v[22:23], v[4:5], v[8:9]
.LBB99_54:                              ;   in Loop: Header=BB99_55 Depth=1
	s_add_nc_u64 s[24:25], s[24:25], s[22:23]
	v_add_nc_u64_e32 v[54:55], s[8:9], v[54:55]
	v_cmp_ge_i64_e64 s2, s[24:25], s[4:5]
	v_add_nc_u64_e32 v[56:57], s[8:9], v[56:57]
	v_add_nc_u64_e32 v[20:21], s[22:23], v[20:21]
	;; [unrolled: 1-line block ×30, first 2 shown]
	s_and_b32 vcc_lo, exec_lo, s2
	s_add_nc_u64 s[10:11], s[10:11], s[22:23]
	s_cbranch_vccnz .LBB99_81
.LBB99_55:                              ; =>This Inner Loop Header: Depth=1
	s_add_nc_u64 s[26:27], s[18:19], s[10:11]
	v_add_nc_u64_e32 v[88:89], s[18:19], v[20:21]
	v_cmp_ge_i64_e64 s2, s[26:27], s[4:5]
	v_dual_mov_b32 v86, v22 :: v_dual_mov_b32 v87, v23
                                        ; implicit-def: $vgpr23
	s_and_b32 vcc_lo, exec_lo, s2
	s_mov_b32 s2, -1
	s_cbranch_vccz .LBB99_77
; %bb.56:                               ;   in Loop: Header=BB99_55 Depth=1
	s_load_b32 s2, s[20:21], 0xc
	v_dual_mov_b32 v23, 0 :: v_dual_mov_b32 v22, 0
	s_wait_kmcnt 0x0
	s_and_b32 s2, s2, 0xffff
	s_delay_alu instid0(SALU_CYCLE_1) | instskip(SKIP_1) | instid1(VALU_DEP_1)
	v_mad_u32_u24 v3, v1, s2, v90
	s_mov_b32 s2, exec_lo
	v_and_b32_e32 v4, 31, v3
	s_delay_alu instid0(VALU_DEP_1)
	v_cmpx_gt_u32_e32 8, v4
	s_cbranch_execz .LBB99_60
; %bb.57:                               ;   in Loop: Header=BB99_55 Depth=1
	v_dual_mov_b32 v5, v2 :: v_dual_mov_b32 v23, 0
	v_mov_b32_e32 v22, 0
	s_mov_b32 s17, exec_lo
	s_delay_alu instid0(VALU_DEP_2) | instskip(NEXT) | instid1(VALU_DEP_1)
	v_add_nc_u64_e32 v[4:5], v[88:89], v[4:5]
	v_cmpx_gt_i64_e64 s[4:5], v[4:5]
	s_cbranch_execz .LBB99_59
; %bb.58:                               ;   in Loop: Header=BB99_55 Depth=1
	v_lshlrev_b64_e32 v[4:5], 2, v[4:5]
	s_delay_alu instid0(VALU_DEP_1)
	v_add_nc_u64_e32 v[6:7], s[12:13], v[4:5]
	v_add_nc_u64_e32 v[4:5], s[14:15], v[4:5]
	global_load_b32 v23, v[6:7], off
	global_load_b32 v22, v[4:5], off
.LBB99_59:                              ;   in Loop: Header=BB99_55 Depth=1
	s_wait_xcnt 0x0
	s_or_b32 exec_lo, exec_lo, s17
.LBB99_60:                              ;   in Loop: Header=BB99_55 Depth=1
	s_delay_alu instid0(SALU_CYCLE_1) | instskip(SKIP_4) | instid1(VALU_DEP_3)
	s_or_b32 exec_lo, exec_lo, s2
	v_dual_mov_b32 v7, v2 :: v_dual_mov_b32 v8, v2
	v_dual_mov_b32 v9, v2 :: v_dual_mov_b32 v3, v2
	;; [unrolled: 1-line block ×3, first 2 shown]
	v_mov_b32_e32 v6, v2
	v_mov_b64_e32 v[18:19], v[8:9]
	s_delay_alu instid0(VALU_DEP_4)
	v_mov_b64_e32 v[12:13], v[2:3]
	s_mov_b32 s2, exec_lo
	v_mov_b64_e32 v[14:15], v[4:5]
	v_mov_b64_e32 v[16:17], v[6:7]
	;; [unrolled: 1-line block ×6, first 2 shown]
	v_cmpx_gt_i64_e64 s[4:5], v[88:89]
	s_cbranch_execz .LBB99_62
; %bb.61:                               ;   in Loop: Header=BB99_55 Depth=1
	v_add_nc_u64_e32 v[4:5], v[54:55], v[52:53]
	v_add_nc_u64_e32 v[6:7], v[56:57], v[52:53]
	v_dual_mov_b32 v9, v2 :: v_dual_mov_b32 v10, v2
	v_dual_mov_b32 v11, v2 :: v_dual_mov_b32 v13, v2
	;; [unrolled: 1-line block ×3, first 2 shown]
	global_load_u16 v3, v[4:5], off
	global_load_u16 v12, v[6:7], off
	s_wait_xcnt 0x0
	v_dual_mov_b32 v5, v2 :: v_dual_mov_b32 v6, v2
	v_dual_mov_b32 v7, v2 :: v_dual_mov_b32 v8, v2
	;; [unrolled: 1-line block ×4, first 2 shown]
	s_wait_loadcnt 0x0
	v_dual_lshlrev_b32 v4, 16, v3 :: v_dual_lshlrev_b32 v12, 16, v12
.LBB99_62:                              ;   in Loop: Header=BB99_55 Depth=1
	s_or_b32 exec_lo, exec_lo, s2
	v_add_nc_u64_e32 v[92:93], 1, v[88:89]
	s_mov_b32 s2, exec_lo
	s_delay_alu instid0(VALU_DEP_1)
	v_cmpx_gt_i64_e64 s[4:5], v[92:93]
	s_cbranch_execz .LBB99_64
; %bb.63:                               ;   in Loop: Header=BB99_55 Depth=1
	v_add_nc_u64_e32 v[92:93], v[82:83], v[52:53]
	v_add_nc_u64_e32 v[94:95], v[84:85], v[52:53]
	global_load_u16 v3, v[92:93], off
	global_load_u16 v13, v[94:95], off
	s_wait_loadcnt 0x0
	v_dual_lshlrev_b32 v5, 16, v3 :: v_dual_lshlrev_b32 v13, 16, v13
.LBB99_64:                              ;   in Loop: Header=BB99_55 Depth=1
	s_or_b32 exec_lo, exec_lo, s2
	v_add_nc_u64_e32 v[92:93], 2, v[88:89]
	s_mov_b32 s2, exec_lo
	s_delay_alu instid0(VALU_DEP_1)
	v_cmpx_gt_i64_e64 s[4:5], v[92:93]
	s_cbranch_execz .LBB99_66
; %bb.65:                               ;   in Loop: Header=BB99_55 Depth=1
	v_add_nc_u64_e32 v[92:93], v[78:79], v[52:53]
	v_add_nc_u64_e32 v[94:95], v[80:81], v[52:53]
	global_load_u16 v3, v[92:93], off
	global_load_u16 v14, v[94:95], off
	s_wait_loadcnt 0x0
	v_dual_lshlrev_b32 v6, 16, v3 :: v_dual_lshlrev_b32 v14, 16, v14
.LBB99_66:                              ;   in Loop: Header=BB99_55 Depth=1
	s_or_b32 exec_lo, exec_lo, s2
	v_add_nc_u64_e32 v[92:93], 3, v[88:89]
	s_mov_b32 s2, exec_lo
	s_delay_alu instid0(VALU_DEP_1)
	v_cmpx_gt_i64_e64 s[4:5], v[92:93]
	s_cbranch_execz .LBB99_68
; %bb.67:                               ;   in Loop: Header=BB99_55 Depth=1
	v_add_nc_u64_e32 v[92:93], v[74:75], v[52:53]
	v_add_nc_u64_e32 v[94:95], v[76:77], v[52:53]
	global_load_u16 v3, v[92:93], off
	global_load_u16 v15, v[94:95], off
	s_wait_loadcnt 0x1
	v_lshlrev_b32_e32 v7, 16, v3
	s_wait_loadcnt 0x0
	v_lshlrev_b32_e32 v15, 16, v15
.LBB99_68:                              ;   in Loop: Header=BB99_55 Depth=1
	s_or_b32 exec_lo, exec_lo, s2
	v_add_nc_u64_e32 v[92:93], 4, v[88:89]
	s_mov_b32 s2, exec_lo
	s_delay_alu instid0(VALU_DEP_1)
	v_cmpx_gt_i64_e64 s[4:5], v[92:93]
	s_cbranch_execz .LBB99_70
; %bb.69:                               ;   in Loop: Header=BB99_55 Depth=1
	v_add_nc_u64_e32 v[92:93], v[70:71], v[52:53]
	v_add_nc_u64_e32 v[94:95], v[72:73], v[52:53]
	global_load_u16 v3, v[92:93], off
	global_load_u16 v16, v[94:95], off
	s_wait_loadcnt 0x0
	v_dual_lshlrev_b32 v8, 16, v3 :: v_dual_lshlrev_b32 v16, 16, v16
.LBB99_70:                              ;   in Loop: Header=BB99_55 Depth=1
	s_or_b32 exec_lo, exec_lo, s2
	v_add_nc_u64_e32 v[92:93], 5, v[88:89]
	s_mov_b32 s2, exec_lo
	s_delay_alu instid0(VALU_DEP_1)
	v_cmpx_gt_i64_e64 s[4:5], v[92:93]
	s_cbranch_execz .LBB99_72
; %bb.71:                               ;   in Loop: Header=BB99_55 Depth=1
	v_add_nc_u64_e32 v[92:93], v[66:67], v[52:53]
	v_add_nc_u64_e32 v[94:95], v[68:69], v[52:53]
	global_load_u16 v3, v[92:93], off
	global_load_u16 v17, v[94:95], off
	s_wait_loadcnt 0x0
	v_dual_lshlrev_b32 v9, 16, v3 :: v_dual_lshlrev_b32 v17, 16, v17
.LBB99_72:                              ;   in Loop: Header=BB99_55 Depth=1
	;; [unrolled: 14-line block ×3, first 2 shown]
	s_or_b32 exec_lo, exec_lo, s2
	v_add_nc_u64_e32 v[92:93], 7, v[88:89]
	s_mov_b32 s2, exec_lo
	s_delay_alu instid0(VALU_DEP_1)
	v_cmpx_gt_i64_e64 s[4:5], v[92:93]
	s_cbranch_execz .LBB99_76
; %bb.75:                               ;   in Loop: Header=BB99_55 Depth=1
	v_add_nc_u64_e32 v[92:93], v[58:59], v[52:53]
	v_add_nc_u64_e32 v[94:95], v[60:61], v[52:53]
	global_load_u16 v3, v[92:93], off
	global_load_u16 v19, v[94:95], off
	s_wait_loadcnt 0x1
	v_lshlrev_b32_e32 v11, 16, v3
	s_wait_loadcnt 0x0
	v_lshlrev_b32_e32 v19, 16, v19
.LBB99_76:                              ;   in Loop: Header=BB99_55 Depth=1
	s_or_b32 exec_lo, exec_lo, s2
	s_wait_loadcnt 0x1
	ds_bpermute_b32 v3, v2, v23
	ds_bpermute_b32 v91, v2, v23 offset:4
	ds_bpermute_b32 v93, v2, v23 offset:8
	s_wait_loadcnt 0x0
	ds_bpermute_b32 v94, v2, v22
	ds_bpermute_b32 v95, v2, v23 offset:12
	ds_bpermute_b32 v96, v2, v22 offset:4
	;; [unrolled: 1-line block ×10, first 2 shown]
	s_mov_b32 s2, 0
	s_wait_dscnt 0xd
	v_dual_mov_b32 v92, v6 :: v_dual_sub_f32 v3, v12, v3
	s_wait_dscnt 0xc
	v_dual_mov_b32 v12, v4 :: v_dual_sub_f32 v13, v13, v91
	s_wait_dscnt 0x9
	v_sub_f32_e32 v15, v15, v95
	v_dual_mul_f32 v3, v4, v3 :: v_dual_mov_b32 v4, v5
	v_sub_f32_e32 v14, v14, v93
	s_wait_dscnt 0x6
	v_dual_mul_f32 v5, v5, v13 :: v_dual_sub_f32 v16, v16, v100
	s_delay_alu instid0(VALU_DEP_3) | instskip(SKIP_4) | instid1(VALU_DEP_3)
	v_mul_f32_e32 v13, v3, v94
	ds_bpermute_b32 v3, v2, v23 offset:28
	v_dual_mul_f32 v14, v6, v14 :: v_dual_mul_f32 v5, v5, v96
	v_mov_b32_e32 v6, v7
	v_pk_add_f32 v[12:13], v[86:87], v[12:13]
	v_dual_mul_f32 v7, v7, v15 :: v_dual_mul_f32 v93, v14, v97
	ds_bpermute_b32 v14, v2, v22 offset:28
	v_mul_f32_e32 v15, v8, v16
	v_pk_add_f32 v[4:5], v[4:5], v[12:13]
	s_wait_dscnt 0x6
	v_sub_f32_e32 v13, v17, v102
	v_dual_mul_f32 v7, v7, v98 :: v_dual_mov_b32 v12, v8
	s_wait_dscnt 0x4
	v_sub_f32_e32 v8, v18, v104
	v_pk_add_f32 v[4:5], v[92:93], v[4:5]
	v_dual_mul_f32 v16, v9, v13 :: v_dual_mul_f32 v13, v15, v99
	s_delay_alu instid0(VALU_DEP_2) | instskip(SKIP_2) | instid1(VALU_DEP_3)
	v_pk_add_f32 v[4:5], v[6:7], v[4:5]
	s_wait_dscnt 0x1
	v_dual_mov_b32 v6, v9 :: v_dual_sub_f32 v3, v19, v3
	v_dual_mul_f32 v9, v10, v8 :: v_dual_mul_f32 v7, v16, v101
	v_mov_b32_e32 v8, v10
	v_pk_add_f32 v[4:5], v[12:13], v[4:5]
	s_delay_alu instid0(VALU_DEP_4) | instskip(NEXT) | instid1(VALU_DEP_2)
	v_mul_f32_e32 v3, v11, v3
	v_pk_add_f32 v[4:5], v[6:7], v[4:5]
	v_dual_mov_b32 v6, v11 :: v_dual_mul_f32 v9, v9, v103
	s_wait_dscnt 0x0
	s_delay_alu instid0(VALU_DEP_3) | instskip(NEXT) | instid1(VALU_DEP_2)
	v_mul_f32_e32 v7, v3, v14
	v_pk_add_f32 v[4:5], v[8:9], v[4:5]
	s_delay_alu instid0(VALU_DEP_1)
	v_pk_add_f32 v[22:23], v[6:7], v[4:5]
.LBB99_77:                              ;   in Loop: Header=BB99_55 Depth=1
	s_and_b32 vcc_lo, exec_lo, s2
	s_cbranch_vccz .LBB99_54
; %bb.78:                               ;   in Loop: Header=BB99_55 Depth=1
	s_load_b32 s2, s[20:21], 0x0
	v_mov_b32_e32 v6, 0
	s_wait_kmcnt 0x0
	s_cmp_lt_u32 s16, s2
	s_cselect_b32 s2, 12, 18
	s_delay_alu instid0(SALU_CYCLE_1) | instskip(SKIP_4) | instid1(VALU_DEP_1)
	s_add_nc_u64 s[26:27], s[20:21], s[2:3]
	s_load_u16 s2, s[26:27], 0x0
	s_wait_kmcnt 0x0
	v_mad_u32_u24 v3, v1, s2, v90
	s_mov_b32 s2, exec_lo
	v_dual_mov_b32 v3, 0 :: v_dual_bitop2_b32 v4, 31, v3 bitop3:0x40
	s_delay_alu instid0(VALU_DEP_1)
	v_cmpx_gt_u32_e32 8, v4
	s_cbranch_execz .LBB99_53
; %bb.79:                               ;   in Loop: Header=BB99_55 Depth=1
	v_dual_mov_b32 v5, v2 :: v_dual_mov_b32 v3, 0
	v_mov_b32_e32 v6, 0
	s_mov_b32 s17, exec_lo
	s_delay_alu instid0(VALU_DEP_2) | instskip(NEXT) | instid1(VALU_DEP_1)
	v_add_nc_u64_e32 v[4:5], v[88:89], v[4:5]
	v_cmpx_gt_i64_e64 s[4:5], v[4:5]
	s_cbranch_execz .LBB99_52
; %bb.80:                               ;   in Loop: Header=BB99_55 Depth=1
	v_lshlrev_b64_e32 v[4:5], 2, v[4:5]
	s_delay_alu instid0(VALU_DEP_1)
	v_add_nc_u64_e32 v[8:9], s[12:13], v[4:5]
	v_add_nc_u64_e32 v[4:5], s[14:15], v[4:5]
	global_load_b32 v3, v[8:9], off
	global_load_b32 v6, v[4:5], off
	s_branch .LBB99_52
.LBB99_81:
	s_mov_b32 s17, 0
	s_delay_alu instid0(SALU_CYCLE_1) | instskip(NEXT) | instid1(SALU_CYCLE_1)
	s_lshl_b64 s[2:3], s[16:17], 6
	v_and_or_b32 v2, 0x3ff, v0, s2
	v_mov_b32_e32 v3, s3
	s_mov_b32 s2, exec_lo
	s_delay_alu instid0(VALU_DEP_1)
	v_cmpx_gt_i64_e64 s[6:7], v[2:3]
	s_cbranch_execz .LBB99_86
; %bb.82:
	s_load_u16 s2, s[0:1], 0x4e
	v_bfe_u32 v0, v0, 10, 10
	v_mov_b32_e32 v1, 0
	s_wait_kmcnt 0x0
	s_delay_alu instid0(VALU_DEP_1) | instskip(SKIP_1) | instid1(VALU_DEP_1)
	v_mad_nc_u64_u32 v[0:1], s2, s33, v[0:1]
	s_load_b128 s[0:3], s[0:1], 0x30
	v_mul_u64_e32 v[0:1], s[6:7], v[0:1]
	s_wait_kmcnt 0x0
	s_cmp_eq_u64 s[0:1], 0
	s_cbranch_scc1 .LBB99_84
; %bb.83:
	v_bfe_u32 v4, v23, 16, 1
	v_cmp_o_f32_e32 vcc_lo, v23, v23
	s_delay_alu instid0(VALU_DEP_2) | instskip(NEXT) | instid1(VALU_DEP_1)
	v_add3_u32 v4, v23, v4, 0x7fff
	v_lshrrev_b32_e32 v6, 16, v4
	v_lshl_add_u64 v[4:5], v[0:1], 1, s[0:1]
	s_delay_alu instid0(VALU_DEP_2) | instskip(NEXT) | instid1(VALU_DEP_2)
	v_cndmask_b32_e32 v6, 0x7fc0, v6, vcc_lo
	v_lshl_add_u64 v[4:5], v[2:3], 1, v[4:5]
	global_store_b16 v[4:5], v6, off
.LBB99_84:
	s_cmp_eq_u64 s[2:3], 0
	s_cbranch_scc1 .LBB99_86
; %bb.85:
	s_wait_xcnt 0x0
	v_bfe_u32 v4, v22, 16, 1
	s_delay_alu instid0(VALU_DEP_2) | instskip(SKIP_1) | instid1(VALU_DEP_3)
	v_lshl_add_u64 v[0:1], v[0:1], 1, s[2:3]
	v_cmp_o_f32_e32 vcc_lo, v22, v22
	v_add3_u32 v4, v22, v4, 0x7fff
	s_delay_alu instid0(VALU_DEP_3) | instskip(NEXT) | instid1(VALU_DEP_2)
	v_lshl_add_u64 v[0:1], v[2:3], 1, v[0:1]
	v_lshrrev_b32_e32 v4, 16, v4
	s_delay_alu instid0(VALU_DEP_1)
	v_cndmask_b32_e32 v4, 0x7fc0, v4, vcc_lo
	global_store_b16 v[0:1], v4, off
.LBB99_86:
	s_sendmsg sendmsg(MSG_DEALLOC_VGPRS)
	s_endpgm
	.section	.rodata,"a",@progbits
	.p2align	6, 0x0
	.amdhsa_kernel _ZN2at6native12_GLOBAL__N_135GammaBetaBackwardCUDAKernelTemplateIN3c108BFloat16EfLj64ELj1ELj8ELb1ELb0ELb0EEEvllPKT_S7_PKT0_SA_PS5_SB_
		.amdhsa_group_segment_fixed_size 0
		.amdhsa_private_segment_fixed_size 0
		.amdhsa_kernarg_size 320
		.amdhsa_user_sgpr_count 2
		.amdhsa_user_sgpr_dispatch_ptr 0
		.amdhsa_user_sgpr_queue_ptr 0
		.amdhsa_user_sgpr_kernarg_segment_ptr 1
		.amdhsa_user_sgpr_dispatch_id 0
		.amdhsa_user_sgpr_kernarg_preload_length 0
		.amdhsa_user_sgpr_kernarg_preload_offset 0
		.amdhsa_user_sgpr_private_segment_size 0
		.amdhsa_wavefront_size32 1
		.amdhsa_uses_dynamic_stack 0
		.amdhsa_enable_private_segment 0
		.amdhsa_system_sgpr_workgroup_id_x 1
		.amdhsa_system_sgpr_workgroup_id_y 1
		.amdhsa_system_sgpr_workgroup_id_z 0
		.amdhsa_system_sgpr_workgroup_info 0
		.amdhsa_system_vgpr_workitem_id 1
		.amdhsa_next_free_vgpr 106
		.amdhsa_next_free_sgpr 36
		.amdhsa_named_barrier_count 0
		.amdhsa_reserve_vcc 1
		.amdhsa_float_round_mode_32 0
		.amdhsa_float_round_mode_16_64 0
		.amdhsa_float_denorm_mode_32 3
		.amdhsa_float_denorm_mode_16_64 3
		.amdhsa_fp16_overflow 0
		.amdhsa_memory_ordered 1
		.amdhsa_forward_progress 1
		.amdhsa_inst_pref_size 52
		.amdhsa_round_robin_scheduling 0
		.amdhsa_exception_fp_ieee_invalid_op 0
		.amdhsa_exception_fp_denorm_src 0
		.amdhsa_exception_fp_ieee_div_zero 0
		.amdhsa_exception_fp_ieee_overflow 0
		.amdhsa_exception_fp_ieee_underflow 0
		.amdhsa_exception_fp_ieee_inexact 0
		.amdhsa_exception_int_div_zero 0
	.end_amdhsa_kernel
	.section	.text._ZN2at6native12_GLOBAL__N_135GammaBetaBackwardCUDAKernelTemplateIN3c108BFloat16EfLj64ELj1ELj8ELb1ELb0ELb0EEEvllPKT_S7_PKT0_SA_PS5_SB_,"axG",@progbits,_ZN2at6native12_GLOBAL__N_135GammaBetaBackwardCUDAKernelTemplateIN3c108BFloat16EfLj64ELj1ELj8ELb1ELb0ELb0EEEvllPKT_S7_PKT0_SA_PS5_SB_,comdat
.Lfunc_end99:
	.size	_ZN2at6native12_GLOBAL__N_135GammaBetaBackwardCUDAKernelTemplateIN3c108BFloat16EfLj64ELj1ELj8ELb1ELb0ELb0EEEvllPKT_S7_PKT0_SA_PS5_SB_, .Lfunc_end99-_ZN2at6native12_GLOBAL__N_135GammaBetaBackwardCUDAKernelTemplateIN3c108BFloat16EfLj64ELj1ELj8ELb1ELb0ELb0EEEvllPKT_S7_PKT0_SA_PS5_SB_
                                        ; -- End function
	.set _ZN2at6native12_GLOBAL__N_135GammaBetaBackwardCUDAKernelTemplateIN3c108BFloat16EfLj64ELj1ELj8ELb1ELb0ELb0EEEvllPKT_S7_PKT0_SA_PS5_SB_.num_vgpr, 106
	.set _ZN2at6native12_GLOBAL__N_135GammaBetaBackwardCUDAKernelTemplateIN3c108BFloat16EfLj64ELj1ELj8ELb1ELb0ELb0EEEvllPKT_S7_PKT0_SA_PS5_SB_.num_agpr, 0
	.set _ZN2at6native12_GLOBAL__N_135GammaBetaBackwardCUDAKernelTemplateIN3c108BFloat16EfLj64ELj1ELj8ELb1ELb0ELb0EEEvllPKT_S7_PKT0_SA_PS5_SB_.numbered_sgpr, 36
	.set _ZN2at6native12_GLOBAL__N_135GammaBetaBackwardCUDAKernelTemplateIN3c108BFloat16EfLj64ELj1ELj8ELb1ELb0ELb0EEEvllPKT_S7_PKT0_SA_PS5_SB_.num_named_barrier, 0
	.set _ZN2at6native12_GLOBAL__N_135GammaBetaBackwardCUDAKernelTemplateIN3c108BFloat16EfLj64ELj1ELj8ELb1ELb0ELb0EEEvllPKT_S7_PKT0_SA_PS5_SB_.private_seg_size, 0
	.set _ZN2at6native12_GLOBAL__N_135GammaBetaBackwardCUDAKernelTemplateIN3c108BFloat16EfLj64ELj1ELj8ELb1ELb0ELb0EEEvllPKT_S7_PKT0_SA_PS5_SB_.uses_vcc, 1
	.set _ZN2at6native12_GLOBAL__N_135GammaBetaBackwardCUDAKernelTemplateIN3c108BFloat16EfLj64ELj1ELj8ELb1ELb0ELb0EEEvllPKT_S7_PKT0_SA_PS5_SB_.uses_flat_scratch, 0
	.set _ZN2at6native12_GLOBAL__N_135GammaBetaBackwardCUDAKernelTemplateIN3c108BFloat16EfLj64ELj1ELj8ELb1ELb0ELb0EEEvllPKT_S7_PKT0_SA_PS5_SB_.has_dyn_sized_stack, 0
	.set _ZN2at6native12_GLOBAL__N_135GammaBetaBackwardCUDAKernelTemplateIN3c108BFloat16EfLj64ELj1ELj8ELb1ELb0ELb0EEEvllPKT_S7_PKT0_SA_PS5_SB_.has_recursion, 0
	.set _ZN2at6native12_GLOBAL__N_135GammaBetaBackwardCUDAKernelTemplateIN3c108BFloat16EfLj64ELj1ELj8ELb1ELb0ELb0EEEvllPKT_S7_PKT0_SA_PS5_SB_.has_indirect_call, 0
	.section	.AMDGPU.csdata,"",@progbits
; Kernel info:
; codeLenInByte = 6536
; TotalNumSgprs: 38
; NumVgprs: 106
; ScratchSize: 0
; MemoryBound: 0
; FloatMode: 240
; IeeeMode: 1
; LDSByteSize: 0 bytes/workgroup (compile time only)
; SGPRBlocks: 0
; VGPRBlocks: 6
; NumSGPRsForWavesPerEU: 38
; NumVGPRsForWavesPerEU: 106
; NamedBarCnt: 0
; Occupancy: 9
; WaveLimiterHint : 0
; COMPUTE_PGM_RSRC2:SCRATCH_EN: 0
; COMPUTE_PGM_RSRC2:USER_SGPR: 2
; COMPUTE_PGM_RSRC2:TRAP_HANDLER: 0
; COMPUTE_PGM_RSRC2:TGID_X_EN: 1
; COMPUTE_PGM_RSRC2:TGID_Y_EN: 1
; COMPUTE_PGM_RSRC2:TGID_Z_EN: 0
; COMPUTE_PGM_RSRC2:TIDIG_COMP_CNT: 1
	.section	.text._ZN2at6native12_GLOBAL__N_135GammaBetaBackwardCUDAKernelTemplateIN3c108BFloat16EfLj64ELj8ELj64ELb0ELb1ELb0EEEvllPKT_S7_PKT0_SA_PS5_SB_,"axG",@progbits,_ZN2at6native12_GLOBAL__N_135GammaBetaBackwardCUDAKernelTemplateIN3c108BFloat16EfLj64ELj8ELj64ELb0ELb1ELb0EEEvllPKT_S7_PKT0_SA_PS5_SB_,comdat
	.globl	_ZN2at6native12_GLOBAL__N_135GammaBetaBackwardCUDAKernelTemplateIN3c108BFloat16EfLj64ELj8ELj64ELb0ELb1ELb0EEEvllPKT_S7_PKT0_SA_PS5_SB_ ; -- Begin function _ZN2at6native12_GLOBAL__N_135GammaBetaBackwardCUDAKernelTemplateIN3c108BFloat16EfLj64ELj8ELj64ELb0ELb1ELb0EEEvllPKT_S7_PKT0_SA_PS5_SB_
	.p2align	8
	.type	_ZN2at6native12_GLOBAL__N_135GammaBetaBackwardCUDAKernelTemplateIN3c108BFloat16EfLj64ELj8ELj64ELb0ELb1ELb0EEEvllPKT_S7_PKT0_SA_PS5_SB_,@function
_ZN2at6native12_GLOBAL__N_135GammaBetaBackwardCUDAKernelTemplateIN3c108BFloat16EfLj64ELj8ELj64ELb0ELb1ELb0EEEvllPKT_S7_PKT0_SA_PS5_SB_: ; @_ZN2at6native12_GLOBAL__N_135GammaBetaBackwardCUDAKernelTemplateIN3c108BFloat16EfLj64ELj8ELj64ELb0ELb1ELb0EEEvllPKT_S7_PKT0_SA_PS5_SB_
; %bb.0:
	s_load_b128 s[12:15], s[0:1], 0x0
	s_bfe_u32 s2, ttmp6, 0x40010
	s_bfe_u32 s4, ttmp6, 0x40004
	s_add_co_i32 s2, s2, 1
	s_getreg_b32 s3, hwreg(HW_REG_IB_STS2, 6, 4)
	s_mul_i32 s2, ttmp7, s2
	s_mov_b32 s17, 0
	s_add_co_i32 s4, s4, s2
	s_cmp_eq_u32 s3, 0
	v_bfe_u32 v11, v0, 10, 10
	s_cselect_b32 s2, ttmp7, s4
	s_delay_alu instid0(SALU_CYCLE_1)
	s_lshl_b32 s16, s2, 6
	s_wait_kmcnt 0x0
	v_cmp_gt_i64_e64 s2, s[12:13], s[16:17]
	s_and_b32 vcc_lo, exec_lo, s2
	s_cbranch_vccnz .LBB100_2
; %bb.1:
	v_bfe_u32 v1, v0, 10, 10
	s_mov_b32 s2, s17
	s_branch .LBB100_3
.LBB100_2:
	s_mov_b32 s2, -1
                                        ; implicit-def: $vgpr1
.LBB100_3:
	v_mov_b32_e32 v9, 0
	v_and_b32_e32 v10, 0x3ff, v0
	s_and_not1_b32 vcc_lo, exec_lo, s2
	s_delay_alu instid0(VALU_DEP_2)
	v_mov_b32_e32 v8, v9
	s_cbranch_vccnz .LBB100_11
; %bb.4:
	v_dual_mov_b32 v1, 0 :: v_dual_lshlrev_b32 v0, 3, v11
	s_load_b32 s2, s[0:1], 0x4c
	s_bfe_u32 s21, ttmp6, 0x4000c
	s_clause 0x1
	s_load_b32 s18, s[0:1], 0x44
	s_load_b256 s[4:11], s[0:1], 0x10
	s_add_co_i32 s21, s21, 1
	v_add_nc_u64_e32 v[2:3], s[16:17], v[0:1]
	s_and_b32 s20, ttmp6, 15
	s_mul_i32 s21, ttmp9, s21
	v_dual_mov_b32 v13, 12 :: v_dual_mov_b32 v5, v1
	s_add_co_i32 s20, s20, s21
	s_mov_b32 s19, 0
	s_delay_alu instid0(VALU_DEP_2)
	v_mul_u64_e32 v[6:7], s[14:15], v[2:3]
	v_dual_mov_b32 v0, 8 :: v_dual_mov_b32 v12, 4
	v_dual_mov_b32 v14, 16 :: v_dual_mov_b32 v15, 20
	;; [unrolled: 1-line block ×3, first 2 shown]
	s_wait_kmcnt 0x0
	s_and_b32 s2, s2, 0xffff
	s_cmp_eq_u32 s3, 0
	v_mad_u32_u24 v4, v11, s2, v10
	v_mov_b32_e32 v9, v1
	s_cselect_b32 s2, ttmp9, s20
	s_lshl_b32 s18, s18, 6
	v_lshl_add_u32 v8, s2, 6, v10
	v_and_b32_e32 v4, 31, v4
	s_mul_u64 s[22:23], s[14:15], s[18:19]
	s_lshl_b64 s[20:21], s[18:19], 2
	s_lshl_b64 s[22:23], s[22:23], 1
	v_lshlrev_b64_e32 v[18:19], 1, v[8:9]
	v_add_nc_u64_e32 v[2:3], v[2:3], v[4:5]
	v_cmp_gt_u32_e64 s2, 8, v4
	v_mov_b32_e32 v8, 0
	s_lshl_b64 s[14:15], s[14:15], 1
	v_lshlrev_b64_e32 v[4:5], 2, v[2:3]
	v_lshl_add_u64 v[6:7], v[6:7], 1, v[18:19]
	s_branch .LBB100_7
.LBB100_5:                              ;   in Loop: Header=BB100_7 Depth=1
	s_wait_xcnt 0x0
	s_or_b32 exec_lo, exec_lo, s25
.LBB100_6:                              ;   in Loop: Header=BB100_7 Depth=1
	s_delay_alu instid0(SALU_CYCLE_1)
	s_or_b32 exec_lo, exec_lo, s24
	v_add_nc_u64_e32 v[20:21], s[6:7], v[6:7]
	v_add_nc_u64_e32 v[22:23], s[4:5], v[6:7]
	s_wait_loadcnt 0x1
	ds_bpermute_b32 v43, v0, v19
	ds_bpermute_b32 v45, v13, v19
	s_wait_loadcnt 0x0
	ds_bpermute_b32 v42, v0, v18
	ds_bpermute_b32 v46, v14, v19
	;; [unrolled: 1-line block ×3, first 2 shown]
	v_add_nc_u64_e32 v[24:25], s[14:15], v[20:21]
	v_add_nc_u64_e32 v[26:27], s[14:15], v[22:23]
	global_load_u16 v28, v[20:21], off
	global_load_u16 v29, v[22:23], off
	ds_bpermute_b32 v47, v15, v18
	ds_bpermute_b32 v48, v16, v18
	s_add_nc_u64 s[16:17], s[16:17], s[18:19]
	s_wait_xcnt 0x1
	v_add_nc_u64_e32 v[20:21], s[14:15], v[24:25]
	s_wait_xcnt 0x0
	v_add_nc_u64_e32 v[22:23], s[14:15], v[26:27]
	global_load_u16 v30, v[24:25], off
	global_load_u16 v31, v[26:27], off
	v_cmp_lt_i64_e64 s24, s[16:17], s[12:13]
	v_add_nc_u64_e32 v[4:5], s[20:21], v[4:5]
	v_add_nc_u64_e32 v[2:3], s[18:19], v[2:3]
	;; [unrolled: 1-line block ×3, first 2 shown]
	s_wait_xcnt 0x1
	v_add_nc_u64_e32 v[24:25], s[14:15], v[20:21]
	s_wait_xcnt 0x0
	v_add_nc_u64_e32 v[26:27], s[14:15], v[22:23]
	global_load_u16 v32, v[20:21], off
	global_load_u16 v33, v[22:23], off
	s_and_b32 vcc_lo, exec_lo, s24
	global_load_u16 v34, v[24:25], off
	global_load_u16 v35, v[26:27], off
	s_wait_xcnt 0x3
	v_add_nc_u64_e32 v[20:21], s[14:15], v[24:25]
	s_wait_xcnt 0x2
	v_add_nc_u64_e32 v[22:23], s[14:15], v[26:27]
	s_wait_xcnt 0x1
	s_delay_alu instid0(VALU_DEP_2)
	v_add_nc_u64_e32 v[24:25], s[14:15], v[20:21]
	global_load_u16 v26, v[20:21], off
	s_wait_xcnt 0x0
	v_add_nc_u64_e32 v[20:21], s[14:15], v[22:23]
	global_load_u16 v27, v[22:23], off
	global_load_u16 v36, v[24:25], off
	;; [unrolled: 1-line block ×3, first 2 shown]
	s_wait_xcnt 0x2
	v_add_nc_u64_e32 v[22:23], s[14:15], v[24:25]
	global_load_u16 v38, v[22:23], off
	s_wait_xcnt 0x2
	v_add_nc_u64_e32 v[24:25], s[14:15], v[20:21]
	s_wait_xcnt 0x1
	v_add_nc_u64_e32 v[20:21], s[14:15], v[22:23]
	s_wait_xcnt 0x0
	s_delay_alu instid0(VALU_DEP_2)
	v_add_nc_u64_e32 v[22:23], s[14:15], v[24:25]
	global_load_u16 v39, v[24:25], off
	global_load_u16 v40, v[20:21], off
	;; [unrolled: 1-line block ×3, first 2 shown]
	s_wait_xcnt 0x1
	ds_bpermute_b32 v21, v1, v19
	s_wait_xcnt 0x0
	ds_bpermute_b32 v23, v12, v19
	ds_bpermute_b32 v24, v1, v18
	;; [unrolled: 1-line block ×3, first 2 shown]
	s_wait_loadcnt 0xe
	v_dual_lshlrev_b32 v22, 16, v28 :: v_dual_lshlrev_b32 v20, 16, v29
	ds_bpermute_b32 v28, v14, v18
	s_wait_loadcnt_dscnt 0xd04
	v_dual_sub_f32 v21, v22, v21 :: v_dual_lshlrev_b32 v29, 16, v30
	ds_bpermute_b32 v30, v15, v19
	s_wait_loadcnt 0xc
	v_dual_mul_f32 v21, v21, v20 :: v_dual_lshlrev_b32 v22, 16, v31
	s_wait_dscnt 0x4
	v_sub_f32_e32 v23, v29, v23
	ds_bpermute_b32 v29, v16, v19
	s_wait_loadcnt 0xb
	v_lshlrev_b32_e32 v31, 16, v32
	ds_bpermute_b32 v32, v17, v19
	s_wait_dscnt 0x5
	v_dual_mul_f32 v21, v21, v24 :: v_dual_mul_f32 v19, v23, v22
	s_wait_loadcnt 0xa
	v_dual_sub_f32 v31, v31, v43 :: v_dual_lshlrev_b32 v24, 16, v33
	s_wait_loadcnt 0x9
	v_lshlrev_b32_e32 v33, 16, v34
	v_pk_add_f32 v[8:9], v[8:9], v[20:21]
	s_wait_loadcnt_dscnt 0x804
	v_dual_mul_f32 v23, v19, v25 :: v_dual_lshlrev_b32 v20, 16, v35
	s_delay_alu instid0(VALU_DEP_3) | instskip(NEXT) | instid1(VALU_DEP_2)
	v_dual_mul_f32 v19, v31, v24 :: v_dual_sub_f32 v21, v33, v45
	v_pk_add_f32 v[8:9], v[8:9], v[22:23]
	s_wait_loadcnt 0x7
	v_lshlrev_b32_e32 v26, 16, v26
	s_wait_loadcnt 0x6
	v_dual_mul_f32 v25, v19, v42 :: v_dual_lshlrev_b32 v22, 16, v27
	s_delay_alu instid0(VALU_DEP_2)
	v_dual_mul_f32 v19, v21, v20 :: v_dual_sub_f32 v23, v26, v46
	s_wait_loadcnt 0x5
	v_lshlrev_b32_e32 v27, 16, v36
	ds_bpermute_b32 v26, v17, v18
	v_pk_add_f32 v[8:9], v[8:9], v[24:25]
	s_wait_loadcnt 0x4
	v_dual_mul_f32 v21, v19, v44 :: v_dual_lshlrev_b32 v18, 16, v37
	v_mul_f32_e32 v19, v23, v22
	s_wait_dscnt 0x3
	v_sub_f32_e32 v24, v27, v30
	s_delay_alu instid0(VALU_DEP_3) | instskip(SKIP_3) | instid1(VALU_DEP_1)
	v_pk_add_f32 v[8:9], v[8:9], v[20:21]
	s_wait_loadcnt 0x3
	v_dual_lshlrev_b32 v25, 16, v38 :: v_dual_mul_f32 v23, v19, v28
	s_wait_dscnt 0x2
	v_sub_f32_e32 v21, v25, v29
	s_delay_alu instid0(VALU_DEP_2) | instskip(SKIP_4) | instid1(VALU_DEP_2)
	v_pk_add_f32 v[8:9], v[8:9], v[22:23]
	s_wait_loadcnt 0x2
	v_dual_mul_f32 v19, v24, v18 :: v_dual_lshlrev_b32 v20, 16, v39
	s_wait_loadcnt 0x0
	v_dual_lshlrev_b32 v24, 16, v40 :: v_dual_lshlrev_b32 v22, 16, v41
	v_dual_mul_f32 v21, v21, v20 :: v_dual_mul_f32 v19, v19, v47
	s_wait_dscnt 0x1
	s_delay_alu instid0(VALU_DEP_2) | instskip(NEXT) | instid1(VALU_DEP_2)
	v_sub_f32_e32 v23, v24, v32
	v_mul_f32_e32 v21, v21, v48
	s_delay_alu instid0(VALU_DEP_3) | instskip(NEXT) | instid1(VALU_DEP_3)
	v_pk_add_f32 v[8:9], v[8:9], v[18:19]
	v_mul_f32_e32 v18, v23, v22
	s_delay_alu instid0(VALU_DEP_2) | instskip(SKIP_1) | instid1(VALU_DEP_2)
	v_pk_add_f32 v[8:9], v[8:9], v[20:21]
	s_wait_dscnt 0x0
	v_mul_f32_e32 v23, v18, v26
	s_delay_alu instid0(VALU_DEP_1)
	v_pk_add_f32 v[8:9], v[8:9], v[22:23]
	s_cbranch_vccz .LBB100_10
.LBB100_7:                              ; =>This Inner Loop Header: Depth=1
	v_dual_mov_b32 v18, 0 :: v_dual_mov_b32 v19, 0
	s_and_saveexec_b32 s24, s2
	s_cbranch_execz .LBB100_6
; %bb.8:                                ;   in Loop: Header=BB100_7 Depth=1
	v_dual_mov_b32 v19, 0 :: v_dual_mov_b32 v18, 0
	s_mov_b32 s25, exec_lo
	v_cmpx_gt_i64_e64 s[12:13], v[2:3]
	s_cbranch_execz .LBB100_5
; %bb.9:                                ;   in Loop: Header=BB100_7 Depth=1
	v_add_nc_u64_e32 v[20:21], s[8:9], v[4:5]
	v_add_nc_u64_e32 v[22:23], s[10:11], v[4:5]
	global_load_b32 v19, v[20:21], off
	global_load_b32 v18, v[22:23], off
	s_branch .LBB100_5
.LBB100_10:
	v_mov_b32_e32 v1, v11
.LBB100_11:
	s_load_b128 s[4:7], s[0:1], 0x30
	s_delay_alu instid0(VALU_DEP_1) | instskip(SKIP_2) | instid1(VALU_DEP_1)
	v_mad_u32_u24 v0, 0x41, v1, v10
	s_wait_xcnt 0x0
	s_mov_b32 s0, exec_lo
	v_lshl_add_u32 v2, v0, 2, 0
	v_sub_nc_u32_e32 v6, v0, v1
	ds_store_b32 v2, v9
	ds_store_b32 v2, v8 offset:2080
	s_wait_dscnt 0x0
	s_barrier_signal -1
	s_barrier_wait -1
	v_cmpx_gt_u32_e32 0x800, v6
	s_cbranch_execz .LBB100_43
; %bb.12:
	v_and_b32_e32 v1, 31, v10
	v_lshrrev_b32_e32 v0, 5, v6
                                        ; implicit-def: $vgpr2
	s_delay_alu instid0(VALU_DEP_2)
	v_cmp_lt_u32_e64 s2, 7, v1
	v_cmp_gt_u32_e64 s0, 8, v1
	v_mul_u32_u24_e32 v7, 0x41, v1
	s_and_saveexec_b32 s1, s0
	s_cbranch_execz .LBB100_14
; %bb.13:
	s_delay_alu instid0(VALU_DEP_1) | instskip(NEXT) | instid1(VALU_DEP_1)
	v_add_nc_u32_e32 v1, v0, v7
	v_lshl_add_u32 v1, v1, 2, 0
	ds_load_b32 v3, v1
	ds_load_b32 v2, v1 offset:2080
.LBB100_14:
	s_or_b32 exec_lo, exec_lo, s1
	v_mbcnt_lo_u32_b32 v1, -1, 0
	s_bfe_u32 s1, ttmp6, 0x4000c
	s_and_b32 s8, ttmp6, 15
	s_add_co_i32 s1, s1, 1
	s_mov_b32 s9, 0
	v_xor_b32_e32 v11, 1, v1
	v_xor_b32_e32 v4, 4, v1
	s_mul_i32 s1, ttmp9, s1
	v_xor_b32_e32 v9, 2, v1
	s_add_co_i32 s8, s8, s1
	s_cmp_eq_u32 s3, 0
	v_cmp_gt_i32_e32 vcc_lo, 32, v4
	s_cselect_b32 s8, ttmp9, s8
	v_cmp_eq_u32_e64 s1, 0, v10
	s_lshl_b64 s[8:9], s[8:9], 6
	s_wait_kmcnt 0x0
	s_cmp_lg_u64 s[4:5], 0
	v_cndmask_b32_e32 v4, v1, v4, vcc_lo
	s_cselect_b32 s10, -1, 0
	s_cmp_lg_u64 s[6:7], 0
	v_cmp_gt_i32_e32 vcc_lo, 32, v9
	s_cselect_b32 s3, -1, 0
	v_dual_cndmask_b32 v9, v1, v9 :: v_dual_lshlrev_b32 v8, 2, v4
	v_cmp_gt_i32_e32 vcc_lo, 32, v11
	s_wait_dscnt 0x1
	ds_bpermute_b32 v5, v8, v3
	s_wait_dscnt 0x1
	ds_bpermute_b32 v4, v8, v2
	v_dual_lshlrev_b32 v9, 2, v9 :: v_dual_cndmask_b32 v1, v1, v11, vcc_lo
	s_delay_alu instid0(VALU_DEP_1)
	v_dual_lshlrev_b32 v11, 2, v1 :: v_dual_mov_b32 v1, 0
	s_wait_dscnt 0x0
	v_pk_add_f32 v[2:3], v[2:3], v[4:5]
	ds_bpermute_b32 v5, v9, v3
	ds_bpermute_b32 v4, v9, v2
	s_wait_dscnt 0x0
	v_pk_add_f32 v[2:3], v[2:3], v[4:5]
	ds_bpermute_b32 v5, v11, v3
	ds_bpermute_b32 v4, v11, v2
	s_wait_dscnt 0x0
	v_pk_add_f32 v[2:3], v[2:3], v[4:5]
	s_and_saveexec_b32 s11, s1
	s_cbranch_execz .LBB100_19
; %bb.15:
	v_dual_mov_b32 v5, s9 :: v_dual_bitop2_b32 v4, s8, v0 bitop3:0x54
	s_and_not1_b32 vcc_lo, exec_lo, s10
	s_cbranch_vccnz .LBB100_17
; %bb.16:
	v_bfe_u32 v10, v3, 16, 1
	v_cmp_o_f32_e32 vcc_lo, v3, v3
	v_lshl_add_u64 v[12:13], v[4:5], 1, s[4:5]
	s_delay_alu instid0(VALU_DEP_3) | instskip(NEXT) | instid1(VALU_DEP_1)
	v_add3_u32 v10, v3, v10, 0x7fff
	v_lshrrev_b32_e32 v10, 16, v10
	s_delay_alu instid0(VALU_DEP_1)
	v_cndmask_b32_e32 v10, 0x7fc0, v10, vcc_lo
	global_store_b16 v[12:13], v10, off
.LBB100_17:
	s_and_not1_b32 vcc_lo, exec_lo, s3
	s_cbranch_vccnz .LBB100_19
; %bb.18:
	s_wait_xcnt 0x0
	v_bfe_u32 v10, v2, 16, 1
	v_cmp_o_f32_e32 vcc_lo, v2, v2
	v_lshl_add_u64 v[4:5], v[4:5], 1, s[6:7]
	s_delay_alu instid0(VALU_DEP_3) | instskip(NEXT) | instid1(VALU_DEP_1)
	v_add3_u32 v10, v2, v10, 0x7fff
	v_lshrrev_b32_e32 v10, 16, v10
	s_delay_alu instid0(VALU_DEP_1)
	v_cndmask_b32_e32 v10, 0x7fc0, v10, vcc_lo
	global_store_b16 v[4:5], v10, off
.LBB100_19:
	s_wait_xcnt 0x0
	s_or_b32 exec_lo, exec_lo, s11
	v_cmp_gt_u32_e32 vcc_lo, 0x600, v6
	s_and_b32 exec_lo, exec_lo, vcc_lo
	s_cbranch_execz .LBB100_43
; %bb.20:
	s_and_saveexec_b32 s11, s2
	s_delay_alu instid0(SALU_CYCLE_1) | instskip(NEXT) | instid1(SALU_CYCLE_1)
	s_xor_b32 s11, exec_lo, s11
	s_and_not1_saveexec_b32 s11, s11
	s_cbranch_execz .LBB100_22
; %bb.21:
	v_add_nc_u32_e32 v2, v0, v7
	s_delay_alu instid0(VALU_DEP_1)
	v_lshl_add_u32 v2, v2, 2, 0
	ds_load_b32 v3, v2 offset:64
	ds_load_b32 v2, v2 offset:2144
.LBB100_22:
	s_or_b32 exec_lo, exec_lo, s11
	s_wait_dscnt 0x1
	ds_bpermute_b32 v5, v8, v3
	s_wait_dscnt 0x1
	ds_bpermute_b32 v4, v8, v2
	s_wait_dscnt 0x0
	v_pk_add_f32 v[2:3], v[2:3], v[4:5]
	ds_bpermute_b32 v5, v9, v3
	ds_bpermute_b32 v4, v9, v2
	s_wait_dscnt 0x0
	v_pk_add_f32 v[2:3], v[2:3], v[4:5]
	ds_bpermute_b32 v5, v11, v3
	ds_bpermute_b32 v4, v11, v2
	s_wait_dscnt 0x0
	v_pk_add_f32 v[2:3], v[2:3], v[4:5]
	s_and_saveexec_b32 s11, s1
	s_cbranch_execz .LBB100_27
; %bb.23:
	s_and_not1_b32 vcc_lo, exec_lo, s10
	s_cbranch_vccnz .LBB100_25
; %bb.24:
	v_bfe_u32 v4, v3, 16, 1
	v_cmp_o_f32_e32 vcc_lo, v3, v3
	s_delay_alu instid0(VALU_DEP_2) | instskip(SKIP_1) | instid1(VALU_DEP_2)
	v_add3_u32 v10, v3, v4, 0x7fff
	v_add_nc_u64_e32 v[4:5], s[8:9], v[0:1]
	v_lshrrev_b32_e32 v10, 16, v10
	s_delay_alu instid0(VALU_DEP_2) | instskip(NEXT) | instid1(VALU_DEP_2)
	v_lshl_add_u64 v[4:5], v[4:5], 1, s[4:5]
	v_cndmask_b32_e32 v10, 0x7fc0, v10, vcc_lo
	global_store_b16 v[4:5], v10, off offset:32
.LBB100_25:
	s_and_not1_b32 vcc_lo, exec_lo, s3
	s_cbranch_vccnz .LBB100_27
; %bb.26:
	s_wait_xcnt 0x0
	v_bfe_u32 v4, v2, 16, 1
	v_cmp_o_f32_e32 vcc_lo, v2, v2
	s_delay_alu instid0(VALU_DEP_2) | instskip(SKIP_1) | instid1(VALU_DEP_2)
	v_add3_u32 v10, v2, v4, 0x7fff
	v_add_nc_u64_e32 v[4:5], s[8:9], v[0:1]
	v_lshrrev_b32_e32 v10, 16, v10
	s_delay_alu instid0(VALU_DEP_2) | instskip(NEXT) | instid1(VALU_DEP_2)
	v_lshl_add_u64 v[4:5], v[4:5], 1, s[6:7]
	v_cndmask_b32_e32 v10, 0x7fc0, v10, vcc_lo
	global_store_b16 v[4:5], v10, off offset:32
.LBB100_27:
	s_wait_xcnt 0x0
	s_or_b32 exec_lo, exec_lo, s11
	v_cmp_gt_u32_e32 vcc_lo, 0x400, v6
	s_and_b32 exec_lo, exec_lo, vcc_lo
	s_cbranch_execz .LBB100_43
; %bb.28:
	s_and_saveexec_b32 s11, s2
	s_delay_alu instid0(SALU_CYCLE_1) | instskip(NEXT) | instid1(SALU_CYCLE_1)
	s_xor_b32 s2, exec_lo, s11
	s_and_not1_saveexec_b32 s2, s2
	s_cbranch_execz .LBB100_30
; %bb.29:
	v_add_nc_u32_e32 v2, v0, v7
	s_delay_alu instid0(VALU_DEP_1)
	v_lshl_add_u32 v2, v2, 2, 0
	ds_load_b32 v3, v2 offset:128
	ds_load_b32 v2, v2 offset:2208
.LBB100_30:
	s_or_b32 exec_lo, exec_lo, s2
	s_wait_dscnt 0x1
	ds_bpermute_b32 v5, v8, v3
	s_wait_dscnt 0x1
	ds_bpermute_b32 v4, v8, v2
	s_wait_dscnt 0x0
	v_pk_add_f32 v[2:3], v[2:3], v[4:5]
	ds_bpermute_b32 v5, v9, v3
	ds_bpermute_b32 v4, v9, v2
	s_wait_dscnt 0x0
	v_pk_add_f32 v[2:3], v[2:3], v[4:5]
	ds_bpermute_b32 v5, v11, v3
	ds_bpermute_b32 v4, v11, v2
	s_wait_dscnt 0x0
	v_pk_add_f32 v[2:3], v[2:3], v[4:5]
	s_and_saveexec_b32 s2, s1
	s_cbranch_execz .LBB100_35
; %bb.31:
	s_and_not1_b32 vcc_lo, exec_lo, s10
	s_cbranch_vccnz .LBB100_33
; %bb.32:
	v_bfe_u32 v4, v3, 16, 1
	v_cmp_o_f32_e32 vcc_lo, v3, v3
	s_delay_alu instid0(VALU_DEP_2) | instskip(SKIP_1) | instid1(VALU_DEP_2)
	v_add3_u32 v10, v3, v4, 0x7fff
	v_add_nc_u64_e32 v[4:5], s[8:9], v[0:1]
	v_lshrrev_b32_e32 v10, 16, v10
	s_delay_alu instid0(VALU_DEP_2) | instskip(NEXT) | instid1(VALU_DEP_2)
	v_lshl_add_u64 v[4:5], v[4:5], 1, s[4:5]
	v_cndmask_b32_e32 v10, 0x7fc0, v10, vcc_lo
	global_store_b16 v[4:5], v10, off offset:64
.LBB100_33:
	s_and_not1_b32 vcc_lo, exec_lo, s3
	s_cbranch_vccnz .LBB100_35
; %bb.34:
	s_wait_xcnt 0x0
	v_bfe_u32 v4, v2, 16, 1
	v_cmp_o_f32_e32 vcc_lo, v2, v2
	s_delay_alu instid0(VALU_DEP_2) | instskip(SKIP_1) | instid1(VALU_DEP_2)
	v_add3_u32 v10, v2, v4, 0x7fff
	v_add_nc_u64_e32 v[4:5], s[8:9], v[0:1]
	v_lshrrev_b32_e32 v10, 16, v10
	s_delay_alu instid0(VALU_DEP_2) | instskip(NEXT) | instid1(VALU_DEP_2)
	v_lshl_add_u64 v[4:5], v[4:5], 1, s[6:7]
	v_cndmask_b32_e32 v10, 0x7fc0, v10, vcc_lo
	global_store_b16 v[4:5], v10, off offset:64
.LBB100_35:
	s_wait_xcnt 0x0
	s_or_b32 exec_lo, exec_lo, s2
	v_cmp_gt_u32_e32 vcc_lo, 0x200, v6
	s_and_b32 exec_lo, exec_lo, vcc_lo
	s_cbranch_execz .LBB100_43
; %bb.36:
	s_and_saveexec_b32 s2, s0
	s_cbranch_execz .LBB100_38
; %bb.37:
	v_add_nc_u32_e32 v2, v0, v7
	s_delay_alu instid0(VALU_DEP_1)
	v_lshl_add_u32 v2, v2, 2, 0
	ds_load_b32 v3, v2 offset:192
	ds_load_b32 v2, v2 offset:2272
.LBB100_38:
	s_or_b32 exec_lo, exec_lo, s2
	s_wait_dscnt 0x1
	ds_bpermute_b32 v4, v8, v3
	s_wait_dscnt 0x1
	ds_bpermute_b32 v5, v8, v2
	s_wait_dscnt 0x0
	v_dual_add_f32 v3, v3, v4 :: v_dual_add_f32 v2, v2, v5
	ds_bpermute_b32 v4, v9, v3
	ds_bpermute_b32 v5, v9, v2
	s_wait_dscnt 0x0
	v_dual_add_f32 v4, v3, v4 :: v_dual_add_f32 v2, v2, v5
	ds_bpermute_b32 v5, v11, v4
	ds_bpermute_b32 v3, v11, v2
	s_and_b32 exec_lo, exec_lo, s1
	s_cbranch_execz .LBB100_43
; %bb.39:
	v_add_nc_u64_e32 v[0:1], s[8:9], v[0:1]
	s_and_not1_b32 vcc_lo, exec_lo, s10
	s_cbranch_vccnz .LBB100_41
; %bb.40:
	s_wait_dscnt 0x1
	v_add_f32_e32 v4, v4, v5
	s_delay_alu instid0(VALU_DEP_1) | instskip(NEXT) | instid1(VALU_DEP_1)
	v_bfe_u32 v5, v4, 16, 1
	v_add3_u32 v5, v4, v5, 0x7fff
	s_delay_alu instid0(VALU_DEP_1) | instskip(SKIP_1) | instid1(VALU_DEP_2)
	v_lshrrev_b32_e32 v5, 16, v5
	v_cmp_o_f32_e32 vcc_lo, v4, v4
	v_cndmask_b32_e32 v6, 0x7fc0, v5, vcc_lo
	v_lshl_add_u64 v[4:5], v[0:1], 1, s[4:5]
	global_store_b16 v[4:5], v6, off offset:96
.LBB100_41:
	s_and_not1_b32 vcc_lo, exec_lo, s3
	s_cbranch_vccnz .LBB100_43
; %bb.42:
	s_wait_dscnt 0x0
	v_add_f32_e32 v2, v2, v3
	v_lshl_add_u64 v[0:1], v[0:1], 1, s[6:7]
	s_delay_alu instid0(VALU_DEP_2) | instskip(NEXT) | instid1(VALU_DEP_1)
	v_bfe_u32 v3, v2, 16, 1
	v_add3_u32 v3, v2, v3, 0x7fff
	s_delay_alu instid0(VALU_DEP_1) | instskip(SKIP_1) | instid1(VALU_DEP_2)
	v_lshrrev_b32_e32 v3, 16, v3
	v_cmp_o_f32_e32 vcc_lo, v2, v2
	v_cndmask_b32_e32 v2, 0x7fc0, v3, vcc_lo
	global_store_b16 v[0:1], v2, off offset:96
.LBB100_43:
	s_endpgm
	.section	.rodata,"a",@progbits
	.p2align	6, 0x0
	.amdhsa_kernel _ZN2at6native12_GLOBAL__N_135GammaBetaBackwardCUDAKernelTemplateIN3c108BFloat16EfLj64ELj8ELj64ELb0ELb1ELb0EEEvllPKT_S7_PKT0_SA_PS5_SB_
		.amdhsa_group_segment_fixed_size 0
		.amdhsa_private_segment_fixed_size 0
		.amdhsa_kernarg_size 320
		.amdhsa_user_sgpr_count 2
		.amdhsa_user_sgpr_dispatch_ptr 0
		.amdhsa_user_sgpr_queue_ptr 0
		.amdhsa_user_sgpr_kernarg_segment_ptr 1
		.amdhsa_user_sgpr_dispatch_id 0
		.amdhsa_user_sgpr_kernarg_preload_length 0
		.amdhsa_user_sgpr_kernarg_preload_offset 0
		.amdhsa_user_sgpr_private_segment_size 0
		.amdhsa_wavefront_size32 1
		.amdhsa_uses_dynamic_stack 0
		.amdhsa_enable_private_segment 0
		.amdhsa_system_sgpr_workgroup_id_x 1
		.amdhsa_system_sgpr_workgroup_id_y 1
		.amdhsa_system_sgpr_workgroup_id_z 0
		.amdhsa_system_sgpr_workgroup_info 0
		.amdhsa_system_vgpr_workitem_id 1
		.amdhsa_next_free_vgpr 49
		.amdhsa_next_free_sgpr 26
		.amdhsa_named_barrier_count 0
		.amdhsa_reserve_vcc 1
		.amdhsa_float_round_mode_32 0
		.amdhsa_float_round_mode_16_64 0
		.amdhsa_float_denorm_mode_32 3
		.amdhsa_float_denorm_mode_16_64 3
		.amdhsa_fp16_overflow 0
		.amdhsa_memory_ordered 1
		.amdhsa_forward_progress 1
		.amdhsa_inst_pref_size 23
		.amdhsa_round_robin_scheduling 0
		.amdhsa_exception_fp_ieee_invalid_op 0
		.amdhsa_exception_fp_denorm_src 0
		.amdhsa_exception_fp_ieee_div_zero 0
		.amdhsa_exception_fp_ieee_overflow 0
		.amdhsa_exception_fp_ieee_underflow 0
		.amdhsa_exception_fp_ieee_inexact 0
		.amdhsa_exception_int_div_zero 0
	.end_amdhsa_kernel
	.section	.text._ZN2at6native12_GLOBAL__N_135GammaBetaBackwardCUDAKernelTemplateIN3c108BFloat16EfLj64ELj8ELj64ELb0ELb1ELb0EEEvllPKT_S7_PKT0_SA_PS5_SB_,"axG",@progbits,_ZN2at6native12_GLOBAL__N_135GammaBetaBackwardCUDAKernelTemplateIN3c108BFloat16EfLj64ELj8ELj64ELb0ELb1ELb0EEEvllPKT_S7_PKT0_SA_PS5_SB_,comdat
.Lfunc_end100:
	.size	_ZN2at6native12_GLOBAL__N_135GammaBetaBackwardCUDAKernelTemplateIN3c108BFloat16EfLj64ELj8ELj64ELb0ELb1ELb0EEEvllPKT_S7_PKT0_SA_PS5_SB_, .Lfunc_end100-_ZN2at6native12_GLOBAL__N_135GammaBetaBackwardCUDAKernelTemplateIN3c108BFloat16EfLj64ELj8ELj64ELb0ELb1ELb0EEEvllPKT_S7_PKT0_SA_PS5_SB_
                                        ; -- End function
	.set _ZN2at6native12_GLOBAL__N_135GammaBetaBackwardCUDAKernelTemplateIN3c108BFloat16EfLj64ELj8ELj64ELb0ELb1ELb0EEEvllPKT_S7_PKT0_SA_PS5_SB_.num_vgpr, 49
	.set _ZN2at6native12_GLOBAL__N_135GammaBetaBackwardCUDAKernelTemplateIN3c108BFloat16EfLj64ELj8ELj64ELb0ELb1ELb0EEEvllPKT_S7_PKT0_SA_PS5_SB_.num_agpr, 0
	.set _ZN2at6native12_GLOBAL__N_135GammaBetaBackwardCUDAKernelTemplateIN3c108BFloat16EfLj64ELj8ELj64ELb0ELb1ELb0EEEvllPKT_S7_PKT0_SA_PS5_SB_.numbered_sgpr, 26
	.set _ZN2at6native12_GLOBAL__N_135GammaBetaBackwardCUDAKernelTemplateIN3c108BFloat16EfLj64ELj8ELj64ELb0ELb1ELb0EEEvllPKT_S7_PKT0_SA_PS5_SB_.num_named_barrier, 0
	.set _ZN2at6native12_GLOBAL__N_135GammaBetaBackwardCUDAKernelTemplateIN3c108BFloat16EfLj64ELj8ELj64ELb0ELb1ELb0EEEvllPKT_S7_PKT0_SA_PS5_SB_.private_seg_size, 0
	.set _ZN2at6native12_GLOBAL__N_135GammaBetaBackwardCUDAKernelTemplateIN3c108BFloat16EfLj64ELj8ELj64ELb0ELb1ELb0EEEvllPKT_S7_PKT0_SA_PS5_SB_.uses_vcc, 1
	.set _ZN2at6native12_GLOBAL__N_135GammaBetaBackwardCUDAKernelTemplateIN3c108BFloat16EfLj64ELj8ELj64ELb0ELb1ELb0EEEvllPKT_S7_PKT0_SA_PS5_SB_.uses_flat_scratch, 0
	.set _ZN2at6native12_GLOBAL__N_135GammaBetaBackwardCUDAKernelTemplateIN3c108BFloat16EfLj64ELj8ELj64ELb0ELb1ELb0EEEvllPKT_S7_PKT0_SA_PS5_SB_.has_dyn_sized_stack, 0
	.set _ZN2at6native12_GLOBAL__N_135GammaBetaBackwardCUDAKernelTemplateIN3c108BFloat16EfLj64ELj8ELj64ELb0ELb1ELb0EEEvllPKT_S7_PKT0_SA_PS5_SB_.has_recursion, 0
	.set _ZN2at6native12_GLOBAL__N_135GammaBetaBackwardCUDAKernelTemplateIN3c108BFloat16EfLj64ELj8ELj64ELb0ELb1ELb0EEEvllPKT_S7_PKT0_SA_PS5_SB_.has_indirect_call, 0
	.section	.AMDGPU.csdata,"",@progbits
; Kernel info:
; codeLenInByte = 2868
; TotalNumSgprs: 28
; NumVgprs: 49
; ScratchSize: 0
; MemoryBound: 0
; FloatMode: 240
; IeeeMode: 1
; LDSByteSize: 0 bytes/workgroup (compile time only)
; SGPRBlocks: 0
; VGPRBlocks: 3
; NumSGPRsForWavesPerEU: 28
; NumVGPRsForWavesPerEU: 49
; NamedBarCnt: 0
; Occupancy: 16
; WaveLimiterHint : 0
; COMPUTE_PGM_RSRC2:SCRATCH_EN: 0
; COMPUTE_PGM_RSRC2:USER_SGPR: 2
; COMPUTE_PGM_RSRC2:TRAP_HANDLER: 0
; COMPUTE_PGM_RSRC2:TGID_X_EN: 1
; COMPUTE_PGM_RSRC2:TGID_Y_EN: 1
; COMPUTE_PGM_RSRC2:TGID_Z_EN: 0
; COMPUTE_PGM_RSRC2:TIDIG_COMP_CNT: 1
	.section	.text._ZN2at6native12_GLOBAL__N_135GammaBetaBackwardCUDAKernelTemplateIN3c108BFloat16EfLj64ELj8ELj64ELb0ELb0ELb0EEEvllPKT_S7_PKT0_SA_PS5_SB_,"axG",@progbits,_ZN2at6native12_GLOBAL__N_135GammaBetaBackwardCUDAKernelTemplateIN3c108BFloat16EfLj64ELj8ELj64ELb0ELb0ELb0EEEvllPKT_S7_PKT0_SA_PS5_SB_,comdat
	.globl	_ZN2at6native12_GLOBAL__N_135GammaBetaBackwardCUDAKernelTemplateIN3c108BFloat16EfLj64ELj8ELj64ELb0ELb0ELb0EEEvllPKT_S7_PKT0_SA_PS5_SB_ ; -- Begin function _ZN2at6native12_GLOBAL__N_135GammaBetaBackwardCUDAKernelTemplateIN3c108BFloat16EfLj64ELj8ELj64ELb0ELb0ELb0EEEvllPKT_S7_PKT0_SA_PS5_SB_
	.p2align	8
	.type	_ZN2at6native12_GLOBAL__N_135GammaBetaBackwardCUDAKernelTemplateIN3c108BFloat16EfLj64ELj8ELj64ELb0ELb0ELb0EEEvllPKT_S7_PKT0_SA_PS5_SB_,@function
_ZN2at6native12_GLOBAL__N_135GammaBetaBackwardCUDAKernelTemplateIN3c108BFloat16EfLj64ELj8ELj64ELb0ELb0ELb0EEEvllPKT_S7_PKT0_SA_PS5_SB_: ; @_ZN2at6native12_GLOBAL__N_135GammaBetaBackwardCUDAKernelTemplateIN3c108BFloat16EfLj64ELj8ELj64ELb0ELb0ELb0EEEvllPKT_S7_PKT0_SA_PS5_SB_
; %bb.0:
	s_load_b256 s[4:11], s[0:1], 0x0
	s_bfe_u32 s3, ttmp6, 0x4000c
	s_bfe_u32 s12, ttmp6, 0x40010
	s_add_co_i32 s3, s3, 1
	s_add_co_i32 s12, s12, 1
	s_and_b32 s2, ttmp6, 15
	s_bfe_u32 s13, ttmp6, 0x40004
	s_mul_i32 s3, ttmp9, s3
	s_mul_i32 s12, ttmp7, s12
	s_getreg_b32 s14, hwreg(HW_REG_IB_STS2, 6, 4)
	s_add_co_i32 s2, s2, s3
	s_add_co_i32 s3, s13, s12
	s_cmp_eq_u32 s14, 0
	s_mov_b32 s19, 0
	s_cselect_b32 s16, ttmp9, s2
	s_cselect_b32 s2, ttmp7, s3
	s_lshl_b32 s3, s16, 6
	s_load_b128 s[12:15], s[0:1], 0x20
	s_or_b32 s18, s3, 63
	s_wait_kmcnt 0x0
	v_cmp_le_i64_e64 s20, s[6:7], s[18:19]
	s_lshl_b32 s18, s2, 6
	s_delay_alu instid0(SALU_CYCLE_1) | instskip(SKIP_2) | instid1(VALU_DEP_1)
	v_cmp_gt_i64_e64 s17, s[4:5], s[18:19]
	s_and_b32 vcc_lo, exec_lo, s20
	v_cndmask_b32_e64 v1, 0, 1, s17
	v_cmp_ne_u32_e64 s2, 1, v1
	s_cbranch_vccz .LBB101_48
; %bb.1:
	v_mov_b32_e32 v35, 0
	s_and_b32 vcc_lo, exec_lo, s2
	s_delay_alu instid0(VALU_DEP_1)
	v_mov_b32_e32 v34, v35
	s_cbranch_vccnz .LBB101_49
; %bb.2:
	v_bfe_u32 v1, v0, 10, 10
	v_mov_b32_e32 v2, 0
	v_and_b32_e32 v62, 0x3ff, v0
	s_load_b32 s20, s[0:1], 0x44
	s_mov_b32 s21, 0
	s_delay_alu instid0(VALU_DEP_2) | instskip(NEXT) | instid1(VALU_DEP_2)
	v_dual_mov_b32 v21, v2 :: v_dual_lshlrev_b32 v20, 3, v1
	v_dual_mov_b32 v19, v2 :: v_dual_add_nc_u32 v18, s3, v62
	v_mov_b32_e32 v34, 0
	s_mov_b32 s37, s21
	s_delay_alu instid0(VALU_DEP_3)
	v_add_nc_u64_e32 v[4:5], s[18:19], v[20:21]
	v_mov_b32_e32 v35, v2
	v_cmp_gt_i64_e64 s2, s[6:7], v[18:19]
	v_lshlrev_b64_e32 v[22:23], 1, v[18:19]
	s_add_nc_u64 s[22:23], s[0:1], 64
	s_mov_b64 s[24:25], 0xffffffffffffffc1
	s_mov_b64 s[26:27], 0xffffffffffffffc2
	v_mul_u64_e32 v[6:7], s[6:7], v[4:5]
	v_add_nc_u64_e32 v[8:9], 7, v[4:5]
	v_add_nc_u64_e32 v[10:11], 6, v[4:5]
	;; [unrolled: 1-line block ×6, first 2 shown]
	s_wait_kmcnt 0x0
	s_lshl_b32 s36, s20, 6
	v_mul_u64_e32 v[8:9], s[6:7], v[8:9]
	v_mul_u64_e32 v[10:11], s[6:7], v[10:11]
	;; [unrolled: 1-line block ×6, first 2 shown]
	s_mul_u64 s[44:45], s[6:7], s[36:37]
	s_mov_b64 s[28:29], 0xffffffffffffffc3
	s_mov_b64 s[30:31], 0xffffffffffffffc4
	;; [unrolled: 1-line block ×6, first 2 shown]
	s_lshl_b64 s[44:45], s[44:45], 1
	s_add_nc_u64 s[46:47], s[18:19], 63
	s_mov_b64 s[48:49], s[18:19]
	v_lshlrev_b64_e32 v[26:27], 1, v[6:7]
	v_add_nc_u64_e32 v[6:7], s[6:7], v[6:7]
	s_delay_alu instid0(VALU_DEP_2)
	v_add_nc_u64_e32 v[24:25], s[8:9], v[26:27]
	v_lshlrev_b64_e32 v[8:9], 1, v[8:9]
	v_lshlrev_b64_e32 v[10:11], 1, v[10:11]
	;; [unrolled: 1-line block ×7, first 2 shown]
	v_add_nc_u64_e32 v[26:27], s[10:11], v[26:27]
	v_add_nc_u64_e32 v[28:29], s[8:9], v[8:9]
	v_add_nc_u64_e32 v[30:31], s[10:11], v[8:9]
	v_add_nc_u64_e32 v[32:33], s[8:9], v[10:11]
	v_add_nc_u64_e32 v[36:37], s[10:11], v[10:11]
	v_add_nc_u64_e32 v[38:39], s[8:9], v[12:13]
	v_add_nc_u64_e32 v[40:41], s[10:11], v[12:13]
	v_add_nc_u64_e32 v[42:43], s[8:9], v[14:15]
	v_add_nc_u64_e32 v[44:45], s[10:11], v[14:15]
	v_add_nc_u64_e32 v[46:47], s[8:9], v[16:17]
	v_add_nc_u64_e32 v[48:49], s[10:11], v[16:17]
	v_add_nc_u64_e32 v[50:51], s[8:9], v[4:5]
	v_add_nc_u64_e32 v[52:53], s[10:11], v[4:5]
	v_add_nc_u64_e32 v[54:55], s[8:9], v[6:7]
	v_add_nc_u64_e32 v[56:57], s[10:11], v[6:7]
	s_branch .LBB101_5
.LBB101_3:                              ;   in Loop: Header=BB101_5 Depth=1
	s_or_b32 exec_lo, exec_lo, s20
	s_wait_loadcnt 0x1
	ds_bpermute_b32 v3, v2, v60
	ds_bpermute_b32 v59, v2, v60 offset:4
	ds_bpermute_b32 v63, v2, v60 offset:8
	s_wait_loadcnt 0x0
	ds_bpermute_b32 v64, v2, v61
	ds_bpermute_b32 v65, v2, v60 offset:12
	ds_bpermute_b32 v66, v2, v61 offset:4
	;; [unrolled: 1-line block ×9, first 2 shown]
	s_wait_dscnt 0xc
	v_dual_mov_b32 v58, v5 :: v_dual_sub_f32 v3, v12, v3
	s_wait_dscnt 0xb
	v_dual_mov_b32 v12, v4 :: v_dual_sub_f32 v13, v13, v59
	s_wait_dscnt 0xa
	v_sub_f32_e32 v59, v14, v63
	v_dual_mul_f32 v3, v4, v3 :: v_dual_mov_b32 v4, v6
	s_delay_alu instid0(VALU_DEP_3) | instskip(SKIP_1) | instid1(VALU_DEP_2)
	v_dual_mul_f32 v5, v5, v13 :: v_dual_mov_b32 v14, v7
	s_wait_dscnt 0x9
	v_dual_mul_f32 v6, v6, v59 :: v_dual_mul_f32 v13, v3, v64
	s_wait_dscnt 0x7
	s_delay_alu instid0(VALU_DEP_2) | instskip(SKIP_1) | instid1(VALU_DEP_2)
	v_dual_sub_f32 v3, v15, v65 :: v_dual_mul_f32 v59, v5, v66
	s_wait_dscnt 0x6
	v_mul_f32_e32 v5, v6, v67
	v_pk_add_f32 v[12:13], v[34:35], v[12:13]
	ds_bpermute_b32 v34, v2, v61 offset:24
	s_wait_dscnt 0x6
	v_dual_sub_f32 v15, v16, v69 :: v_dual_mul_f32 v3, v7, v3
	v_pk_add_f32 v[6:7], v[58:59], v[12:13]
	s_wait_dscnt 0x4
	v_dual_mov_b32 v12, v8 :: v_dual_sub_f32 v13, v17, v72
	s_delay_alu instid0(VALU_DEP_3) | instskip(NEXT) | instid1(VALU_DEP_3)
	v_dual_mul_f32 v8, v8, v15 :: v_dual_mul_f32 v15, v3, v68
	v_pk_add_f32 v[4:5], v[4:5], v[6:7]
	ds_bpermute_b32 v3, v2, v61 offset:28
	s_wait_dscnt 0x3
	v_sub_f32_e32 v16, v18, v73
	v_dual_mul_f32 v17, v9, v13 :: v_dual_mul_f32 v13, v8, v70
	v_pk_add_f32 v[6:7], v[14:15], v[4:5]
	ds_bpermute_b32 v4, v2, v60 offset:28
	v_dual_mov_b32 v8, v9 :: v_dual_mul_f32 v5, v10, v16
	s_wait_dscnt 0x3
	v_mul_f32_e32 v9, v17, v71
	v_pk_add_f32 v[6:7], v[12:13], v[6:7]
	s_wait_dscnt 0x2
	v_dual_mov_b32 v12, v10 :: v_dual_mul_f32 v13, v5, v34
	s_delay_alu instid0(VALU_DEP_2) | instskip(NEXT) | instid1(VALU_DEP_1)
	v_pk_add_f32 v[6:7], v[8:9], v[6:7]
	v_pk_add_f32 v[60:61], v[12:13], v[6:7]
.LBB101_4:                              ;   in Loop: Header=BB101_5 Depth=1
	s_wait_dscnt 0x0
	v_sub_f32_e32 v5, v19, v4
	v_mov_b32_e32 v4, v11
	s_add_nc_u64 s[48:49], s[48:49], s[36:37]
	v_add_nc_u64_e32 v[24:25], s[44:45], v[24:25]
	v_cmp_lt_i64_e64 s20, s[48:49], s[4:5]
	v_mul_f32_e32 v5, v11, v5
	v_add_nc_u64_e32 v[26:27], s[44:45], v[26:27]
	v_add_nc_u64_e32 v[28:29], s[44:45], v[28:29]
	;; [unrolled: 1-line block ×4, first 2 shown]
	v_mul_f32_e32 v5, v5, v3
	v_add_nc_u64_e32 v[36:37], s[44:45], v[36:37]
	v_add_nc_u64_e32 v[38:39], s[44:45], v[38:39]
	;; [unrolled: 1-line block ×11, first 2 shown]
	v_pk_add_f32 v[34:35], v[60:61], v[4:5]
	s_and_b32 vcc_lo, exec_lo, s20
	s_add_nc_u64 s[46:47], s[46:47], s[36:37]
	s_cbranch_vccz .LBB101_49
.LBB101_5:                              ; =>This Inner Loop Header: Depth=1
	v_cmp_ge_i64_e64 s20, s[46:47], s[4:5]
	v_add_nc_u64_e32 v[58:59], s[46:47], v[20:21]
                                        ; implicit-def: $vgpr4_vgpr5_vgpr6_vgpr7_vgpr8_vgpr9_vgpr10_vgpr11
                                        ; implicit-def: $vgpr60_vgpr61
                                        ; implicit-def: $vgpr3
                                        ; implicit-def: $vgpr12_vgpr13_vgpr14_vgpr15_vgpr16_vgpr17_vgpr18_vgpr19
                                        ; implicit-def: $vgpr4
	s_and_b32 vcc_lo, exec_lo, s20
	s_mov_b32 s20, -1
	s_cbranch_vccz .LBB101_27
; %bb.6:                                ;   in Loop: Header=BB101_5 Depth=1
	s_load_b32 s20, s[22:23], 0xc
	v_dual_mov_b32 v60, 0 :: v_dual_mov_b32 v61, 0
	s_wait_kmcnt 0x0
	s_and_b32 s20, s20, 0xffff
	s_delay_alu instid0(SALU_CYCLE_1) | instskip(SKIP_1) | instid1(VALU_DEP_1)
	v_mad_u32_u24 v3, v1, s20, v62
	s_mov_b32 s20, exec_lo
	v_and_b32_e32 v4, 31, v3
	s_delay_alu instid0(VALU_DEP_1)
	v_cmpx_gt_u32_e32 8, v4
	s_cbranch_execz .LBB101_10
; %bb.7:                                ;   in Loop: Header=BB101_5 Depth=1
	v_dual_mov_b32 v5, v2 :: v_dual_mov_b32 v60, 0
	v_mov_b32_e32 v61, 0
	s_mov_b32 s33, exec_lo
	s_delay_alu instid0(VALU_DEP_2) | instskip(NEXT) | instid1(VALU_DEP_1)
	v_add_nc_u64_e32 v[4:5], v[58:59], v[4:5]
	v_add_nc_u64_e32 v[4:5], s[24:25], v[4:5]
	s_delay_alu instid0(VALU_DEP_1)
	v_cmpx_gt_i64_e64 s[4:5], v[4:5]
	s_cbranch_execz .LBB101_9
; %bb.8:                                ;   in Loop: Header=BB101_5 Depth=1
	v_lshlrev_b64_e32 v[4:5], 2, v[4:5]
	s_delay_alu instid0(VALU_DEP_1)
	v_add_nc_u64_e32 v[6:7], s[12:13], v[4:5]
	v_add_nc_u64_e32 v[4:5], s[14:15], v[4:5]
	global_load_b32 v60, v[6:7], off
	global_load_b32 v61, v[4:5], off
.LBB101_9:                              ;   in Loop: Header=BB101_5 Depth=1
	s_wait_xcnt 0x0
	s_or_b32 exec_lo, exec_lo, s33
.LBB101_10:                             ;   in Loop: Header=BB101_5 Depth=1
	s_delay_alu instid0(SALU_CYCLE_1)
	s_or_b32 exec_lo, exec_lo, s20
	v_add_nc_u64_e32 v[10:11], s[24:25], v[58:59]
	v_dual_mov_b32 v7, v2 :: v_dual_mov_b32 v8, v2
	v_dual_mov_b32 v9, v2 :: v_dual_mov_b32 v3, v2
	;; [unrolled: 1-line block ×3, first 2 shown]
	v_mov_b32_e32 v6, v2
	v_cmp_gt_i64_e32 vcc_lo, s[4:5], v[10:11]
	s_delay_alu instid0(VALU_DEP_4)
	v_mov_b64_e32 v[18:19], v[8:9]
	v_mov_b64_e32 v[12:13], v[2:3]
	;; [unrolled: 1-line block ×8, first 2 shown]
	s_and_b32 s33, s2, vcc_lo
	s_delay_alu instid0(SALU_CYCLE_1)
	s_and_saveexec_b32 s20, s33
	s_cbranch_execz .LBB101_12
; %bb.11:                               ;   in Loop: Header=BB101_5 Depth=1
	v_add_nc_u64_e32 v[4:5], v[24:25], v[22:23]
	v_add_nc_u64_e32 v[6:7], v[26:27], v[22:23]
	v_dual_mov_b32 v9, v2 :: v_dual_mov_b32 v10, v2
	v_dual_mov_b32 v11, v2 :: v_dual_mov_b32 v13, v2
	;; [unrolled: 1-line block ×3, first 2 shown]
	global_load_u16 v3, v[4:5], off
	global_load_u16 v12, v[6:7], off
	s_wait_xcnt 0x0
	v_dual_mov_b32 v5, v2 :: v_dual_mov_b32 v6, v2
	v_dual_mov_b32 v7, v2 :: v_dual_mov_b32 v8, v2
	;; [unrolled: 1-line block ×4, first 2 shown]
	s_wait_loadcnt 0x0
	v_dual_lshlrev_b32 v4, 16, v3 :: v_dual_lshlrev_b32 v12, 16, v12
.LBB101_12:                             ;   in Loop: Header=BB101_5 Depth=1
	s_or_b32 exec_lo, exec_lo, s20
	v_add_nc_u64_e32 v[64:65], s[26:27], v[58:59]
	s_delay_alu instid0(VALU_DEP_1) | instskip(SKIP_1) | instid1(SALU_CYCLE_1)
	v_cmp_gt_i64_e32 vcc_lo, s[4:5], v[64:65]
	s_and_b32 s33, s2, vcc_lo
	s_and_saveexec_b32 s20, s33
	s_cbranch_execz .LBB101_14
; %bb.13:                               ;   in Loop: Header=BB101_5 Depth=1
	v_add_nc_u64_e32 v[64:65], v[54:55], v[22:23]
	v_add_nc_u64_e32 v[66:67], v[56:57], v[22:23]
	global_load_u16 v3, v[64:65], off
	global_load_u16 v13, v[66:67], off
	s_wait_loadcnt 0x0
	v_dual_lshlrev_b32 v5, 16, v3 :: v_dual_lshlrev_b32 v13, 16, v13
.LBB101_14:                             ;   in Loop: Header=BB101_5 Depth=1
	s_or_b32 exec_lo, exec_lo, s20
	v_add_nc_u64_e32 v[64:65], s[28:29], v[58:59]
	s_delay_alu instid0(VALU_DEP_1) | instskip(SKIP_1) | instid1(SALU_CYCLE_1)
	v_cmp_gt_i64_e32 vcc_lo, s[4:5], v[64:65]
	s_and_b32 s33, s2, vcc_lo
	s_and_saveexec_b32 s20, s33
	s_cbranch_execz .LBB101_16
; %bb.15:                               ;   in Loop: Header=BB101_5 Depth=1
	v_add_nc_u64_e32 v[64:65], v[50:51], v[22:23]
	v_add_nc_u64_e32 v[66:67], v[52:53], v[22:23]
	global_load_u16 v3, v[64:65], off
	global_load_u16 v14, v[66:67], off
	s_wait_loadcnt 0x0
	v_dual_lshlrev_b32 v6, 16, v3 :: v_dual_lshlrev_b32 v14, 16, v14
.LBB101_16:                             ;   in Loop: Header=BB101_5 Depth=1
	s_or_b32 exec_lo, exec_lo, s20
	v_add_nc_u64_e32 v[64:65], s[30:31], v[58:59]
	s_delay_alu instid0(VALU_DEP_1) | instskip(SKIP_1) | instid1(SALU_CYCLE_1)
	v_cmp_gt_i64_e32 vcc_lo, s[4:5], v[64:65]
	s_and_b32 s33, s2, vcc_lo
	s_and_saveexec_b32 s20, s33
	s_cbranch_execz .LBB101_18
; %bb.17:                               ;   in Loop: Header=BB101_5 Depth=1
	v_add_nc_u64_e32 v[64:65], v[46:47], v[22:23]
	v_add_nc_u64_e32 v[66:67], v[48:49], v[22:23]
	global_load_u16 v3, v[64:65], off
	global_load_u16 v15, v[66:67], off
	s_wait_loadcnt 0x1
	v_lshlrev_b32_e32 v7, 16, v3
	s_wait_loadcnt 0x0
	v_lshlrev_b32_e32 v15, 16, v15
.LBB101_18:                             ;   in Loop: Header=BB101_5 Depth=1
	s_or_b32 exec_lo, exec_lo, s20
	v_add_nc_u64_e32 v[64:65], s[34:35], v[58:59]
	s_delay_alu instid0(VALU_DEP_1) | instskip(SKIP_1) | instid1(SALU_CYCLE_1)
	v_cmp_gt_i64_e32 vcc_lo, s[4:5], v[64:65]
	s_and_b32 s33, s2, vcc_lo
	s_and_saveexec_b32 s20, s33
	s_cbranch_execz .LBB101_20
; %bb.19:                               ;   in Loop: Header=BB101_5 Depth=1
	v_add_nc_u64_e32 v[64:65], v[42:43], v[22:23]
	v_add_nc_u64_e32 v[66:67], v[44:45], v[22:23]
	global_load_u16 v3, v[64:65], off
	global_load_u16 v16, v[66:67], off
	s_wait_loadcnt 0x0
	v_dual_lshlrev_b32 v8, 16, v3 :: v_dual_lshlrev_b32 v16, 16, v16
.LBB101_20:                             ;   in Loop: Header=BB101_5 Depth=1
	s_or_b32 exec_lo, exec_lo, s20
	v_add_nc_u64_e32 v[64:65], s[38:39], v[58:59]
	s_delay_alu instid0(VALU_DEP_1) | instskip(SKIP_1) | instid1(SALU_CYCLE_1)
	v_cmp_gt_i64_e32 vcc_lo, s[4:5], v[64:65]
	s_and_b32 s33, s2, vcc_lo
	s_and_saveexec_b32 s20, s33
	s_cbranch_execz .LBB101_22
; %bb.21:                               ;   in Loop: Header=BB101_5 Depth=1
	v_add_nc_u64_e32 v[64:65], v[38:39], v[22:23]
	v_add_nc_u64_e32 v[66:67], v[40:41], v[22:23]
	global_load_u16 v3, v[64:65], off
	global_load_u16 v17, v[66:67], off
	s_wait_loadcnt 0x0
	v_dual_lshlrev_b32 v9, 16, v3 :: v_dual_lshlrev_b32 v17, 16, v17
.LBB101_22:                             ;   in Loop: Header=BB101_5 Depth=1
	;; [unrolled: 15-line block ×3, first 2 shown]
	s_or_b32 exec_lo, exec_lo, s20
	v_add_nc_u64_e32 v[64:65], s[42:43], v[58:59]
	s_delay_alu instid0(VALU_DEP_1) | instskip(SKIP_1) | instid1(SALU_CYCLE_1)
	v_cmp_gt_i64_e32 vcc_lo, s[4:5], v[64:65]
	s_and_b32 s33, s2, vcc_lo
	s_and_saveexec_b32 s20, s33
	s_cbranch_execz .LBB101_26
; %bb.25:                               ;   in Loop: Header=BB101_5 Depth=1
	v_add_nc_u64_e32 v[64:65], v[28:29], v[22:23]
	v_add_nc_u64_e32 v[66:67], v[30:31], v[22:23]
	global_load_u16 v3, v[64:65], off
	global_load_u16 v19, v[66:67], off
	s_wait_loadcnt 0x1
	v_lshlrev_b32_e32 v11, 16, v3
	s_wait_loadcnt 0x0
	v_lshlrev_b32_e32 v19, 16, v19
.LBB101_26:                             ;   in Loop: Header=BB101_5 Depth=1
	s_or_b32 exec_lo, exec_lo, s20
	s_wait_loadcnt 0x1
	ds_bpermute_b32 v3, v2, v60
	ds_bpermute_b32 v63, v2, v60 offset:4
	ds_bpermute_b32 v65, v2, v60 offset:8
	s_wait_loadcnt 0x0
	ds_bpermute_b32 v66, v2, v61
	ds_bpermute_b32 v67, v2, v60 offset:12
	ds_bpermute_b32 v68, v2, v61 offset:4
	;; [unrolled: 1-line block ×8, first 2 shown]
	s_mov_b32 s20, 0
	s_wait_dscnt 0xb
	v_dual_mov_b32 v64, v5 :: v_dual_sub_f32 v3, v12, v3
	s_wait_dscnt 0xa
	v_dual_mov_b32 v12, v4 :: v_dual_sub_f32 v13, v13, v63
	ds_bpermute_b32 v63, v2, v60 offset:24
	v_dual_mul_f32 v3, v4, v3 :: v_dual_mov_b32 v4, v6
	s_wait_dscnt 0xa
	v_sub_f32_e32 v65, v14, v65
	v_dual_mul_f32 v5, v5, v13 :: v_dual_mov_b32 v14, v7
	s_wait_dscnt 0x9
	v_mul_f32_e32 v13, v3, v66
	s_wait_dscnt 0x8
	v_dual_sub_f32 v3, v15, v67 :: v_dual_mul_f32 v6, v6, v65
	s_wait_dscnt 0x5
	v_dual_mul_f32 v65, v5, v68 :: v_dual_sub_f32 v15, v16, v71
	v_pk_add_f32 v[12:13], v[34:35], v[12:13]
	ds_bpermute_b32 v66, v2, v61 offset:24
	v_dual_mul_f32 v3, v7, v3 :: v_dual_mul_f32 v5, v6, v69
	v_pk_add_f32 v[6:7], v[64:65], v[12:13]
	s_wait_dscnt 0x4
	v_dual_mov_b32 v12, v8 :: v_dual_sub_f32 v13, v17, v74
	s_delay_alu instid0(VALU_DEP_3) | instskip(NEXT) | instid1(VALU_DEP_3)
	v_dual_mul_f32 v8, v8, v15 :: v_dual_mul_f32 v15, v3, v70
	v_pk_add_f32 v[4:5], v[4:5], v[6:7]
	ds_bpermute_b32 v3, v2, v61 offset:28
	s_wait_dscnt 0x2
	v_dual_sub_f32 v16, v18, v63 :: v_dual_mul_f32 v17, v9, v13
	v_dual_mul_f32 v13, v8, v72 :: v_dual_mov_b32 v8, v9
	v_pk_add_f32 v[6:7], v[14:15], v[4:5]
	ds_bpermute_b32 v4, v2, v60 offset:28
	v_dual_mul_f32 v5, v10, v16 :: v_dual_mul_f32 v9, v17, v73
	v_pk_add_f32 v[6:7], v[12:13], v[6:7]
	s_wait_dscnt 0x2
	s_delay_alu instid0(VALU_DEP_2) | instskip(NEXT) | instid1(VALU_DEP_2)
	v_dual_mov_b32 v12, v10 :: v_dual_mul_f32 v13, v5, v66
	v_pk_add_f32 v[6:7], v[8:9], v[6:7]
	s_delay_alu instid0(VALU_DEP_1)
	v_pk_add_f32 v[60:61], v[12:13], v[6:7]
.LBB101_27:                             ;   in Loop: Header=BB101_5 Depth=1
	s_and_b32 vcc_lo, exec_lo, s20
	s_cbranch_vccz .LBB101_4
; %bb.28:                               ;   in Loop: Header=BB101_5 Depth=1
	s_load_b32 s20, s[22:23], 0x0
	v_dual_mov_b32 v60, 0 :: v_dual_mov_b32 v61, 0
	s_wait_kmcnt 0x0
	s_cmp_lt_u32 s16, s20
	s_cselect_b32 s20, 12, 18
	s_delay_alu instid0(SALU_CYCLE_1)
	s_add_nc_u64 s[50:51], s[22:23], s[20:21]
	s_load_u16 s20, s[50:51], 0x0
	s_wait_dscnt 0x1
	s_wait_kmcnt 0x0
	v_mad_u32_u24 v3, v1, s20, v62
	s_mov_b32 s20, exec_lo
	s_wait_dscnt 0x0
	s_delay_alu instid0(VALU_DEP_1) | instskip(NEXT) | instid1(VALU_DEP_1)
	v_and_b32_e32 v4, 31, v3
	v_cmpx_gt_u32_e32 8, v4
	s_cbranch_execz .LBB101_32
; %bb.29:                               ;   in Loop: Header=BB101_5 Depth=1
	v_dual_mov_b32 v5, v2 :: v_dual_mov_b32 v60, 0
	v_mov_b32_e32 v61, 0
	s_mov_b32 s33, exec_lo
	s_delay_alu instid0(VALU_DEP_2) | instskip(NEXT) | instid1(VALU_DEP_1)
	v_add_nc_u64_e32 v[4:5], v[58:59], v[4:5]
	v_add_nc_u64_e32 v[4:5], s[24:25], v[4:5]
	s_delay_alu instid0(VALU_DEP_1)
	v_cmpx_gt_i64_e64 s[4:5], v[4:5]
	s_cbranch_execz .LBB101_31
; %bb.30:                               ;   in Loop: Header=BB101_5 Depth=1
	v_lshlrev_b64_e32 v[4:5], 2, v[4:5]
	s_delay_alu instid0(VALU_DEP_1)
	v_add_nc_u64_e32 v[6:7], s[12:13], v[4:5]
	v_add_nc_u64_e32 v[4:5], s[14:15], v[4:5]
	global_load_b32 v60, v[6:7], off
	global_load_b32 v61, v[4:5], off
.LBB101_31:                             ;   in Loop: Header=BB101_5 Depth=1
	s_wait_xcnt 0x0
	s_or_b32 exec_lo, exec_lo, s33
.LBB101_32:                             ;   in Loop: Header=BB101_5 Depth=1
	s_delay_alu instid0(SALU_CYCLE_1) | instskip(SKIP_4) | instid1(VALU_DEP_3)
	s_or_b32 exec_lo, exec_lo, s20
	v_dual_mov_b32 v7, v2 :: v_dual_mov_b32 v8, v2
	v_dual_mov_b32 v9, v2 :: v_dual_mov_b32 v3, v2
	;; [unrolled: 1-line block ×3, first 2 shown]
	v_mov_b32_e32 v6, v2
	v_mov_b64_e32 v[18:19], v[8:9]
	s_delay_alu instid0(VALU_DEP_4) | instskip(NEXT) | instid1(VALU_DEP_4)
	v_mov_b64_e32 v[12:13], v[2:3]
	v_mov_b64_e32 v[14:15], v[4:5]
	s_delay_alu instid0(VALU_DEP_4)
	v_mov_b64_e32 v[16:17], v[6:7]
	v_mov_b64_e32 v[10:11], v[8:9]
	;; [unrolled: 1-line block ×5, first 2 shown]
	s_and_saveexec_b32 s20, s2
	s_cbranch_execnz .LBB101_40
; %bb.33:                               ;   in Loop: Header=BB101_5 Depth=1
	s_or_b32 exec_lo, exec_lo, s20
	s_and_saveexec_b32 s20, s2
	s_cbranch_execnz .LBB101_41
.LBB101_34:                             ;   in Loop: Header=BB101_5 Depth=1
	s_or_b32 exec_lo, exec_lo, s20
	s_and_saveexec_b32 s20, s2
	s_cbranch_execnz .LBB101_42
.LBB101_35:                             ;   in Loop: Header=BB101_5 Depth=1
	s_or_b32 exec_lo, exec_lo, s20
	s_and_saveexec_b32 s20, s2
	s_cbranch_execnz .LBB101_43
.LBB101_36:                             ;   in Loop: Header=BB101_5 Depth=1
	s_or_b32 exec_lo, exec_lo, s20
	s_and_saveexec_b32 s20, s2
	s_cbranch_execnz .LBB101_44
.LBB101_37:                             ;   in Loop: Header=BB101_5 Depth=1
	s_or_b32 exec_lo, exec_lo, s20
	s_and_saveexec_b32 s20, s2
	s_cbranch_execnz .LBB101_45
.LBB101_38:                             ;   in Loop: Header=BB101_5 Depth=1
	s_or_b32 exec_lo, exec_lo, s20
	s_and_saveexec_b32 s20, s2
	s_cbranch_execnz .LBB101_46
.LBB101_39:                             ;   in Loop: Header=BB101_5 Depth=1
	s_or_b32 exec_lo, exec_lo, s20
	s_and_saveexec_b32 s20, s2
	s_cbranch_execz .LBB101_3
	s_branch .LBB101_47
.LBB101_40:                             ;   in Loop: Header=BB101_5 Depth=1
	v_add_nc_u64_e32 v[4:5], v[24:25], v[22:23]
	v_add_nc_u64_e32 v[6:7], v[26:27], v[22:23]
	v_dual_mov_b32 v9, v2 :: v_dual_mov_b32 v10, v2
	v_dual_mov_b32 v11, v2 :: v_dual_mov_b32 v13, v2
	;; [unrolled: 1-line block ×3, first 2 shown]
	global_load_u16 v3, v[4:5], off
	global_load_u16 v12, v[6:7], off
	s_wait_xcnt 0x0
	v_dual_mov_b32 v5, v2 :: v_dual_mov_b32 v6, v2
	v_dual_mov_b32 v7, v2 :: v_dual_mov_b32 v8, v2
	;; [unrolled: 1-line block ×4, first 2 shown]
	s_wait_loadcnt 0x0
	v_dual_lshlrev_b32 v4, 16, v3 :: v_dual_lshlrev_b32 v12, 16, v12
	s_or_b32 exec_lo, exec_lo, s20
	s_and_saveexec_b32 s20, s2
	s_cbranch_execz .LBB101_34
.LBB101_41:                             ;   in Loop: Header=BB101_5 Depth=1
	v_add_nc_u64_e32 v[58:59], v[54:55], v[22:23]
	v_add_nc_u64_e32 v[64:65], v[56:57], v[22:23]
	global_load_u16 v3, v[58:59], off
	global_load_u16 v13, v[64:65], off
	s_wait_loadcnt 0x0
	v_dual_lshlrev_b32 v5, 16, v3 :: v_dual_lshlrev_b32 v13, 16, v13
	s_or_b32 exec_lo, exec_lo, s20
	s_and_saveexec_b32 s20, s2
	s_cbranch_execz .LBB101_35
.LBB101_42:                             ;   in Loop: Header=BB101_5 Depth=1
	v_add_nc_u64_e32 v[58:59], v[50:51], v[22:23]
	v_add_nc_u64_e32 v[64:65], v[52:53], v[22:23]
	global_load_u16 v3, v[58:59], off
	global_load_u16 v14, v[64:65], off
	s_wait_loadcnt 0x0
	v_dual_lshlrev_b32 v6, 16, v3 :: v_dual_lshlrev_b32 v14, 16, v14
	s_or_b32 exec_lo, exec_lo, s20
	s_and_saveexec_b32 s20, s2
	s_cbranch_execz .LBB101_36
.LBB101_43:                             ;   in Loop: Header=BB101_5 Depth=1
	v_add_nc_u64_e32 v[58:59], v[46:47], v[22:23]
	v_add_nc_u64_e32 v[64:65], v[48:49], v[22:23]
	global_load_u16 v3, v[58:59], off
	global_load_u16 v15, v[64:65], off
	s_wait_loadcnt 0x1
	v_lshlrev_b32_e32 v7, 16, v3
	s_wait_loadcnt 0x0
	v_lshlrev_b32_e32 v15, 16, v15
	s_or_b32 exec_lo, exec_lo, s20
	s_and_saveexec_b32 s20, s2
	s_cbranch_execz .LBB101_37
.LBB101_44:                             ;   in Loop: Header=BB101_5 Depth=1
	v_add_nc_u64_e32 v[58:59], v[42:43], v[22:23]
	v_add_nc_u64_e32 v[64:65], v[44:45], v[22:23]
	global_load_u16 v3, v[58:59], off
	global_load_u16 v16, v[64:65], off
	s_wait_loadcnt 0x0
	v_dual_lshlrev_b32 v8, 16, v3 :: v_dual_lshlrev_b32 v16, 16, v16
	s_or_b32 exec_lo, exec_lo, s20
	s_and_saveexec_b32 s20, s2
	s_cbranch_execz .LBB101_38
.LBB101_45:                             ;   in Loop: Header=BB101_5 Depth=1
	v_add_nc_u64_e32 v[58:59], v[38:39], v[22:23]
	v_add_nc_u64_e32 v[64:65], v[40:41], v[22:23]
	global_load_u16 v3, v[58:59], off
	global_load_u16 v17, v[64:65], off
	s_wait_loadcnt 0x0
	v_dual_lshlrev_b32 v9, 16, v3 :: v_dual_lshlrev_b32 v17, 16, v17
	s_or_b32 exec_lo, exec_lo, s20
	s_and_saveexec_b32 s20, s2
	s_cbranch_execz .LBB101_39
.LBB101_46:                             ;   in Loop: Header=BB101_5 Depth=1
	v_add_nc_u64_e32 v[58:59], v[32:33], v[22:23]
	v_add_nc_u64_e32 v[64:65], v[36:37], v[22:23]
	global_load_u16 v3, v[58:59], off
	global_load_u16 v18, v[64:65], off
	s_wait_loadcnt 0x0
	v_dual_lshlrev_b32 v10, 16, v3 :: v_dual_lshlrev_b32 v18, 16, v18
	s_or_b32 exec_lo, exec_lo, s20
	s_and_saveexec_b32 s20, s2
	s_cbranch_execz .LBB101_3
.LBB101_47:                             ;   in Loop: Header=BB101_5 Depth=1
	v_add_nc_u64_e32 v[58:59], v[28:29], v[22:23]
	v_add_nc_u64_e32 v[64:65], v[30:31], v[22:23]
	global_load_u16 v3, v[58:59], off
	global_load_u16 v19, v[64:65], off
	s_wait_loadcnt 0x1
	v_lshlrev_b32_e32 v11, 16, v3
	s_wait_loadcnt 0x0
	v_lshlrev_b32_e32 v19, 16, v19
	s_branch .LBB101_3
.LBB101_48:
                                        ; implicit-def: $vgpr35
	s_branch .LBB101_50
.LBB101_49:
	s_cbranch_execnz .LBB101_81
.LBB101_50:
	v_mov_b32_e32 v35, 0
	s_and_not1_b32 vcc_lo, exec_lo, s17
	s_delay_alu instid0(VALU_DEP_1)
	v_mov_b32_e32 v34, v35
	s_cbranch_vccnz .LBB101_81
; %bb.51:
	v_bfe_u32 v1, v0, 10, 10
	v_mov_b32_e32 v2, 0
	v_and_b32_e32 v90, 0x3ff, v0
	s_load_b32 s2, s[0:1], 0x44
	s_mov_b64 s[22:23], 0xffffffffffffffc3
	s_delay_alu instid0(VALU_DEP_2) | instskip(SKIP_3) | instid1(VALU_DEP_2)
	v_dual_mov_b32 v5, v2 :: v_dual_lshlrev_b32 v4, 4, v1
	v_dual_mov_b32 v21, v2 :: v_dual_lshlrev_b32 v20, 3, v1
	s_mov_b64 s[24:25], 0xffffffffffffffc4
	s_mov_b64 s[26:27], 0xffffffffffffffc5
	v_lshl_add_u64 v[4:5], s[18:19], 1, v[4:5]
	s_mov_b64 s[28:29], 0xffffffffffffffc6
	v_add_nc_u64_e32 v[8:9], s[18:19], v[20:21]
	s_mov_b64 s[30:31], 0xffffffffffffffc7
	s_mov_b64 s[34:35], 0xffffffffffffffc8
	v_add_nc_u64_e32 v[6:7], 2, v[4:5]
	v_add_nc_u64_e32 v[10:11], 4, v[4:5]
	;; [unrolled: 1-line block ×4, first 2 shown]
	v_mul_u64_e32 v[34:35], s[6:7], v[8:9]
	v_add_nc_u64_e32 v[44:45], 4, v[8:9]
	v_add_nc_u64_e32 v[16:17], 10, v[4:5]
	v_mad_nc_u64_u32 v[22:23], s6, v6, s[8:9]
	v_mul_lo_u32 v3, s6, v7
	v_mul_lo_u32 v42, s7, v6
	v_mad_nc_u64_u32 v[32:33], s6, v6, s[10:11]
	v_add_nc_u64_e32 v[6:7], 7, v[8:9]
	v_mad_nc_u64_u32 v[24:25], s6, v10, s[8:9]
	v_mul_lo_u32 v43, s6, v11
	v_mul_lo_u32 v46, s7, v10
	v_mad_nc_u64_u32 v[36:37], s6, v10, s[10:11]
	v_mad_nc_u64_u32 v[26:27], s6, v12, s[8:9]
	v_mul_lo_u32 v52, s6, v13
	v_mul_lo_u32 v53, s7, v12
	v_mad_nc_u64_u32 v[40:41], s6, v12, s[10:11]
	v_add_nc_u64_e32 v[10:11], 6, v[8:9]
	v_mul_u64_e32 v[6:7], s[6:7], v[6:7]
	v_add_nc_u64_e32 v[12:13], 5, v[8:9]
	v_mad_nc_u64_u32 v[28:29], s6, v14, s[8:9]
	v_mul_lo_u32 v54, s6, v15
	v_mul_lo_u32 v55, s7, v14
	v_add3_u32 v23, v42, v23, v3
	v_add3_u32 v25, v46, v25, v43
	;; [unrolled: 1-line block ×3, first 2 shown]
	v_mul_u64_e32 v[10:11], s[6:7], v[10:11]
	v_add3_u32 v37, v46, v37, v43
	v_mad_nc_u64_u32 v[42:43], s6, v14, s[10:11]
	v_add_nc_u64_e32 v[14:15], 3, v[8:9]
	v_add_nc_u64_e32 v[8:9], 2, v[8:9]
	v_mul_u64_e32 v[12:13], s[6:7], v[12:13]
	v_mul_u64_e32 v[62:63], s[6:7], v[44:45]
	v_add_nc_u64_e32 v[18:19], 12, v[4:5]
	v_add_nc_u64_e32 v[4:5], 14, v[4:5]
	v_mad_nc_u64_u32 v[30:31], s6, v16, s[8:9]
	v_mul_u64_e32 v[14:15], s[6:7], v[14:15]
	v_mul_u64_e32 v[8:9], s[6:7], v[8:9]
	v_mul_lo_u32 v17, s6, v17
	v_mul_lo_u32 v56, s7, v16
	v_mad_nc_u64_u32 v[44:45], s6, v16, s[10:11]
	v_mad_nc_u64_u32 v[46:47], s6, v4, s[8:9]
	v_mul_lo_u32 v3, s6, v5
	v_mul_lo_u32 v16, s7, v4
	v_mad_nc_u64_u32 v[50:51], s6, v4, s[10:11]
	v_dual_mov_b32 v5, v2 :: v_dual_add_nc_u32 v4, s3, v90
	v_add3_u32 v27, v53, v27, v52
	v_add3_u32 v41, v53, v41, v52
	v_mad_nc_u64_u32 v[38:39], s6, v18, s[8:9]
	v_lshlrev_b64_e32 v[6:7], 1, v[6:7]
	v_add3_u32 v31, v56, v31, v17
	v_add3_u32 v45, v56, v45, v17
	v_mul_lo_u32 v19, s6, v19
	v_add3_u32 v47, v16, v47, v3
	v_add3_u32 v51, v16, v51, v3
	v_lshlrev_b64_e32 v[16:17], 1, v[34:35]
	v_add_nc_u64_e32 v[58:59], s[8:9], v[6:7]
	v_add_nc_u64_e32 v[60:61], s[10:11], v[6:7]
	v_mul_lo_u32 v57, s7, v18
	v_mad_nc_u64_u32 v[48:49], s6, v18, s[10:11]
	s_mov_b32 s3, 0
	v_add3_u32 v29, v55, v29, v54
	v_lshlrev_b64_e32 v[6:7], 1, v[12:13]
	v_add_nc_u64_e32 v[12:13], s[6:7], v[34:35]
	v_mov_b32_e32 v34, 0
	v_lshlrev_b64_e32 v[52:53], 1, v[4:5]
	v_lshlrev_b64_e32 v[4:5], 1, v[10:11]
	;; [unrolled: 1-line block ×4, first 2 shown]
	v_add_nc_u64_e32 v[66:67], s[8:9], v[6:7]
	v_add_nc_u64_e32 v[68:69], s[10:11], v[6:7]
	v_lshlrev_b64_e32 v[6:7], 1, v[12:13]
	v_add3_u32 v43, v55, v43, v54
	v_add_nc_u64_e32 v[62:63], s[8:9], v[4:5]
	v_add_nc_u64_e32 v[64:65], s[10:11], v[4:5]
	v_lshlrev_b64_e32 v[4:5], 1, v[14:15]
	v_add3_u32 v39, v57, v39, v19
	v_add3_u32 v49, v57, v49, v19
	v_add_nc_u64_e32 v[54:55], s[8:9], v[16:17]
	v_add_nc_u64_e32 v[56:57], s[10:11], v[16:17]
	;; [unrolled: 1-line block ×10, first 2 shown]
	s_wait_kmcnt 0x0
	s_lshl_b32 s20, s2, 6
	s_mov_b32 s21, s3
	v_mov_b32_e32 v35, v2
	s_mul_u64 s[38:39], s[6:7], s[20:21]
	s_mov_b64 s[8:9], 0xffffffffffffffc1
	s_mov_b64 s[10:11], 0xffffffffffffffc2
	s_add_nc_u64 s[36:37], s[0:1], 64
	s_lshl_b64 s[38:39], s[38:39], 1
	s_add_nc_u64 s[40:41], s[18:19], 63
	s_branch .LBB101_55
.LBB101_52:                             ;   in Loop: Header=BB101_55 Depth=1
	s_wait_xcnt 0x0
	s_or_b32 exec_lo, exec_lo, s17
.LBB101_53:                             ;   in Loop: Header=BB101_55 Depth=1
	s_delay_alu instid0(SALU_CYCLE_1)
	s_or_b32 exec_lo, exec_lo, s2
	v_add_nc_u64_e32 v[4:5], v[54:55], v[52:53]
	v_add_nc_u64_e32 v[8:9], v[56:57], v[52:53]
	;; [unrolled: 1-line block ×5, first 2 shown]
	s_wait_loadcnt 0x1
	ds_bpermute_b32 v98, v2, v3 offset:12
	s_wait_loadcnt 0x0
	ds_bpermute_b32 v96, v2, v6 offset:8
	global_load_u16 v7, v[4:5], off
	global_load_u16 v16, v[8:9], off
	global_load_u16 v17, v[10:11], off
	s_wait_xcnt 0x2
	v_add_nc_u64_e32 v[4:5], v[36:37], v[52:53]
	s_wait_xcnt 0x1
	v_add_nc_u64_e32 v[8:9], v[26:27], v[52:53]
	global_load_u16 v18, v[12:13], off
	global_load_u16 v19, v[14:15], off
	s_wait_xcnt 0x2
	v_add_nc_u64_e32 v[10:11], v[40:41], v[52:53]
	s_wait_xcnt 0x1
	v_add_nc_u64_e32 v[12:13], v[28:29], v[52:53]
	;; [unrolled: 2-line block ×3, first 2 shown]
	global_load_u16 v34, v[4:5], off
	global_load_u16 v35, v[8:9], off
	;; [unrolled: 1-line block ×3, first 2 shown]
	s_wait_xcnt 0x2
	v_add_nc_u64_e32 v[4:5], v[30:31], v[52:53]
	global_load_u16 v89, v[12:13], off
	global_load_u16 v91, v[14:15], off
	s_wait_xcnt 0x3
	v_add_nc_u64_e32 v[8:9], v[44:45], v[52:53]
	s_wait_xcnt 0x2
	v_add_nc_u64_e32 v[10:11], v[46:47], v[52:53]
	s_wait_xcnt 0x1
	ds_bpermute_b32 v12, v2, v3 offset:4
	s_wait_xcnt 0x0
	ds_bpermute_b32 v14, v2, v3 offset:8
	global_load_u16 v13, v[4:5], off
	s_wait_xcnt 0x0
	v_add_nc_u64_e32 v[4:5], v[48:49], v[52:53]
	ds_bpermute_b32 v97, v2, v6 offset:12
	global_load_u16 v15, v[8:9], off
	s_wait_xcnt 0x0
	v_add_nc_u64_e32 v[8:9], v[38:39], v[52:53]
	ds_bpermute_b32 v99, v2, v6 offset:16
	ds_bpermute_b32 v100, v2, v3 offset:16
	;; [unrolled: 1-line block ×3, first 2 shown]
	global_load_u16 v92, v[4:5], off
	s_wait_xcnt 0x0
	v_add_nc_u64_e32 v[4:5], v[50:51], v[52:53]
	global_load_u16 v93, v[8:9], off
	global_load_u16 v94, v[4:5], off
	;; [unrolled: 1-line block ×3, first 2 shown]
	s_wait_xcnt 0x2
	ds_bpermute_b32 v9, v2, v3
	s_wait_xcnt 0x1
	ds_bpermute_b32 v5, v2, v6
	s_wait_xcnt 0x0
	ds_bpermute_b32 v11, v2, v6 offset:4
	ds_bpermute_b32 v103, v2, v6 offset:24
	;; [unrolled: 1-line block ×6, first 2 shown]
	s_wait_loadcnt 0xe
	v_dual_lshlrev_b32 v4, 16, v7 :: v_dual_lshlrev_b32 v10, 16, v16
	s_wait_loadcnt 0xc
	v_dual_lshlrev_b32 v6, 16, v17 :: v_dual_lshlrev_b32 v7, 16, v18
	s_wait_loadcnt_dscnt 0xb07
	s_delay_alu instid0(VALU_DEP_2) | instskip(SKIP_3) | instid1(VALU_DEP_3)
	v_dual_sub_f32 v9, v10, v9 :: v_dual_lshlrev_b32 v8, 16, v19
	s_wait_loadcnt 0x9
	v_dual_lshlrev_b32 v16, 16, v34 :: v_dual_lshlrev_b32 v10, 16, v35
	v_sub_f32_e32 v7, v7, v12
	v_mul_f32_e32 v9, v9, v4
	s_wait_loadcnt 0x7
	v_dual_lshlrev_b32 v17, 16, v88 :: v_dual_lshlrev_b32 v12, 16, v89
	s_wait_loadcnt 0x6
	v_dual_lshlrev_b32 v18, 16, v91 :: v_dual_sub_f32 v16, v16, v14
	s_wait_dscnt 0x6
	v_dual_mul_f32 v7, v7, v6 :: v_dual_mul_f32 v5, v9, v5
	s_wait_loadcnt 0x5
	v_dual_sub_f32 v9, v17, v98 :: v_dual_lshlrev_b32 v14, 16, v13
	s_wait_dscnt 0x5
	s_delay_alu instid0(VALU_DEP_2)
	v_dual_mul_f32 v13, v16, v8 :: v_dual_mul_f32 v7, v7, v11
	v_pk_add_f32 v[4:5], v[86:87], v[4:5]
	s_wait_loadcnt 0x4
	v_dual_lshlrev_b32 v11, 16, v15 :: v_dual_sub_f32 v15, v18, v100
	v_mul_f32_e32 v16, v9, v10
	v_mul_f32_e32 v9, v13, v96
	v_pk_add_f32 v[4:5], v[4:5], v[6:7]
	s_wait_loadcnt_dscnt 0x302
	v_dual_lshlrev_b32 v7, 16, v92 :: v_dual_sub_f32 v13, v11, v102
	v_dual_mul_f32 v15, v15, v12 :: v_dual_mul_f32 v11, v16, v97
	s_delay_alu instid0(VALU_DEP_3) | instskip(SKIP_1) | instid1(VALU_DEP_3)
	v_pk_add_f32 v[4:5], v[4:5], v[8:9]
	s_wait_loadcnt_dscnt 0x201
	v_dual_sub_f32 v7, v7, v104 :: v_dual_lshlrev_b32 v6, 16, v93
	s_delay_alu instid0(VALU_DEP_3) | instskip(NEXT) | instid1(VALU_DEP_3)
	v_dual_mul_f32 v9, v13, v14 :: v_dual_mul_f32 v13, v15, v99
	v_pk_add_f32 v[4:5], v[4:5], v[10:11]
	s_wait_loadcnt 0x0
	v_dual_lshlrev_b32 v10, 16, v94 :: v_dual_lshlrev_b32 v8, 16, v95
	s_delay_alu instid0(VALU_DEP_3) | instskip(NEXT) | instid1(VALU_DEP_3)
	v_dual_mul_f32 v7, v7, v6 :: v_dual_mul_f32 v15, v9, v101
	v_pk_add_f32 v[4:5], v[4:5], v[12:13]
	s_wait_dscnt 0x0
	s_delay_alu instid0(VALU_DEP_3) | instskip(NEXT) | instid1(VALU_DEP_3)
	v_sub_f32_e32 v3, v10, v3
	v_mul_f32_e32 v7, v7, v103
	s_delay_alu instid0(VALU_DEP_3) | instskip(NEXT) | instid1(VALU_DEP_3)
	v_pk_add_f32 v[4:5], v[4:5], v[14:15]
	v_mul_f32_e32 v3, v3, v8
	s_delay_alu instid0(VALU_DEP_2) | instskip(NEXT) | instid1(VALU_DEP_2)
	v_pk_add_f32 v[4:5], v[4:5], v[6:7]
	v_mul_f32_e32 v9, v3, v105
	s_delay_alu instid0(VALU_DEP_1)
	v_pk_add_f32 v[34:35], v[4:5], v[8:9]
.LBB101_54:                             ;   in Loop: Header=BB101_55 Depth=1
	s_add_nc_u64 s[18:19], s[18:19], s[20:21]
	v_add_nc_u64_e32 v[54:55], s[38:39], v[54:55]
	v_cmp_ge_i64_e64 s2, s[18:19], s[4:5]
	v_add_nc_u64_e32 v[56:57], s[38:39], v[56:57]
	v_add_nc_u64_e32 v[22:23], s[38:39], v[22:23]
	;; [unrolled: 1-line block ×29, first 2 shown]
	s_and_b32 vcc_lo, exec_lo, s2
	s_add_nc_u64 s[40:41], s[40:41], s[20:21]
	s_cbranch_vccnz .LBB101_81
.LBB101_55:                             ; =>This Inner Loop Header: Depth=1
	v_cmp_ge_i64_e64 s2, s[40:41], s[4:5]
	v_add_nc_u64_e32 v[88:89], s[40:41], v[20:21]
	v_dual_mov_b32 v86, v34 :: v_dual_mov_b32 v87, v35
                                        ; implicit-def: $vgpr35
	s_and_b32 vcc_lo, exec_lo, s2
	s_mov_b32 s2, -1
	s_cbranch_vccz .LBB101_77
; %bb.56:                               ;   in Loop: Header=BB101_55 Depth=1
	s_load_b32 s2, s[36:37], 0xc
	v_dual_mov_b32 v35, 0 :: v_dual_mov_b32 v34, 0
	s_wait_kmcnt 0x0
	s_and_b32 s2, s2, 0xffff
	s_delay_alu instid0(SALU_CYCLE_1) | instskip(SKIP_1) | instid1(VALU_DEP_1)
	v_mad_u32_u24 v3, v1, s2, v90
	s_mov_b32 s2, exec_lo
	v_and_b32_e32 v4, 31, v3
	s_delay_alu instid0(VALU_DEP_1)
	v_cmpx_gt_u32_e32 8, v4
	s_cbranch_execz .LBB101_60
; %bb.57:                               ;   in Loop: Header=BB101_55 Depth=1
	v_dual_mov_b32 v5, v2 :: v_dual_mov_b32 v35, 0
	v_mov_b32_e32 v34, 0
	s_mov_b32 s17, exec_lo
	s_delay_alu instid0(VALU_DEP_2) | instskip(NEXT) | instid1(VALU_DEP_1)
	v_add_nc_u64_e32 v[4:5], v[88:89], v[4:5]
	v_add_nc_u64_e32 v[4:5], s[8:9], v[4:5]
	s_delay_alu instid0(VALU_DEP_1)
	v_cmpx_gt_i64_e64 s[4:5], v[4:5]
	s_cbranch_execz .LBB101_59
; %bb.58:                               ;   in Loop: Header=BB101_55 Depth=1
	v_lshlrev_b64_e32 v[4:5], 2, v[4:5]
	s_delay_alu instid0(VALU_DEP_1)
	v_add_nc_u64_e32 v[6:7], s[12:13], v[4:5]
	v_add_nc_u64_e32 v[4:5], s[14:15], v[4:5]
	global_load_b32 v35, v[6:7], off
	global_load_b32 v34, v[4:5], off
.LBB101_59:                             ;   in Loop: Header=BB101_55 Depth=1
	s_wait_xcnt 0x0
	s_or_b32 exec_lo, exec_lo, s17
.LBB101_60:                             ;   in Loop: Header=BB101_55 Depth=1
	s_delay_alu instid0(SALU_CYCLE_1)
	s_or_b32 exec_lo, exec_lo, s2
	v_add_nc_u64_e32 v[10:11], s[8:9], v[88:89]
	v_dual_mov_b32 v7, v2 :: v_dual_mov_b32 v8, v2
	v_dual_mov_b32 v9, v2 :: v_dual_mov_b32 v3, v2
	;; [unrolled: 1-line block ×3, first 2 shown]
	v_mov_b32_e32 v6, v2
	s_delay_alu instid0(VALU_DEP_3)
	v_mov_b64_e32 v[18:19], v[8:9]
	v_cmp_gt_i64_e32 vcc_lo, s[4:5], v[10:11]
	v_mov_b64_e32 v[12:13], v[2:3]
	v_mov_b64_e32 v[14:15], v[4:5]
	;; [unrolled: 1-line block ×7, first 2 shown]
	s_and_saveexec_b32 s2, vcc_lo
	s_cbranch_execz .LBB101_62
; %bb.61:                               ;   in Loop: Header=BB101_55 Depth=1
	v_add_nc_u64_e32 v[4:5], v[54:55], v[52:53]
	v_add_nc_u64_e32 v[6:7], v[56:57], v[52:53]
	v_dual_mov_b32 v9, v2 :: v_dual_mov_b32 v10, v2
	v_dual_mov_b32 v11, v2 :: v_dual_mov_b32 v13, v2
	;; [unrolled: 1-line block ×3, first 2 shown]
	global_load_u16 v3, v[4:5], off
	global_load_u16 v12, v[6:7], off
	s_wait_xcnt 0x0
	v_dual_mov_b32 v5, v2 :: v_dual_mov_b32 v6, v2
	v_dual_mov_b32 v7, v2 :: v_dual_mov_b32 v8, v2
	;; [unrolled: 1-line block ×4, first 2 shown]
	s_wait_loadcnt 0x0
	v_dual_lshlrev_b32 v4, 16, v3 :: v_dual_lshlrev_b32 v12, 16, v12
.LBB101_62:                             ;   in Loop: Header=BB101_55 Depth=1
	s_or_b32 exec_lo, exec_lo, s2
	v_add_nc_u64_e32 v[92:93], s[10:11], v[88:89]
	s_mov_b32 s2, exec_lo
	s_delay_alu instid0(VALU_DEP_1)
	v_cmpx_gt_i64_e64 s[4:5], v[92:93]
	s_cbranch_execz .LBB101_64
; %bb.63:                               ;   in Loop: Header=BB101_55 Depth=1
	v_add_nc_u64_e32 v[92:93], v[82:83], v[52:53]
	v_add_nc_u64_e32 v[94:95], v[84:85], v[52:53]
	global_load_u16 v3, v[92:93], off
	global_load_u16 v13, v[94:95], off
	s_wait_loadcnt 0x0
	v_dual_lshlrev_b32 v5, 16, v3 :: v_dual_lshlrev_b32 v13, 16, v13
.LBB101_64:                             ;   in Loop: Header=BB101_55 Depth=1
	s_or_b32 exec_lo, exec_lo, s2
	v_add_nc_u64_e32 v[92:93], s[22:23], v[88:89]
	s_mov_b32 s2, exec_lo
	s_delay_alu instid0(VALU_DEP_1)
	v_cmpx_gt_i64_e64 s[4:5], v[92:93]
	s_cbranch_execz .LBB101_66
; %bb.65:                               ;   in Loop: Header=BB101_55 Depth=1
	v_add_nc_u64_e32 v[92:93], v[78:79], v[52:53]
	v_add_nc_u64_e32 v[94:95], v[80:81], v[52:53]
	global_load_u16 v3, v[92:93], off
	global_load_u16 v14, v[94:95], off
	s_wait_loadcnt 0x0
	v_dual_lshlrev_b32 v6, 16, v3 :: v_dual_lshlrev_b32 v14, 16, v14
.LBB101_66:                             ;   in Loop: Header=BB101_55 Depth=1
	s_or_b32 exec_lo, exec_lo, s2
	v_add_nc_u64_e32 v[92:93], s[24:25], v[88:89]
	s_mov_b32 s2, exec_lo
	s_delay_alu instid0(VALU_DEP_1)
	v_cmpx_gt_i64_e64 s[4:5], v[92:93]
	s_cbranch_execz .LBB101_68
; %bb.67:                               ;   in Loop: Header=BB101_55 Depth=1
	v_add_nc_u64_e32 v[92:93], v[74:75], v[52:53]
	v_add_nc_u64_e32 v[94:95], v[76:77], v[52:53]
	global_load_u16 v3, v[92:93], off
	global_load_u16 v15, v[94:95], off
	s_wait_loadcnt 0x1
	v_lshlrev_b32_e32 v7, 16, v3
	s_wait_loadcnt 0x0
	v_lshlrev_b32_e32 v15, 16, v15
.LBB101_68:                             ;   in Loop: Header=BB101_55 Depth=1
	s_or_b32 exec_lo, exec_lo, s2
	v_add_nc_u64_e32 v[92:93], s[26:27], v[88:89]
	s_mov_b32 s2, exec_lo
	s_delay_alu instid0(VALU_DEP_1)
	v_cmpx_gt_i64_e64 s[4:5], v[92:93]
	s_cbranch_execz .LBB101_70
; %bb.69:                               ;   in Loop: Header=BB101_55 Depth=1
	v_add_nc_u64_e32 v[92:93], v[70:71], v[52:53]
	v_add_nc_u64_e32 v[94:95], v[72:73], v[52:53]
	global_load_u16 v3, v[92:93], off
	global_load_u16 v16, v[94:95], off
	s_wait_loadcnt 0x0
	v_dual_lshlrev_b32 v8, 16, v3 :: v_dual_lshlrev_b32 v16, 16, v16
.LBB101_70:                             ;   in Loop: Header=BB101_55 Depth=1
	s_or_b32 exec_lo, exec_lo, s2
	v_add_nc_u64_e32 v[92:93], s[28:29], v[88:89]
	s_mov_b32 s2, exec_lo
	s_delay_alu instid0(VALU_DEP_1)
	v_cmpx_gt_i64_e64 s[4:5], v[92:93]
	s_cbranch_execz .LBB101_72
; %bb.71:                               ;   in Loop: Header=BB101_55 Depth=1
	v_add_nc_u64_e32 v[92:93], v[66:67], v[52:53]
	v_add_nc_u64_e32 v[94:95], v[68:69], v[52:53]
	global_load_u16 v3, v[92:93], off
	global_load_u16 v17, v[94:95], off
	s_wait_loadcnt 0x0
	v_dual_lshlrev_b32 v9, 16, v3 :: v_dual_lshlrev_b32 v17, 16, v17
.LBB101_72:                             ;   in Loop: Header=BB101_55 Depth=1
	;; [unrolled: 14-line block ×3, first 2 shown]
	s_or_b32 exec_lo, exec_lo, s2
	v_add_nc_u64_e32 v[92:93], s[34:35], v[88:89]
	s_mov_b32 s2, exec_lo
	s_delay_alu instid0(VALU_DEP_1)
	v_cmpx_gt_i64_e64 s[4:5], v[92:93]
	s_cbranch_execz .LBB101_76
; %bb.75:                               ;   in Loop: Header=BB101_55 Depth=1
	v_add_nc_u64_e32 v[92:93], v[58:59], v[52:53]
	v_add_nc_u64_e32 v[94:95], v[60:61], v[52:53]
	global_load_u16 v3, v[92:93], off
	global_load_u16 v19, v[94:95], off
	s_wait_loadcnt 0x1
	v_lshlrev_b32_e32 v11, 16, v3
	s_wait_loadcnt 0x0
	v_lshlrev_b32_e32 v19, 16, v19
.LBB101_76:                             ;   in Loop: Header=BB101_55 Depth=1
	s_or_b32 exec_lo, exec_lo, s2
	s_wait_loadcnt 0x1
	ds_bpermute_b32 v3, v2, v35
	ds_bpermute_b32 v91, v2, v35 offset:4
	ds_bpermute_b32 v93, v2, v35 offset:8
	s_wait_loadcnt 0x0
	ds_bpermute_b32 v94, v2, v34
	ds_bpermute_b32 v95, v2, v35 offset:12
	ds_bpermute_b32 v96, v2, v34 offset:4
	;; [unrolled: 1-line block ×10, first 2 shown]
	s_mov_b32 s2, 0
	s_wait_dscnt 0xd
	v_dual_mov_b32 v92, v6 :: v_dual_sub_f32 v3, v12, v3
	s_wait_dscnt 0xc
	v_dual_mov_b32 v12, v4 :: v_dual_sub_f32 v13, v13, v91
	s_wait_dscnt 0x9
	v_sub_f32_e32 v15, v15, v95
	v_dual_mul_f32 v3, v4, v3 :: v_dual_mov_b32 v4, v5
	v_sub_f32_e32 v14, v14, v93
	s_wait_dscnt 0x6
	v_dual_mul_f32 v5, v5, v13 :: v_dual_sub_f32 v16, v16, v100
	s_delay_alu instid0(VALU_DEP_3) | instskip(SKIP_4) | instid1(VALU_DEP_3)
	v_mul_f32_e32 v13, v3, v94
	ds_bpermute_b32 v3, v2, v35 offset:28
	v_dual_mul_f32 v14, v6, v14 :: v_dual_mul_f32 v5, v5, v96
	v_mov_b32_e32 v6, v7
	v_pk_add_f32 v[12:13], v[86:87], v[12:13]
	v_dual_mul_f32 v7, v7, v15 :: v_dual_mul_f32 v93, v14, v97
	ds_bpermute_b32 v14, v2, v34 offset:28
	v_mul_f32_e32 v15, v8, v16
	v_pk_add_f32 v[4:5], v[4:5], v[12:13]
	s_wait_dscnt 0x6
	v_sub_f32_e32 v13, v17, v102
	v_dual_mul_f32 v7, v7, v98 :: v_dual_mov_b32 v12, v8
	s_wait_dscnt 0x4
	v_sub_f32_e32 v8, v18, v104
	v_pk_add_f32 v[4:5], v[92:93], v[4:5]
	v_dual_mul_f32 v16, v9, v13 :: v_dual_mul_f32 v13, v15, v99
	s_delay_alu instid0(VALU_DEP_2) | instskip(SKIP_2) | instid1(VALU_DEP_3)
	v_pk_add_f32 v[4:5], v[6:7], v[4:5]
	s_wait_dscnt 0x1
	v_dual_mov_b32 v6, v9 :: v_dual_sub_f32 v3, v19, v3
	v_dual_mul_f32 v9, v10, v8 :: v_dual_mul_f32 v7, v16, v101
	v_mov_b32_e32 v8, v10
	v_pk_add_f32 v[4:5], v[12:13], v[4:5]
	s_delay_alu instid0(VALU_DEP_4) | instskip(NEXT) | instid1(VALU_DEP_2)
	v_mul_f32_e32 v3, v11, v3
	v_pk_add_f32 v[4:5], v[6:7], v[4:5]
	v_dual_mov_b32 v6, v11 :: v_dual_mul_f32 v9, v9, v103
	s_wait_dscnt 0x0
	s_delay_alu instid0(VALU_DEP_3) | instskip(NEXT) | instid1(VALU_DEP_2)
	v_mul_f32_e32 v7, v3, v14
	v_pk_add_f32 v[4:5], v[8:9], v[4:5]
	s_delay_alu instid0(VALU_DEP_1)
	v_pk_add_f32 v[34:35], v[6:7], v[4:5]
.LBB101_77:                             ;   in Loop: Header=BB101_55 Depth=1
	s_and_b32 vcc_lo, exec_lo, s2
	s_cbranch_vccz .LBB101_54
; %bb.78:                               ;   in Loop: Header=BB101_55 Depth=1
	s_load_b32 s2, s[36:37], 0x0
	v_mov_b32_e32 v6, 0
	s_wait_kmcnt 0x0
	s_cmp_lt_u32 s16, s2
	s_cselect_b32 s2, 12, 18
	s_delay_alu instid0(SALU_CYCLE_1) | instskip(SKIP_4) | instid1(VALU_DEP_1)
	s_add_nc_u64 s[42:43], s[36:37], s[2:3]
	s_load_u16 s2, s[42:43], 0x0
	s_wait_kmcnt 0x0
	v_mad_u32_u24 v3, v1, s2, v90
	s_mov_b32 s2, exec_lo
	v_dual_mov_b32 v3, 0 :: v_dual_bitop2_b32 v4, 31, v3 bitop3:0x40
	s_delay_alu instid0(VALU_DEP_1)
	v_cmpx_gt_u32_e32 8, v4
	s_cbranch_execz .LBB101_53
; %bb.79:                               ;   in Loop: Header=BB101_55 Depth=1
	v_dual_mov_b32 v5, v2 :: v_dual_mov_b32 v3, 0
	v_mov_b32_e32 v6, 0
	s_mov_b32 s17, exec_lo
	s_delay_alu instid0(VALU_DEP_2) | instskip(NEXT) | instid1(VALU_DEP_1)
	v_add_nc_u64_e32 v[4:5], v[88:89], v[4:5]
	v_add_nc_u64_e32 v[4:5], s[8:9], v[4:5]
	s_delay_alu instid0(VALU_DEP_1)
	v_cmpx_gt_i64_e64 s[4:5], v[4:5]
	s_cbranch_execz .LBB101_52
; %bb.80:                               ;   in Loop: Header=BB101_55 Depth=1
	v_lshlrev_b64_e32 v[4:5], 2, v[4:5]
	s_delay_alu instid0(VALU_DEP_1)
	v_add_nc_u64_e32 v[8:9], s[12:13], v[4:5]
	v_add_nc_u64_e32 v[4:5], s[14:15], v[4:5]
	global_load_b32 v3, v[8:9], off
	global_load_b32 v6, v[4:5], off
	s_branch .LBB101_52
.LBB101_81:
	v_and_b32_e32 v1, 0x3ff, v0
	v_bfe_u32 v0, v0, 10, 10
	s_mov_b32 s2, exec_lo
	s_delay_alu instid0(VALU_DEP_1) | instskip(NEXT) | instid1(VALU_DEP_1)
	v_mad_u32_u24 v2, 0x41, v0, v1
	v_lshl_add_u32 v3, v2, 2, 0
	v_sub_nc_u32_e32 v6, v2, v0
	ds_store_b32 v3, v35
	ds_store_b32 v3, v34 offset:2080
	s_wait_dscnt 0x0
	s_barrier_signal -1
	s_barrier_wait -1
	v_cmpx_gt_u32_e32 0x800, v6
	s_cbranch_execz .LBB101_113
; %bb.82:
	s_load_b128 s[8:11], s[0:1], 0x30
	v_dual_lshrrev_b32 v0, 5, v6 :: v_dual_bitop2_b32 v2, 31, v1 bitop3:0x40
	s_delay_alu instid0(VALU_DEP_1)
	v_cmp_lt_u32_e64 s2, 7, v2
	s_wait_xcnt 0x0
	v_cmp_gt_u32_e64 s0, 8, v2
	v_mul_u32_u24_e32 v7, 0x41, v2
                                        ; implicit-def: $vgpr2
	s_and_saveexec_b32 s1, s0
	s_cbranch_execz .LBB101_84
; %bb.83:
	s_delay_alu instid0(VALU_DEP_1) | instskip(NEXT) | instid1(VALU_DEP_1)
	v_add_nc_u32_e32 v2, v0, v7
	v_lshl_add_u32 v2, v2, 2, 0
	ds_load_b32 v3, v2
	ds_load_b32 v2, v2 offset:2080
.LBB101_84:
	s_or_b32 exec_lo, exec_lo, s1
	v_mbcnt_lo_u32_b32 v10, -1, 0
	s_mov_b32 s17, 0
	v_cmp_eq_u32_e64 s1, 0, v1
	s_lshl_b64 s[4:5], s[16:17], 6
	s_wait_kmcnt 0x0
	s_cmp_lg_u64 s[8:9], 0
	v_xor_b32_e32 v9, 2, v10
	v_xor_b32_e32 v4, 4, v10
	s_cselect_b32 s12, -1, 0
	s_cmp_lg_u64 s[10:11], 0
	v_xor_b32_e32 v11, 1, v10
	s_cselect_b32 s3, -1, 0
	v_cmp_gt_i32_e32 vcc_lo, 32, v4
	v_dual_mov_b32 v1, 0 :: v_dual_cndmask_b32 v4, v10, v4
	v_cmp_gt_i32_e32 vcc_lo, 32, v9
	v_cndmask_b32_e32 v9, v10, v9, vcc_lo
	v_cmp_gt_i32_e32 vcc_lo, 32, v11
	s_delay_alu instid0(VALU_DEP_2)
	v_dual_lshlrev_b32 v9, 2, v9 :: v_dual_lshlrev_b32 v8, 2, v4
	v_cndmask_b32_e32 v10, v10, v11, vcc_lo
	s_wait_dscnt 0x1
	ds_bpermute_b32 v5, v8, v3
	s_wait_dscnt 0x1
	ds_bpermute_b32 v4, v8, v2
	v_lshlrev_b32_e32 v10, 2, v10
	s_wait_dscnt 0x0
	v_pk_add_f32 v[2:3], v[2:3], v[4:5]
	ds_bpermute_b32 v5, v9, v3
	ds_bpermute_b32 v4, v9, v2
	s_wait_dscnt 0x0
	v_pk_add_f32 v[2:3], v[2:3], v[4:5]
	v_dual_mov_b32 v5, s5 :: v_dual_bitop2_b32 v4, s4, v0 bitop3:0x54
	ds_bpermute_b32 v13, v10, v3
	ds_bpermute_b32 v12, v10, v2
	v_cmp_gt_i64_e32 vcc_lo, s[6:7], v[4:5]
	s_and_b32 s14, s1, vcc_lo
	s_wait_dscnt 0x0
	v_pk_add_f32 v[2:3], v[2:3], v[12:13]
	s_and_saveexec_b32 s13, s14
	s_cbranch_execz .LBB101_89
; %bb.85:
	s_and_not1_b32 vcc_lo, exec_lo, s12
	s_cbranch_vccnz .LBB101_87
; %bb.86:
	v_bfe_u32 v11, v3, 16, 1
	v_cmp_o_f32_e32 vcc_lo, v3, v3
	v_lshl_add_u64 v[12:13], v[4:5], 1, s[8:9]
	s_delay_alu instid0(VALU_DEP_3) | instskip(NEXT) | instid1(VALU_DEP_1)
	v_add3_u32 v11, v3, v11, 0x7fff
	v_lshrrev_b32_e32 v11, 16, v11
	s_delay_alu instid0(VALU_DEP_1)
	v_cndmask_b32_e32 v11, 0x7fc0, v11, vcc_lo
	global_store_b16 v[12:13], v11, off
.LBB101_87:
	s_and_not1_b32 vcc_lo, exec_lo, s3
	s_cbranch_vccnz .LBB101_89
; %bb.88:
	s_wait_xcnt 0x0
	v_bfe_u32 v11, v2, 16, 1
	v_cmp_o_f32_e32 vcc_lo, v2, v2
	v_lshl_add_u64 v[4:5], v[4:5], 1, s[10:11]
	s_delay_alu instid0(VALU_DEP_3) | instskip(NEXT) | instid1(VALU_DEP_1)
	v_add3_u32 v11, v2, v11, 0x7fff
	v_lshrrev_b32_e32 v11, 16, v11
	s_delay_alu instid0(VALU_DEP_1)
	v_cndmask_b32_e32 v11, 0x7fc0, v11, vcc_lo
	global_store_b16 v[4:5], v11, off
.LBB101_89:
	s_wait_xcnt 0x0
	s_or_b32 exec_lo, exec_lo, s13
	v_cmp_gt_u32_e32 vcc_lo, 0x600, v6
	s_and_b32 exec_lo, exec_lo, vcc_lo
	s_cbranch_execz .LBB101_113
; %bb.90:
	s_and_saveexec_b32 s13, s2
	s_delay_alu instid0(SALU_CYCLE_1) | instskip(NEXT) | instid1(SALU_CYCLE_1)
	s_xor_b32 s13, exec_lo, s13
	s_and_not1_saveexec_b32 s13, s13
	s_cbranch_execz .LBB101_92
; %bb.91:
	v_add_nc_u32_e32 v2, v0, v7
	s_delay_alu instid0(VALU_DEP_1)
	v_lshl_add_u32 v2, v2, 2, 0
	ds_load_b32 v3, v2 offset:64
	ds_load_b32 v2, v2 offset:2144
.LBB101_92:
	s_or_b32 exec_lo, exec_lo, s13
	s_wait_dscnt 0x1
	ds_bpermute_b32 v5, v8, v3
	s_wait_dscnt 0x1
	ds_bpermute_b32 v4, v8, v2
	v_dual_mov_b32 v13, 0 :: v_dual_add_nc_u32 v12, 16, v0
	s_delay_alu instid0(VALU_DEP_1) | instskip(NEXT) | instid1(VALU_DEP_1)
	v_add_nc_u64_e32 v[12:13], s[4:5], v[12:13]
	v_cmp_gt_i64_e32 vcc_lo, s[6:7], v[12:13]
	s_wait_dscnt 0x0
	v_pk_add_f32 v[2:3], v[2:3], v[4:5]
	s_and_b32 s14, s1, vcc_lo
	ds_bpermute_b32 v5, v9, v3
	ds_bpermute_b32 v4, v9, v2
	s_wait_dscnt 0x0
	v_pk_add_f32 v[2:3], v[2:3], v[4:5]
	ds_bpermute_b32 v5, v10, v3
	ds_bpermute_b32 v4, v10, v2
	s_wait_dscnt 0x0
	v_pk_add_f32 v[2:3], v[2:3], v[4:5]
	s_and_saveexec_b32 s13, s14
	s_cbranch_execz .LBB101_97
; %bb.93:
	s_and_not1_b32 vcc_lo, exec_lo, s12
	s_cbranch_vccnz .LBB101_95
; %bb.94:
	v_bfe_u32 v4, v3, 16, 1
	v_cmp_o_f32_e32 vcc_lo, v3, v3
	s_delay_alu instid0(VALU_DEP_2) | instskip(SKIP_1) | instid1(VALU_DEP_2)
	v_add3_u32 v11, v3, v4, 0x7fff
	v_add_nc_u64_e32 v[4:5], s[4:5], v[0:1]
	v_lshrrev_b32_e32 v11, 16, v11
	s_delay_alu instid0(VALU_DEP_2) | instskip(NEXT) | instid1(VALU_DEP_2)
	v_lshl_add_u64 v[4:5], v[4:5], 1, s[8:9]
	v_cndmask_b32_e32 v11, 0x7fc0, v11, vcc_lo
	global_store_b16 v[4:5], v11, off offset:32
.LBB101_95:
	s_and_not1_b32 vcc_lo, exec_lo, s3
	s_cbranch_vccnz .LBB101_97
; %bb.96:
	s_wait_xcnt 0x0
	v_bfe_u32 v4, v2, 16, 1
	v_cmp_o_f32_e32 vcc_lo, v2, v2
	s_delay_alu instid0(VALU_DEP_2) | instskip(SKIP_1) | instid1(VALU_DEP_2)
	v_add3_u32 v11, v2, v4, 0x7fff
	v_add_nc_u64_e32 v[4:5], s[4:5], v[0:1]
	v_lshrrev_b32_e32 v11, 16, v11
	s_delay_alu instid0(VALU_DEP_2) | instskip(NEXT) | instid1(VALU_DEP_2)
	v_lshl_add_u64 v[4:5], v[4:5], 1, s[10:11]
	v_cndmask_b32_e32 v11, 0x7fc0, v11, vcc_lo
	global_store_b16 v[4:5], v11, off offset:32
.LBB101_97:
	s_wait_xcnt 0x0
	s_or_b32 exec_lo, exec_lo, s13
	v_cmp_gt_u32_e32 vcc_lo, 0x400, v6
	s_and_b32 exec_lo, exec_lo, vcc_lo
	s_cbranch_execz .LBB101_113
; %bb.98:
	s_and_saveexec_b32 s13, s2
	s_delay_alu instid0(SALU_CYCLE_1) | instskip(NEXT) | instid1(SALU_CYCLE_1)
	s_xor_b32 s2, exec_lo, s13
	s_and_not1_saveexec_b32 s2, s2
	s_cbranch_execz .LBB101_100
; %bb.99:
	v_add_nc_u32_e32 v2, v0, v7
	s_delay_alu instid0(VALU_DEP_1)
	v_lshl_add_u32 v2, v2, 2, 0
	ds_load_b32 v3, v2 offset:128
	ds_load_b32 v2, v2 offset:2208
.LBB101_100:
	s_or_b32 exec_lo, exec_lo, s2
	s_wait_dscnt 0x1
	ds_bpermute_b32 v5, v8, v3
	s_wait_dscnt 0x1
	ds_bpermute_b32 v4, v8, v2
	v_dual_add_nc_u32 v11, 32, v0 :: v_dual_mov_b32 v13, s5
	s_delay_alu instid0(VALU_DEP_1) | instskip(NEXT) | instid1(VALU_DEP_1)
	v_or_b32_e32 v12, s4, v11
	v_cmp_gt_i64_e32 vcc_lo, s[6:7], v[12:13]
	s_and_b32 s13, s1, vcc_lo
	s_wait_dscnt 0x0
	v_pk_add_f32 v[2:3], v[2:3], v[4:5]
	ds_bpermute_b32 v5, v9, v3
	ds_bpermute_b32 v4, v9, v2
	s_wait_dscnt 0x0
	v_pk_add_f32 v[2:3], v[2:3], v[4:5]
	ds_bpermute_b32 v5, v10, v3
	ds_bpermute_b32 v4, v10, v2
	s_wait_dscnt 0x0
	v_pk_add_f32 v[2:3], v[2:3], v[4:5]
	s_and_saveexec_b32 s2, s13
	s_cbranch_execz .LBB101_105
; %bb.101:
	s_and_not1_b32 vcc_lo, exec_lo, s12
	s_cbranch_vccnz .LBB101_103
; %bb.102:
	v_bfe_u32 v4, v3, 16, 1
	v_cmp_o_f32_e32 vcc_lo, v3, v3
	s_delay_alu instid0(VALU_DEP_2) | instskip(SKIP_1) | instid1(VALU_DEP_2)
	v_add3_u32 v11, v3, v4, 0x7fff
	v_add_nc_u64_e32 v[4:5], s[4:5], v[0:1]
	v_lshrrev_b32_e32 v11, 16, v11
	s_delay_alu instid0(VALU_DEP_2) | instskip(NEXT) | instid1(VALU_DEP_2)
	v_lshl_add_u64 v[4:5], v[4:5], 1, s[8:9]
	v_cndmask_b32_e32 v11, 0x7fc0, v11, vcc_lo
	global_store_b16 v[4:5], v11, off offset:64
.LBB101_103:
	s_and_not1_b32 vcc_lo, exec_lo, s3
	s_cbranch_vccnz .LBB101_105
; %bb.104:
	s_wait_xcnt 0x0
	v_bfe_u32 v4, v2, 16, 1
	v_cmp_o_f32_e32 vcc_lo, v2, v2
	s_delay_alu instid0(VALU_DEP_2) | instskip(SKIP_1) | instid1(VALU_DEP_2)
	v_add3_u32 v11, v2, v4, 0x7fff
	v_add_nc_u64_e32 v[4:5], s[4:5], v[0:1]
	v_lshrrev_b32_e32 v11, 16, v11
	s_delay_alu instid0(VALU_DEP_2) | instskip(NEXT) | instid1(VALU_DEP_2)
	v_lshl_add_u64 v[4:5], v[4:5], 1, s[10:11]
	v_cndmask_b32_e32 v11, 0x7fc0, v11, vcc_lo
	global_store_b16 v[4:5], v11, off offset:64
.LBB101_105:
	s_wait_xcnt 0x0
	s_or_b32 exec_lo, exec_lo, s2
	v_cmp_gt_u32_e32 vcc_lo, 0x200, v6
	s_and_b32 exec_lo, exec_lo, vcc_lo
	s_cbranch_execz .LBB101_113
; %bb.106:
	s_and_saveexec_b32 s2, s0
	s_cbranch_execz .LBB101_108
; %bb.107:
	v_add_nc_u32_e32 v2, v0, v7
	s_delay_alu instid0(VALU_DEP_1)
	v_lshl_add_u32 v2, v2, 2, 0
	ds_load_b32 v3, v2 offset:192
	ds_load_b32 v2, v2 offset:2272
.LBB101_108:
	s_or_b32 exec_lo, exec_lo, s2
	s_wait_dscnt 0x1
	ds_bpermute_b32 v4, v8, v3
	s_wait_dscnt 0x1
	ds_bpermute_b32 v5, v8, v2
	v_dual_mov_b32 v7, s5 :: v_dual_add_nc_u32 v6, 48, v0
	s_delay_alu instid0(VALU_DEP_1) | instskip(NEXT) | instid1(VALU_DEP_1)
	v_or_b32_e32 v6, s4, v6
	v_cmp_gt_i64_e32 vcc_lo, s[6:7], v[6:7]
	s_and_b32 s0, s1, vcc_lo
	s_wait_dscnt 0x0
	v_dual_add_f32 v3, v3, v4 :: v_dual_add_f32 v2, v2, v5
	ds_bpermute_b32 v4, v9, v3
	ds_bpermute_b32 v5, v9, v2
	s_wait_dscnt 0x0
	v_dual_add_f32 v4, v3, v4 :: v_dual_add_f32 v2, v2, v5
	ds_bpermute_b32 v5, v10, v4
	ds_bpermute_b32 v3, v10, v2
	s_and_b32 exec_lo, exec_lo, s0
	s_cbranch_execz .LBB101_113
; %bb.109:
	v_add_nc_u64_e32 v[0:1], s[4:5], v[0:1]
	s_and_not1_b32 vcc_lo, exec_lo, s12
	s_cbranch_vccnz .LBB101_111
; %bb.110:
	s_wait_dscnt 0x1
	v_add_f32_e32 v4, v4, v5
	s_delay_alu instid0(VALU_DEP_1) | instskip(NEXT) | instid1(VALU_DEP_1)
	v_bfe_u32 v5, v4, 16, 1
	v_add3_u32 v5, v4, v5, 0x7fff
	s_delay_alu instid0(VALU_DEP_1) | instskip(SKIP_1) | instid1(VALU_DEP_2)
	v_lshrrev_b32_e32 v5, 16, v5
	v_cmp_o_f32_e32 vcc_lo, v4, v4
	v_cndmask_b32_e32 v6, 0x7fc0, v5, vcc_lo
	v_lshl_add_u64 v[4:5], v[0:1], 1, s[8:9]
	global_store_b16 v[4:5], v6, off offset:96
.LBB101_111:
	s_and_not1_b32 vcc_lo, exec_lo, s3
	s_cbranch_vccnz .LBB101_113
; %bb.112:
	s_wait_dscnt 0x0
	v_add_f32_e32 v2, v2, v3
	v_lshl_add_u64 v[0:1], v[0:1], 1, s[10:11]
	s_delay_alu instid0(VALU_DEP_2) | instskip(NEXT) | instid1(VALU_DEP_1)
	v_bfe_u32 v3, v2, 16, 1
	v_add3_u32 v3, v2, v3, 0x7fff
	s_delay_alu instid0(VALU_DEP_1) | instskip(SKIP_1) | instid1(VALU_DEP_2)
	v_lshrrev_b32_e32 v3, 16, v3
	v_cmp_o_f32_e32 vcc_lo, v2, v2
	v_cndmask_b32_e32 v2, 0x7fc0, v3, vcc_lo
	global_store_b16 v[0:1], v2, off offset:96
.LBB101_113:
	s_sendmsg sendmsg(MSG_DEALLOC_VGPRS)
	s_endpgm
	.section	.rodata,"a",@progbits
	.p2align	6, 0x0
	.amdhsa_kernel _ZN2at6native12_GLOBAL__N_135GammaBetaBackwardCUDAKernelTemplateIN3c108BFloat16EfLj64ELj8ELj64ELb0ELb0ELb0EEEvllPKT_S7_PKT0_SA_PS5_SB_
		.amdhsa_group_segment_fixed_size 0
		.amdhsa_private_segment_fixed_size 0
		.amdhsa_kernarg_size 320
		.amdhsa_user_sgpr_count 2
		.amdhsa_user_sgpr_dispatch_ptr 0
		.amdhsa_user_sgpr_queue_ptr 0
		.amdhsa_user_sgpr_kernarg_segment_ptr 1
		.amdhsa_user_sgpr_dispatch_id 0
		.amdhsa_user_sgpr_kernarg_preload_length 0
		.amdhsa_user_sgpr_kernarg_preload_offset 0
		.amdhsa_user_sgpr_private_segment_size 0
		.amdhsa_wavefront_size32 1
		.amdhsa_uses_dynamic_stack 0
		.amdhsa_enable_private_segment 0
		.amdhsa_system_sgpr_workgroup_id_x 1
		.amdhsa_system_sgpr_workgroup_id_y 1
		.amdhsa_system_sgpr_workgroup_id_z 0
		.amdhsa_system_sgpr_workgroup_info 0
		.amdhsa_system_vgpr_workitem_id 1
		.amdhsa_next_free_vgpr 106
		.amdhsa_next_free_sgpr 52
		.amdhsa_named_barrier_count 0
		.amdhsa_reserve_vcc 1
		.amdhsa_float_round_mode_32 0
		.amdhsa_float_round_mode_16_64 0
		.amdhsa_float_denorm_mode_32 3
		.amdhsa_float_denorm_mode_16_64 3
		.amdhsa_fp16_overflow 0
		.amdhsa_memory_ordered 1
		.amdhsa_forward_progress 1
		.amdhsa_inst_pref_size 63
		.amdhsa_round_robin_scheduling 0
		.amdhsa_exception_fp_ieee_invalid_op 0
		.amdhsa_exception_fp_denorm_src 0
		.amdhsa_exception_fp_ieee_div_zero 0
		.amdhsa_exception_fp_ieee_overflow 0
		.amdhsa_exception_fp_ieee_underflow 0
		.amdhsa_exception_fp_ieee_inexact 0
		.amdhsa_exception_int_div_zero 0
	.end_amdhsa_kernel
	.section	.text._ZN2at6native12_GLOBAL__N_135GammaBetaBackwardCUDAKernelTemplateIN3c108BFloat16EfLj64ELj8ELj64ELb0ELb0ELb0EEEvllPKT_S7_PKT0_SA_PS5_SB_,"axG",@progbits,_ZN2at6native12_GLOBAL__N_135GammaBetaBackwardCUDAKernelTemplateIN3c108BFloat16EfLj64ELj8ELj64ELb0ELb0ELb0EEEvllPKT_S7_PKT0_SA_PS5_SB_,comdat
.Lfunc_end101:
	.size	_ZN2at6native12_GLOBAL__N_135GammaBetaBackwardCUDAKernelTemplateIN3c108BFloat16EfLj64ELj8ELj64ELb0ELb0ELb0EEEvllPKT_S7_PKT0_SA_PS5_SB_, .Lfunc_end101-_ZN2at6native12_GLOBAL__N_135GammaBetaBackwardCUDAKernelTemplateIN3c108BFloat16EfLj64ELj8ELj64ELb0ELb0ELb0EEEvllPKT_S7_PKT0_SA_PS5_SB_
                                        ; -- End function
	.set _ZN2at6native12_GLOBAL__N_135GammaBetaBackwardCUDAKernelTemplateIN3c108BFloat16EfLj64ELj8ELj64ELb0ELb0ELb0EEEvllPKT_S7_PKT0_SA_PS5_SB_.num_vgpr, 106
	.set _ZN2at6native12_GLOBAL__N_135GammaBetaBackwardCUDAKernelTemplateIN3c108BFloat16EfLj64ELj8ELj64ELb0ELb0ELb0EEEvllPKT_S7_PKT0_SA_PS5_SB_.num_agpr, 0
	.set _ZN2at6native12_GLOBAL__N_135GammaBetaBackwardCUDAKernelTemplateIN3c108BFloat16EfLj64ELj8ELj64ELb0ELb0ELb0EEEvllPKT_S7_PKT0_SA_PS5_SB_.numbered_sgpr, 52
	.set _ZN2at6native12_GLOBAL__N_135GammaBetaBackwardCUDAKernelTemplateIN3c108BFloat16EfLj64ELj8ELj64ELb0ELb0ELb0EEEvllPKT_S7_PKT0_SA_PS5_SB_.num_named_barrier, 0
	.set _ZN2at6native12_GLOBAL__N_135GammaBetaBackwardCUDAKernelTemplateIN3c108BFloat16EfLj64ELj8ELj64ELb0ELb0ELb0EEEvllPKT_S7_PKT0_SA_PS5_SB_.private_seg_size, 0
	.set _ZN2at6native12_GLOBAL__N_135GammaBetaBackwardCUDAKernelTemplateIN3c108BFloat16EfLj64ELj8ELj64ELb0ELb0ELb0EEEvllPKT_S7_PKT0_SA_PS5_SB_.uses_vcc, 1
	.set _ZN2at6native12_GLOBAL__N_135GammaBetaBackwardCUDAKernelTemplateIN3c108BFloat16EfLj64ELj8ELj64ELb0ELb0ELb0EEEvllPKT_S7_PKT0_SA_PS5_SB_.uses_flat_scratch, 0
	.set _ZN2at6native12_GLOBAL__N_135GammaBetaBackwardCUDAKernelTemplateIN3c108BFloat16EfLj64ELj8ELj64ELb0ELb0ELb0EEEvllPKT_S7_PKT0_SA_PS5_SB_.has_dyn_sized_stack, 0
	.set _ZN2at6native12_GLOBAL__N_135GammaBetaBackwardCUDAKernelTemplateIN3c108BFloat16EfLj64ELj8ELj64ELb0ELb0ELb0EEEvllPKT_S7_PKT0_SA_PS5_SB_.has_recursion, 0
	.set _ZN2at6native12_GLOBAL__N_135GammaBetaBackwardCUDAKernelTemplateIN3c108BFloat16EfLj64ELj8ELj64ELb0ELb0ELb0EEEvllPKT_S7_PKT0_SA_PS5_SB_.has_indirect_call, 0
	.section	.AMDGPU.csdata,"",@progbits
; Kernel info:
; codeLenInByte = 8032
; TotalNumSgprs: 54
; NumVgprs: 106
; ScratchSize: 0
; MemoryBound: 0
; FloatMode: 240
; IeeeMode: 1
; LDSByteSize: 0 bytes/workgroup (compile time only)
; SGPRBlocks: 0
; VGPRBlocks: 6
; NumSGPRsForWavesPerEU: 54
; NumVGPRsForWavesPerEU: 106
; NamedBarCnt: 0
; Occupancy: 9
; WaveLimiterHint : 0
; COMPUTE_PGM_RSRC2:SCRATCH_EN: 0
; COMPUTE_PGM_RSRC2:USER_SGPR: 2
; COMPUTE_PGM_RSRC2:TRAP_HANDLER: 0
; COMPUTE_PGM_RSRC2:TGID_X_EN: 1
; COMPUTE_PGM_RSRC2:TGID_Y_EN: 1
; COMPUTE_PGM_RSRC2:TGID_Z_EN: 0
; COMPUTE_PGM_RSRC2:TIDIG_COMP_CNT: 1
	.section	.text._ZN2at6native12_GLOBAL__N_135GammaBetaBackwardCUDAKernelTemplateIN3c108BFloat16EfLj64ELj16ELj128ELb0ELb1ELb0EEEvllPKT_S7_PKT0_SA_PS5_SB_,"axG",@progbits,_ZN2at6native12_GLOBAL__N_135GammaBetaBackwardCUDAKernelTemplateIN3c108BFloat16EfLj64ELj16ELj128ELb0ELb1ELb0EEEvllPKT_S7_PKT0_SA_PS5_SB_,comdat
	.globl	_ZN2at6native12_GLOBAL__N_135GammaBetaBackwardCUDAKernelTemplateIN3c108BFloat16EfLj64ELj16ELj128ELb0ELb1ELb0EEEvllPKT_S7_PKT0_SA_PS5_SB_ ; -- Begin function _ZN2at6native12_GLOBAL__N_135GammaBetaBackwardCUDAKernelTemplateIN3c108BFloat16EfLj64ELj16ELj128ELb0ELb1ELb0EEEvllPKT_S7_PKT0_SA_PS5_SB_
	.p2align	8
	.type	_ZN2at6native12_GLOBAL__N_135GammaBetaBackwardCUDAKernelTemplateIN3c108BFloat16EfLj64ELj16ELj128ELb0ELb1ELb0EEEvllPKT_S7_PKT0_SA_PS5_SB_,@function
_ZN2at6native12_GLOBAL__N_135GammaBetaBackwardCUDAKernelTemplateIN3c108BFloat16EfLj64ELj16ELj128ELb0ELb1ELb0EEEvllPKT_S7_PKT0_SA_PS5_SB_: ; @_ZN2at6native12_GLOBAL__N_135GammaBetaBackwardCUDAKernelTemplateIN3c108BFloat16EfLj64ELj16ELj128ELb0ELb1ELb0EEEvllPKT_S7_PKT0_SA_PS5_SB_
; %bb.0:
	s_load_b128 s[12:15], s[0:1], 0x0
	s_bfe_u32 s2, ttmp6, 0x40010
	s_bfe_u32 s4, ttmp6, 0x40004
	s_add_co_i32 s2, s2, 1
	s_getreg_b32 s3, hwreg(HW_REG_IB_STS2, 6, 4)
	s_mul_i32 s2, ttmp7, s2
	s_mov_b32 s17, 0
	s_add_co_i32 s4, s4, s2
	s_cmp_eq_u32 s3, 0
	v_bfe_u32 v11, v0, 10, 10
	s_cselect_b32 s2, ttmp7, s4
	s_delay_alu instid0(SALU_CYCLE_1)
	s_lshl_b32 s16, s2, 7
	s_wait_kmcnt 0x0
	v_cmp_gt_i64_e64 s2, s[12:13], s[16:17]
	s_and_b32 vcc_lo, exec_lo, s2
	s_cbranch_vccnz .LBB102_2
; %bb.1:
	v_bfe_u32 v1, v0, 10, 10
	s_mov_b32 s2, s17
	s_branch .LBB102_3
.LBB102_2:
	s_mov_b32 s2, -1
                                        ; implicit-def: $vgpr1
.LBB102_3:
	v_mov_b32_e32 v9, 0
	v_and_b32_e32 v10, 0x3ff, v0
	s_and_not1_b32 vcc_lo, exec_lo, s2
	s_delay_alu instid0(VALU_DEP_2)
	v_mov_b32_e32 v8, v9
	s_cbranch_vccnz .LBB102_11
; %bb.4:
	v_dual_mov_b32 v1, 0 :: v_dual_lshlrev_b32 v0, 3, v11
	s_load_b32 s2, s[0:1], 0x4c
	s_bfe_u32 s21, ttmp6, 0x4000c
	s_clause 0x1
	s_load_b32 s18, s[0:1], 0x44
	s_load_b256 s[4:11], s[0:1], 0x10
	s_add_co_i32 s21, s21, 1
	v_add_nc_u64_e32 v[2:3], s[16:17], v[0:1]
	s_and_b32 s20, ttmp6, 15
	s_mul_i32 s21, ttmp9, s21
	v_dual_mov_b32 v13, 12 :: v_dual_mov_b32 v5, v1
	s_add_co_i32 s20, s20, s21
	s_mov_b32 s19, 0
	s_delay_alu instid0(VALU_DEP_2)
	v_mul_u64_e32 v[6:7], s[14:15], v[2:3]
	v_dual_mov_b32 v0, 8 :: v_dual_mov_b32 v12, 4
	v_dual_mov_b32 v14, 16 :: v_dual_mov_b32 v15, 20
	;; [unrolled: 1-line block ×3, first 2 shown]
	s_wait_kmcnt 0x0
	s_and_b32 s2, s2, 0xffff
	s_cmp_eq_u32 s3, 0
	v_mad_u32_u24 v4, v11, s2, v10
	v_mov_b32_e32 v9, v1
	s_cselect_b32 s2, ttmp9, s20
	s_lshl_b32 s18, s18, 7
	v_lshl_add_u32 v8, s2, 6, v10
	v_and_b32_e32 v4, 31, v4
	s_mul_u64 s[22:23], s[14:15], s[18:19]
	s_lshl_b64 s[20:21], s[18:19], 2
	s_lshl_b64 s[22:23], s[22:23], 1
	v_lshlrev_b64_e32 v[18:19], 1, v[8:9]
	v_add_nc_u64_e32 v[2:3], v[2:3], v[4:5]
	v_cmp_gt_u32_e64 s2, 8, v4
	v_mov_b32_e32 v8, 0
	s_lshl_b64 s[14:15], s[14:15], 1
	v_lshlrev_b64_e32 v[4:5], 2, v[2:3]
	v_lshl_add_u64 v[6:7], v[6:7], 1, v[18:19]
	s_branch .LBB102_7
.LBB102_5:                              ;   in Loop: Header=BB102_7 Depth=1
	s_wait_xcnt 0x0
	s_or_b32 exec_lo, exec_lo, s25
.LBB102_6:                              ;   in Loop: Header=BB102_7 Depth=1
	s_delay_alu instid0(SALU_CYCLE_1)
	s_or_b32 exec_lo, exec_lo, s24
	v_add_nc_u64_e32 v[20:21], s[6:7], v[6:7]
	v_add_nc_u64_e32 v[22:23], s[4:5], v[6:7]
	s_wait_loadcnt 0x1
	ds_bpermute_b32 v43, v0, v19
	ds_bpermute_b32 v45, v13, v19
	s_wait_loadcnt 0x0
	ds_bpermute_b32 v42, v0, v18
	ds_bpermute_b32 v46, v14, v19
	;; [unrolled: 1-line block ×3, first 2 shown]
	v_add_nc_u64_e32 v[24:25], s[14:15], v[20:21]
	v_add_nc_u64_e32 v[26:27], s[14:15], v[22:23]
	global_load_u16 v28, v[20:21], off
	global_load_u16 v29, v[22:23], off
	ds_bpermute_b32 v47, v15, v18
	ds_bpermute_b32 v48, v16, v18
	s_add_nc_u64 s[16:17], s[16:17], s[18:19]
	s_wait_xcnt 0x1
	v_add_nc_u64_e32 v[20:21], s[14:15], v[24:25]
	s_wait_xcnt 0x0
	v_add_nc_u64_e32 v[22:23], s[14:15], v[26:27]
	global_load_u16 v30, v[24:25], off
	global_load_u16 v31, v[26:27], off
	v_cmp_lt_i64_e64 s24, s[16:17], s[12:13]
	v_add_nc_u64_e32 v[4:5], s[20:21], v[4:5]
	v_add_nc_u64_e32 v[2:3], s[18:19], v[2:3]
	;; [unrolled: 1-line block ×3, first 2 shown]
	s_wait_xcnt 0x1
	v_add_nc_u64_e32 v[24:25], s[14:15], v[20:21]
	s_wait_xcnt 0x0
	v_add_nc_u64_e32 v[26:27], s[14:15], v[22:23]
	global_load_u16 v32, v[20:21], off
	global_load_u16 v33, v[22:23], off
	s_and_b32 vcc_lo, exec_lo, s24
	global_load_u16 v34, v[24:25], off
	global_load_u16 v35, v[26:27], off
	s_wait_xcnt 0x3
	v_add_nc_u64_e32 v[20:21], s[14:15], v[24:25]
	s_wait_xcnt 0x2
	v_add_nc_u64_e32 v[22:23], s[14:15], v[26:27]
	s_wait_xcnt 0x1
	s_delay_alu instid0(VALU_DEP_2)
	v_add_nc_u64_e32 v[24:25], s[14:15], v[20:21]
	global_load_u16 v26, v[20:21], off
	s_wait_xcnt 0x0
	v_add_nc_u64_e32 v[20:21], s[14:15], v[22:23]
	global_load_u16 v27, v[22:23], off
	global_load_u16 v36, v[24:25], off
	;; [unrolled: 1-line block ×3, first 2 shown]
	s_wait_xcnt 0x2
	v_add_nc_u64_e32 v[22:23], s[14:15], v[24:25]
	global_load_u16 v38, v[22:23], off
	s_wait_xcnt 0x2
	v_add_nc_u64_e32 v[24:25], s[14:15], v[20:21]
	s_wait_xcnt 0x1
	v_add_nc_u64_e32 v[20:21], s[14:15], v[22:23]
	s_wait_xcnt 0x0
	s_delay_alu instid0(VALU_DEP_2)
	v_add_nc_u64_e32 v[22:23], s[14:15], v[24:25]
	global_load_u16 v39, v[24:25], off
	global_load_u16 v40, v[20:21], off
	;; [unrolled: 1-line block ×3, first 2 shown]
	s_wait_xcnt 0x1
	ds_bpermute_b32 v21, v1, v19
	s_wait_xcnt 0x0
	ds_bpermute_b32 v23, v12, v19
	ds_bpermute_b32 v24, v1, v18
	;; [unrolled: 1-line block ×3, first 2 shown]
	s_wait_loadcnt 0xe
	v_dual_lshlrev_b32 v22, 16, v28 :: v_dual_lshlrev_b32 v20, 16, v29
	ds_bpermute_b32 v28, v14, v18
	s_wait_loadcnt_dscnt 0xd04
	v_dual_sub_f32 v21, v22, v21 :: v_dual_lshlrev_b32 v29, 16, v30
	ds_bpermute_b32 v30, v15, v19
	s_wait_loadcnt 0xc
	v_dual_mul_f32 v21, v21, v20 :: v_dual_lshlrev_b32 v22, 16, v31
	s_wait_dscnt 0x4
	v_sub_f32_e32 v23, v29, v23
	ds_bpermute_b32 v29, v16, v19
	s_wait_loadcnt 0xb
	v_lshlrev_b32_e32 v31, 16, v32
	ds_bpermute_b32 v32, v17, v19
	s_wait_dscnt 0x5
	v_dual_mul_f32 v21, v21, v24 :: v_dual_mul_f32 v19, v23, v22
	s_wait_loadcnt 0xa
	v_dual_sub_f32 v31, v31, v43 :: v_dual_lshlrev_b32 v24, 16, v33
	s_wait_loadcnt 0x9
	v_lshlrev_b32_e32 v33, 16, v34
	v_pk_add_f32 v[8:9], v[8:9], v[20:21]
	s_wait_loadcnt_dscnt 0x804
	v_dual_mul_f32 v23, v19, v25 :: v_dual_lshlrev_b32 v20, 16, v35
	s_delay_alu instid0(VALU_DEP_3) | instskip(NEXT) | instid1(VALU_DEP_2)
	v_dual_mul_f32 v19, v31, v24 :: v_dual_sub_f32 v21, v33, v45
	v_pk_add_f32 v[8:9], v[8:9], v[22:23]
	s_wait_loadcnt 0x7
	v_lshlrev_b32_e32 v26, 16, v26
	s_wait_loadcnt 0x6
	v_dual_mul_f32 v25, v19, v42 :: v_dual_lshlrev_b32 v22, 16, v27
	s_delay_alu instid0(VALU_DEP_2)
	v_dual_mul_f32 v19, v21, v20 :: v_dual_sub_f32 v23, v26, v46
	s_wait_loadcnt 0x5
	v_lshlrev_b32_e32 v27, 16, v36
	ds_bpermute_b32 v26, v17, v18
	v_pk_add_f32 v[8:9], v[8:9], v[24:25]
	s_wait_loadcnt 0x4
	v_dual_mul_f32 v21, v19, v44 :: v_dual_lshlrev_b32 v18, 16, v37
	v_mul_f32_e32 v19, v23, v22
	s_wait_dscnt 0x3
	v_sub_f32_e32 v24, v27, v30
	s_delay_alu instid0(VALU_DEP_3) | instskip(SKIP_3) | instid1(VALU_DEP_1)
	v_pk_add_f32 v[8:9], v[8:9], v[20:21]
	s_wait_loadcnt 0x3
	v_dual_lshlrev_b32 v25, 16, v38 :: v_dual_mul_f32 v23, v19, v28
	s_wait_dscnt 0x2
	v_sub_f32_e32 v21, v25, v29
	s_delay_alu instid0(VALU_DEP_2) | instskip(SKIP_4) | instid1(VALU_DEP_2)
	v_pk_add_f32 v[8:9], v[8:9], v[22:23]
	s_wait_loadcnt 0x2
	v_dual_mul_f32 v19, v24, v18 :: v_dual_lshlrev_b32 v20, 16, v39
	s_wait_loadcnt 0x0
	v_dual_lshlrev_b32 v24, 16, v40 :: v_dual_lshlrev_b32 v22, 16, v41
	v_dual_mul_f32 v21, v21, v20 :: v_dual_mul_f32 v19, v19, v47
	s_wait_dscnt 0x1
	s_delay_alu instid0(VALU_DEP_2) | instskip(NEXT) | instid1(VALU_DEP_2)
	v_sub_f32_e32 v23, v24, v32
	v_mul_f32_e32 v21, v21, v48
	s_delay_alu instid0(VALU_DEP_3) | instskip(NEXT) | instid1(VALU_DEP_3)
	v_pk_add_f32 v[8:9], v[8:9], v[18:19]
	v_mul_f32_e32 v18, v23, v22
	s_delay_alu instid0(VALU_DEP_2) | instskip(SKIP_1) | instid1(VALU_DEP_2)
	v_pk_add_f32 v[8:9], v[8:9], v[20:21]
	s_wait_dscnt 0x0
	v_mul_f32_e32 v23, v18, v26
	s_delay_alu instid0(VALU_DEP_1)
	v_pk_add_f32 v[8:9], v[8:9], v[22:23]
	s_cbranch_vccz .LBB102_10
.LBB102_7:                              ; =>This Inner Loop Header: Depth=1
	v_dual_mov_b32 v18, 0 :: v_dual_mov_b32 v19, 0
	s_and_saveexec_b32 s24, s2
	s_cbranch_execz .LBB102_6
; %bb.8:                                ;   in Loop: Header=BB102_7 Depth=1
	v_dual_mov_b32 v19, 0 :: v_dual_mov_b32 v18, 0
	s_mov_b32 s25, exec_lo
	v_cmpx_gt_i64_e64 s[12:13], v[2:3]
	s_cbranch_execz .LBB102_5
; %bb.9:                                ;   in Loop: Header=BB102_7 Depth=1
	v_add_nc_u64_e32 v[20:21], s[8:9], v[4:5]
	v_add_nc_u64_e32 v[22:23], s[10:11], v[4:5]
	global_load_b32 v19, v[20:21], off
	global_load_b32 v18, v[22:23], off
	s_branch .LBB102_5
.LBB102_10:
	v_mov_b32_e32 v1, v11
.LBB102_11:
	s_load_b128 s[4:7], s[0:1], 0x30
	s_delay_alu instid0(VALU_DEP_1) | instskip(SKIP_2) | instid1(VALU_DEP_1)
	v_mad_u32_u24 v0, 0x41, v1, v10
	s_wait_xcnt 0x0
	s_mov_b32 s0, exec_lo
	v_lshl_add_u32 v2, v0, 2, 0
	v_sub_nc_u32_e32 v6, v0, v1
	ds_store_b32 v2, v9
	ds_store_b32 v2, v8 offset:4160
	s_wait_dscnt 0x0
	s_barrier_signal -1
	s_barrier_wait -1
	v_cmpx_gt_u32_e32 0x800, v6
	s_cbranch_execz .LBB102_27
; %bb.12:
	v_and_b32_e32 v1, 31, v10
	v_lshrrev_b32_e32 v0, 5, v6
                                        ; implicit-def: $vgpr2
	s_delay_alu instid0(VALU_DEP_2)
	v_cmp_gt_u32_e64 s0, 16, v1
	v_mul_u32_u24_e32 v7, 0x41, v1
	s_and_saveexec_b32 s1, s0
	s_cbranch_execz .LBB102_14
; %bb.13:
	s_delay_alu instid0(VALU_DEP_1) | instskip(NEXT) | instid1(VALU_DEP_1)
	v_add_nc_u32_e32 v1, v0, v7
	v_lshl_add_u32 v1, v1, 2, 0
	ds_load_b32 v3, v1
	ds_load_b32 v2, v1 offset:4160
.LBB102_14:
	s_or_b32 exec_lo, exec_lo, s1
	v_mbcnt_lo_u32_b32 v1, -1, 0
	s_bfe_u32 s1, ttmp6, 0x4000c
	s_and_b32 s2, ttmp6, 15
	s_add_co_i32 s1, s1, 1
	s_delay_alu instid0(SALU_CYCLE_1)
	s_mul_i32 s1, ttmp9, s1
	v_xor_b32_e32 v12, 1, v1
	v_xor_b32_e32 v11, 2, v1
	;; [unrolled: 1-line block ×3, first 2 shown]
	s_add_co_i32 s2, s2, s1
	s_cmp_eq_u32 s3, 0
	s_mov_b32 s3, 0
	s_cselect_b32 s2, ttmp9, s2
	v_cmp_gt_i32_e32 vcc_lo, 32, v4
	s_lshl_b64 s[2:3], s[2:3], 6
	v_xor_b32_e32 v9, 4, v1
	s_wait_kmcnt 0x0
	s_cmp_lg_u64 s[4:5], 0
	v_cmp_eq_u32_e64 s1, 0, v10
	v_cndmask_b32_e32 v4, v1, v4, vcc_lo
	s_cselect_b32 s9, -1, 0
	v_cmp_gt_i32_e32 vcc_lo, 32, v9
	s_cmp_lg_u64 s[6:7], 0
	s_delay_alu instid0(VALU_DEP_2)
	v_lshlrev_b32_e32 v8, 2, v4
	s_cselect_b32 s8, -1, 0
	v_cndmask_b32_e32 v9, v1, v9, vcc_lo
	v_cmp_gt_i32_e32 vcc_lo, 32, v11
	s_wait_dscnt 0x1
	ds_bpermute_b32 v5, v8, v3
	s_wait_dscnt 0x1
	ds_bpermute_b32 v4, v8, v2
	v_dual_cndmask_b32 v11, v1, v11, vcc_lo :: v_dual_lshlrev_b32 v9, 2, v9
	v_cmp_gt_i32_e32 vcc_lo, 32, v12
	s_delay_alu instid0(VALU_DEP_2) | instskip(NEXT) | instid1(VALU_DEP_1)
	v_dual_lshlrev_b32 v11, 2, v11 :: v_dual_cndmask_b32 v1, v1, v12, vcc_lo
	v_dual_mov_b32 v1, 0 :: v_dual_lshlrev_b32 v12, 2, v1
	s_wait_dscnt 0x0
	v_pk_add_f32 v[2:3], v[2:3], v[4:5]
	ds_bpermute_b32 v5, v9, v3
	ds_bpermute_b32 v4, v9, v2
	s_wait_dscnt 0x0
	v_pk_add_f32 v[2:3], v[2:3], v[4:5]
	ds_bpermute_b32 v5, v11, v3
	ds_bpermute_b32 v4, v11, v2
	;; [unrolled: 4-line block ×3, first 2 shown]
	s_wait_dscnt 0x0
	v_pk_add_f32 v[2:3], v[2:3], v[4:5]
	s_and_saveexec_b32 s10, s1
	s_cbranch_execz .LBB102_19
; %bb.15:
	v_dual_mov_b32 v5, s3 :: v_dual_bitop2_b32 v4, s2, v0 bitop3:0x54
	s_and_not1_b32 vcc_lo, exec_lo, s9
	s_cbranch_vccnz .LBB102_17
; %bb.16:
	v_bfe_u32 v10, v3, 16, 1
	v_cmp_o_f32_e32 vcc_lo, v3, v3
	v_lshl_add_u64 v[14:15], v[4:5], 1, s[4:5]
	s_delay_alu instid0(VALU_DEP_3) | instskip(NEXT) | instid1(VALU_DEP_1)
	v_add3_u32 v10, v3, v10, 0x7fff
	v_lshrrev_b32_e32 v10, 16, v10
	s_delay_alu instid0(VALU_DEP_1)
	v_cndmask_b32_e32 v10, 0x7fc0, v10, vcc_lo
	global_store_b16 v[14:15], v10, off
.LBB102_17:
	s_and_not1_b32 vcc_lo, exec_lo, s8
	s_cbranch_vccnz .LBB102_19
; %bb.18:
	s_wait_xcnt 0x0
	v_bfe_u32 v10, v2, 16, 1
	v_cmp_o_f32_e32 vcc_lo, v2, v2
	v_lshl_add_u64 v[4:5], v[4:5], 1, s[6:7]
	s_delay_alu instid0(VALU_DEP_3) | instskip(NEXT) | instid1(VALU_DEP_1)
	v_add3_u32 v10, v2, v10, 0x7fff
	v_lshrrev_b32_e32 v10, 16, v10
	s_delay_alu instid0(VALU_DEP_1)
	v_cndmask_b32_e32 v10, 0x7fc0, v10, vcc_lo
	global_store_b16 v[4:5], v10, off
.LBB102_19:
	s_wait_xcnt 0x0
	s_or_b32 exec_lo, exec_lo, s10
	v_cmp_gt_u32_e32 vcc_lo, 0x400, v6
	s_and_b32 exec_lo, exec_lo, vcc_lo
	s_cbranch_execz .LBB102_27
; %bb.20:
	s_and_saveexec_b32 s10, s0
	s_cbranch_execz .LBB102_22
; %bb.21:
	v_add_nc_u32_e32 v2, v0, v7
	s_delay_alu instid0(VALU_DEP_1)
	v_lshl_add_u32 v2, v2, 2, 0
	ds_load_b32 v3, v2 offset:128
	ds_load_b32 v2, v2 offset:4288
.LBB102_22:
	s_or_b32 exec_lo, exec_lo, s10
	s_wait_dscnt 0x1
	ds_bpermute_b32 v4, v8, v3
	s_wait_dscnt 0x1
	ds_bpermute_b32 v5, v8, v2
	s_wait_dscnt 0x0
	v_dual_add_f32 v3, v3, v4 :: v_dual_add_f32 v2, v2, v5
	ds_bpermute_b32 v4, v9, v3
	ds_bpermute_b32 v5, v9, v2
	s_wait_dscnt 0x0
	v_dual_add_f32 v3, v3, v4 :: v_dual_add_f32 v2, v2, v5
	ds_bpermute_b32 v4, v11, v3
	;; [unrolled: 4-line block ×3, first 2 shown]
	ds_bpermute_b32 v3, v12, v2
	s_and_b32 exec_lo, exec_lo, s1
	s_cbranch_execz .LBB102_27
; %bb.23:
	v_add_nc_u64_e32 v[0:1], s[2:3], v[0:1]
	s_and_not1_b32 vcc_lo, exec_lo, s9
	s_cbranch_vccnz .LBB102_25
; %bb.24:
	s_wait_dscnt 0x1
	v_add_f32_e32 v4, v4, v5
	s_delay_alu instid0(VALU_DEP_1) | instskip(NEXT) | instid1(VALU_DEP_1)
	v_bfe_u32 v5, v4, 16, 1
	v_add3_u32 v5, v4, v5, 0x7fff
	s_delay_alu instid0(VALU_DEP_1) | instskip(SKIP_1) | instid1(VALU_DEP_2)
	v_lshrrev_b32_e32 v5, 16, v5
	v_cmp_o_f32_e32 vcc_lo, v4, v4
	v_cndmask_b32_e32 v6, 0x7fc0, v5, vcc_lo
	v_lshl_add_u64 v[4:5], v[0:1], 1, s[4:5]
	global_store_b16 v[4:5], v6, off offset:64
.LBB102_25:
	s_and_not1_b32 vcc_lo, exec_lo, s8
	s_cbranch_vccnz .LBB102_27
; %bb.26:
	s_wait_dscnt 0x0
	v_add_f32_e32 v2, v2, v3
	v_lshl_add_u64 v[0:1], v[0:1], 1, s[6:7]
	s_delay_alu instid0(VALU_DEP_2) | instskip(NEXT) | instid1(VALU_DEP_1)
	v_bfe_u32 v3, v2, 16, 1
	v_add3_u32 v3, v2, v3, 0x7fff
	s_delay_alu instid0(VALU_DEP_1) | instskip(SKIP_1) | instid1(VALU_DEP_2)
	v_lshrrev_b32_e32 v3, 16, v3
	v_cmp_o_f32_e32 vcc_lo, v2, v2
	v_cndmask_b32_e32 v2, 0x7fc0, v3, vcc_lo
	global_store_b16 v[0:1], v2, off offset:64
.LBB102_27:
	s_endpgm
	.section	.rodata,"a",@progbits
	.p2align	6, 0x0
	.amdhsa_kernel _ZN2at6native12_GLOBAL__N_135GammaBetaBackwardCUDAKernelTemplateIN3c108BFloat16EfLj64ELj16ELj128ELb0ELb1ELb0EEEvllPKT_S7_PKT0_SA_PS5_SB_
		.amdhsa_group_segment_fixed_size 0
		.amdhsa_private_segment_fixed_size 0
		.amdhsa_kernarg_size 320
		.amdhsa_user_sgpr_count 2
		.amdhsa_user_sgpr_dispatch_ptr 0
		.amdhsa_user_sgpr_queue_ptr 0
		.amdhsa_user_sgpr_kernarg_segment_ptr 1
		.amdhsa_user_sgpr_dispatch_id 0
		.amdhsa_user_sgpr_kernarg_preload_length 0
		.amdhsa_user_sgpr_kernarg_preload_offset 0
		.amdhsa_user_sgpr_private_segment_size 0
		.amdhsa_wavefront_size32 1
		.amdhsa_uses_dynamic_stack 0
		.amdhsa_enable_private_segment 0
		.amdhsa_system_sgpr_workgroup_id_x 1
		.amdhsa_system_sgpr_workgroup_id_y 1
		.amdhsa_system_sgpr_workgroup_id_z 0
		.amdhsa_system_sgpr_workgroup_info 0
		.amdhsa_system_vgpr_workitem_id 1
		.amdhsa_next_free_vgpr 49
		.amdhsa_next_free_sgpr 26
		.amdhsa_named_barrier_count 0
		.amdhsa_reserve_vcc 1
		.amdhsa_float_round_mode_32 0
		.amdhsa_float_round_mode_16_64 0
		.amdhsa_float_denorm_mode_32 3
		.amdhsa_float_denorm_mode_16_64 3
		.amdhsa_fp16_overflow 0
		.amdhsa_memory_ordered 1
		.amdhsa_forward_progress 1
		.amdhsa_inst_pref_size 18
		.amdhsa_round_robin_scheduling 0
		.amdhsa_exception_fp_ieee_invalid_op 0
		.amdhsa_exception_fp_denorm_src 0
		.amdhsa_exception_fp_ieee_div_zero 0
		.amdhsa_exception_fp_ieee_overflow 0
		.amdhsa_exception_fp_ieee_underflow 0
		.amdhsa_exception_fp_ieee_inexact 0
		.amdhsa_exception_int_div_zero 0
	.end_amdhsa_kernel
	.section	.text._ZN2at6native12_GLOBAL__N_135GammaBetaBackwardCUDAKernelTemplateIN3c108BFloat16EfLj64ELj16ELj128ELb0ELb1ELb0EEEvllPKT_S7_PKT0_SA_PS5_SB_,"axG",@progbits,_ZN2at6native12_GLOBAL__N_135GammaBetaBackwardCUDAKernelTemplateIN3c108BFloat16EfLj64ELj16ELj128ELb0ELb1ELb0EEEvllPKT_S7_PKT0_SA_PS5_SB_,comdat
.Lfunc_end102:
	.size	_ZN2at6native12_GLOBAL__N_135GammaBetaBackwardCUDAKernelTemplateIN3c108BFloat16EfLj64ELj16ELj128ELb0ELb1ELb0EEEvllPKT_S7_PKT0_SA_PS5_SB_, .Lfunc_end102-_ZN2at6native12_GLOBAL__N_135GammaBetaBackwardCUDAKernelTemplateIN3c108BFloat16EfLj64ELj16ELj128ELb0ELb1ELb0EEEvllPKT_S7_PKT0_SA_PS5_SB_
                                        ; -- End function
	.set _ZN2at6native12_GLOBAL__N_135GammaBetaBackwardCUDAKernelTemplateIN3c108BFloat16EfLj64ELj16ELj128ELb0ELb1ELb0EEEvllPKT_S7_PKT0_SA_PS5_SB_.num_vgpr, 49
	.set _ZN2at6native12_GLOBAL__N_135GammaBetaBackwardCUDAKernelTemplateIN3c108BFloat16EfLj64ELj16ELj128ELb0ELb1ELb0EEEvllPKT_S7_PKT0_SA_PS5_SB_.num_agpr, 0
	.set _ZN2at6native12_GLOBAL__N_135GammaBetaBackwardCUDAKernelTemplateIN3c108BFloat16EfLj64ELj16ELj128ELb0ELb1ELb0EEEvllPKT_S7_PKT0_SA_PS5_SB_.numbered_sgpr, 26
	.set _ZN2at6native12_GLOBAL__N_135GammaBetaBackwardCUDAKernelTemplateIN3c108BFloat16EfLj64ELj16ELj128ELb0ELb1ELb0EEEvllPKT_S7_PKT0_SA_PS5_SB_.num_named_barrier, 0
	.set _ZN2at6native12_GLOBAL__N_135GammaBetaBackwardCUDAKernelTemplateIN3c108BFloat16EfLj64ELj16ELj128ELb0ELb1ELb0EEEvllPKT_S7_PKT0_SA_PS5_SB_.private_seg_size, 0
	.set _ZN2at6native12_GLOBAL__N_135GammaBetaBackwardCUDAKernelTemplateIN3c108BFloat16EfLj64ELj16ELj128ELb0ELb1ELb0EEEvllPKT_S7_PKT0_SA_PS5_SB_.uses_vcc, 1
	.set _ZN2at6native12_GLOBAL__N_135GammaBetaBackwardCUDAKernelTemplateIN3c108BFloat16EfLj64ELj16ELj128ELb0ELb1ELb0EEEvllPKT_S7_PKT0_SA_PS5_SB_.uses_flat_scratch, 0
	.set _ZN2at6native12_GLOBAL__N_135GammaBetaBackwardCUDAKernelTemplateIN3c108BFloat16EfLj64ELj16ELj128ELb0ELb1ELb0EEEvllPKT_S7_PKT0_SA_PS5_SB_.has_dyn_sized_stack, 0
	.set _ZN2at6native12_GLOBAL__N_135GammaBetaBackwardCUDAKernelTemplateIN3c108BFloat16EfLj64ELj16ELj128ELb0ELb1ELb0EEEvllPKT_S7_PKT0_SA_PS5_SB_.has_recursion, 0
	.set _ZN2at6native12_GLOBAL__N_135GammaBetaBackwardCUDAKernelTemplateIN3c108BFloat16EfLj64ELj16ELj128ELb0ELb1ELb0EEEvllPKT_S7_PKT0_SA_PS5_SB_.has_indirect_call, 0
	.section	.AMDGPU.csdata,"",@progbits
; Kernel info:
; codeLenInByte = 2268
; TotalNumSgprs: 28
; NumVgprs: 49
; ScratchSize: 0
; MemoryBound: 0
; FloatMode: 240
; IeeeMode: 1
; LDSByteSize: 0 bytes/workgroup (compile time only)
; SGPRBlocks: 0
; VGPRBlocks: 3
; NumSGPRsForWavesPerEU: 28
; NumVGPRsForWavesPerEU: 49
; NamedBarCnt: 0
; Occupancy: 16
; WaveLimiterHint : 0
; COMPUTE_PGM_RSRC2:SCRATCH_EN: 0
; COMPUTE_PGM_RSRC2:USER_SGPR: 2
; COMPUTE_PGM_RSRC2:TRAP_HANDLER: 0
; COMPUTE_PGM_RSRC2:TGID_X_EN: 1
; COMPUTE_PGM_RSRC2:TGID_Y_EN: 1
; COMPUTE_PGM_RSRC2:TGID_Z_EN: 0
; COMPUTE_PGM_RSRC2:TIDIG_COMP_CNT: 1
	.section	.text._ZN2at6native12_GLOBAL__N_135GammaBetaBackwardCUDAKernelTemplateIN3c108BFloat16EfLj64ELj16ELj128ELb0ELb0ELb0EEEvllPKT_S7_PKT0_SA_PS5_SB_,"axG",@progbits,_ZN2at6native12_GLOBAL__N_135GammaBetaBackwardCUDAKernelTemplateIN3c108BFloat16EfLj64ELj16ELj128ELb0ELb0ELb0EEEvllPKT_S7_PKT0_SA_PS5_SB_,comdat
	.globl	_ZN2at6native12_GLOBAL__N_135GammaBetaBackwardCUDAKernelTemplateIN3c108BFloat16EfLj64ELj16ELj128ELb0ELb0ELb0EEEvllPKT_S7_PKT0_SA_PS5_SB_ ; -- Begin function _ZN2at6native12_GLOBAL__N_135GammaBetaBackwardCUDAKernelTemplateIN3c108BFloat16EfLj64ELj16ELj128ELb0ELb0ELb0EEEvllPKT_S7_PKT0_SA_PS5_SB_
	.p2align	8
	.type	_ZN2at6native12_GLOBAL__N_135GammaBetaBackwardCUDAKernelTemplateIN3c108BFloat16EfLj64ELj16ELj128ELb0ELb0ELb0EEEvllPKT_S7_PKT0_SA_PS5_SB_,@function
_ZN2at6native12_GLOBAL__N_135GammaBetaBackwardCUDAKernelTemplateIN3c108BFloat16EfLj64ELj16ELj128ELb0ELb0ELb0EEEvllPKT_S7_PKT0_SA_PS5_SB_: ; @_ZN2at6native12_GLOBAL__N_135GammaBetaBackwardCUDAKernelTemplateIN3c108BFloat16EfLj64ELj16ELj128ELb0ELb0ELb0EEEvllPKT_S7_PKT0_SA_PS5_SB_
; %bb.0:
	s_load_b256 s[4:11], s[0:1], 0x0
	s_bfe_u32 s3, ttmp6, 0x4000c
	s_bfe_u32 s12, ttmp6, 0x40010
	s_add_co_i32 s3, s3, 1
	s_add_co_i32 s12, s12, 1
	s_and_b32 s2, ttmp6, 15
	s_bfe_u32 s13, ttmp6, 0x40004
	s_mul_i32 s3, ttmp9, s3
	s_mul_i32 s12, ttmp7, s12
	s_getreg_b32 s14, hwreg(HW_REG_IB_STS2, 6, 4)
	s_add_co_i32 s2, s2, s3
	s_add_co_i32 s3, s13, s12
	s_cmp_eq_u32 s14, 0
	s_mov_b32 s19, 0
	s_cselect_b32 s16, ttmp9, s2
	s_cselect_b32 s2, ttmp7, s3
	s_lshl_b32 s3, s16, 6
	s_load_b128 s[12:15], s[0:1], 0x20
	s_or_b32 s18, s3, 63
	s_wait_kmcnt 0x0
	v_cmp_le_i64_e64 s20, s[6:7], s[18:19]
	s_lshl_b32 s18, s2, 7
	s_delay_alu instid0(SALU_CYCLE_1) | instskip(SKIP_2) | instid1(VALU_DEP_1)
	v_cmp_gt_i64_e64 s17, s[4:5], s[18:19]
	s_and_b32 vcc_lo, exec_lo, s20
	v_cndmask_b32_e64 v1, 0, 1, s17
	v_cmp_ne_u32_e64 s2, 1, v1
	s_cbranch_vccz .LBB103_48
; %bb.1:
	v_mov_b32_e32 v33, 0
	s_and_b32 vcc_lo, exec_lo, s2
	s_delay_alu instid0(VALU_DEP_1)
	v_mov_b32_e32 v32, v33
	s_cbranch_vccnz .LBB103_49
; %bb.2:
	v_bfe_u32 v1, v0, 10, 10
	v_mov_b32_e32 v2, 0
	v_and_b32_e32 v62, 0x3ff, v0
	s_load_b32 s20, s[0:1], 0x44
	s_mov_b32 s21, 0
	s_delay_alu instid0(VALU_DEP_2) | instskip(NEXT) | instid1(VALU_DEP_2)
	v_dual_mov_b32 v21, v2 :: v_dual_lshlrev_b32 v20, 3, v1
	v_dual_mov_b32 v19, v2 :: v_dual_add_nc_u32 v18, s3, v62
	v_mov_b32_e32 v32, 0
	s_mov_b32 s37, s21
	s_delay_alu instid0(VALU_DEP_3)
	v_add_nc_u64_e32 v[4:5], s[18:19], v[20:21]
	v_mov_b32_e32 v33, v2
	v_cmp_gt_i64_e64 s2, s[6:7], v[18:19]
	v_lshlrev_b64_e32 v[22:23], 1, v[18:19]
	s_add_nc_u64 s[22:23], s[0:1], 64
	s_mov_b64 s[24:25], 0xffffffffffffff81
	s_mov_b64 s[26:27], 0xffffffffffffff82
	v_mul_u64_e32 v[6:7], s[6:7], v[4:5]
	v_add_nc_u64_e32 v[8:9], 7, v[4:5]
	v_add_nc_u64_e32 v[10:11], 6, v[4:5]
	;; [unrolled: 1-line block ×6, first 2 shown]
	s_wait_kmcnt 0x0
	s_lshl_b32 s36, s20, 7
	v_mul_u64_e32 v[8:9], s[6:7], v[8:9]
	v_mul_u64_e32 v[10:11], s[6:7], v[10:11]
	;; [unrolled: 1-line block ×6, first 2 shown]
	s_mul_u64 s[44:45], s[6:7], s[36:37]
	s_mov_b64 s[28:29], 0xffffffffffffff83
	s_mov_b64 s[30:31], 0xffffffffffffff84
	;; [unrolled: 1-line block ×6, first 2 shown]
	s_lshl_b64 s[44:45], s[44:45], 1
	s_add_nc_u64 s[46:47], s[18:19], 0x7f
	s_mov_b64 s[48:49], s[18:19]
	v_lshlrev_b64_e32 v[26:27], 1, v[6:7]
	v_add_nc_u64_e32 v[6:7], s[6:7], v[6:7]
	s_delay_alu instid0(VALU_DEP_2)
	v_add_nc_u64_e32 v[24:25], s[8:9], v[26:27]
	v_lshlrev_b64_e32 v[8:9], 1, v[8:9]
	v_lshlrev_b64_e32 v[10:11], 1, v[10:11]
	;; [unrolled: 1-line block ×7, first 2 shown]
	v_add_nc_u64_e32 v[26:27], s[10:11], v[26:27]
	v_add_nc_u64_e32 v[28:29], s[8:9], v[8:9]
	;; [unrolled: 1-line block ×15, first 2 shown]
	s_branch .LBB103_5
.LBB103_3:                              ;   in Loop: Header=BB103_5 Depth=1
	s_or_b32 exec_lo, exec_lo, s20
	s_wait_loadcnt 0x1
	ds_bpermute_b32 v3, v2, v60
	ds_bpermute_b32 v59, v2, v60 offset:4
	ds_bpermute_b32 v63, v2, v60 offset:8
	s_wait_loadcnt 0x0
	ds_bpermute_b32 v64, v2, v61
	ds_bpermute_b32 v65, v2, v60 offset:12
	ds_bpermute_b32 v66, v2, v61 offset:4
	;; [unrolled: 1-line block ×9, first 2 shown]
	s_wait_dscnt 0xc
	v_dual_mov_b32 v58, v5 :: v_dual_sub_f32 v3, v12, v3
	s_wait_dscnt 0xb
	v_dual_mov_b32 v12, v4 :: v_dual_sub_f32 v13, v13, v59
	s_wait_dscnt 0xa
	v_sub_f32_e32 v59, v14, v63
	v_dual_mul_f32 v3, v4, v3 :: v_dual_mov_b32 v4, v6
	s_delay_alu instid0(VALU_DEP_3) | instskip(SKIP_1) | instid1(VALU_DEP_2)
	v_dual_mul_f32 v5, v5, v13 :: v_dual_mov_b32 v14, v7
	s_wait_dscnt 0x9
	v_dual_mul_f32 v6, v6, v59 :: v_dual_mul_f32 v13, v3, v64
	s_wait_dscnt 0x7
	s_delay_alu instid0(VALU_DEP_2) | instskip(SKIP_1) | instid1(VALU_DEP_2)
	v_dual_sub_f32 v3, v15, v65 :: v_dual_mul_f32 v59, v5, v66
	s_wait_dscnt 0x6
	v_mul_f32_e32 v5, v6, v67
	v_pk_add_f32 v[12:13], v[32:33], v[12:13]
	ds_bpermute_b32 v32, v2, v61 offset:24
	s_wait_dscnt 0x6
	v_dual_sub_f32 v15, v16, v69 :: v_dual_mul_f32 v3, v7, v3
	v_pk_add_f32 v[6:7], v[58:59], v[12:13]
	s_wait_dscnt 0x4
	v_dual_mov_b32 v12, v8 :: v_dual_sub_f32 v13, v17, v72
	s_delay_alu instid0(VALU_DEP_3) | instskip(NEXT) | instid1(VALU_DEP_3)
	v_dual_mul_f32 v8, v8, v15 :: v_dual_mul_f32 v15, v3, v68
	v_pk_add_f32 v[4:5], v[4:5], v[6:7]
	ds_bpermute_b32 v3, v2, v61 offset:28
	s_wait_dscnt 0x3
	v_sub_f32_e32 v16, v18, v73
	v_dual_mul_f32 v17, v9, v13 :: v_dual_mul_f32 v13, v8, v70
	v_pk_add_f32 v[6:7], v[14:15], v[4:5]
	ds_bpermute_b32 v4, v2, v60 offset:28
	v_dual_mov_b32 v8, v9 :: v_dual_mul_f32 v5, v10, v16
	s_wait_dscnt 0x3
	v_mul_f32_e32 v9, v17, v71
	v_pk_add_f32 v[6:7], v[12:13], v[6:7]
	s_wait_dscnt 0x2
	v_dual_mov_b32 v12, v10 :: v_dual_mul_f32 v13, v5, v32
	s_delay_alu instid0(VALU_DEP_2) | instskip(NEXT) | instid1(VALU_DEP_1)
	v_pk_add_f32 v[6:7], v[8:9], v[6:7]
	v_pk_add_f32 v[60:61], v[12:13], v[6:7]
.LBB103_4:                              ;   in Loop: Header=BB103_5 Depth=1
	s_wait_dscnt 0x0
	v_sub_f32_e32 v5, v19, v4
	v_mov_b32_e32 v4, v11
	s_add_nc_u64 s[48:49], s[48:49], s[36:37]
	v_add_nc_u64_e32 v[24:25], s[44:45], v[24:25]
	v_cmp_lt_i64_e64 s20, s[48:49], s[4:5]
	v_mul_f32_e32 v5, v11, v5
	v_add_nc_u64_e32 v[26:27], s[44:45], v[26:27]
	v_add_nc_u64_e32 v[28:29], s[44:45], v[28:29]
	;; [unrolled: 1-line block ×4, first 2 shown]
	v_mul_f32_e32 v5, v5, v3
	v_add_nc_u64_e32 v[36:37], s[44:45], v[36:37]
	v_add_nc_u64_e32 v[38:39], s[44:45], v[38:39]
	;; [unrolled: 1-line block ×11, first 2 shown]
	v_pk_add_f32 v[32:33], v[60:61], v[4:5]
	s_and_b32 vcc_lo, exec_lo, s20
	s_add_nc_u64 s[46:47], s[46:47], s[36:37]
	s_cbranch_vccz .LBB103_49
.LBB103_5:                              ; =>This Inner Loop Header: Depth=1
	v_cmp_ge_i64_e64 s20, s[46:47], s[4:5]
	v_add_nc_u64_e32 v[58:59], s[46:47], v[20:21]
                                        ; implicit-def: $vgpr4_vgpr5_vgpr6_vgpr7_vgpr8_vgpr9_vgpr10_vgpr11
                                        ; implicit-def: $vgpr60_vgpr61
                                        ; implicit-def: $vgpr3
                                        ; implicit-def: $vgpr12_vgpr13_vgpr14_vgpr15_vgpr16_vgpr17_vgpr18_vgpr19
                                        ; implicit-def: $vgpr4
	s_and_b32 vcc_lo, exec_lo, s20
	s_mov_b32 s20, -1
	s_cbranch_vccz .LBB103_27
; %bb.6:                                ;   in Loop: Header=BB103_5 Depth=1
	s_load_b32 s20, s[22:23], 0xc
	v_dual_mov_b32 v60, 0 :: v_dual_mov_b32 v61, 0
	s_wait_kmcnt 0x0
	s_and_b32 s20, s20, 0xffff
	s_delay_alu instid0(SALU_CYCLE_1) | instskip(SKIP_1) | instid1(VALU_DEP_1)
	v_mad_u32_u24 v3, v1, s20, v62
	s_mov_b32 s20, exec_lo
	v_and_b32_e32 v4, 31, v3
	s_delay_alu instid0(VALU_DEP_1)
	v_cmpx_gt_u32_e32 8, v4
	s_cbranch_execz .LBB103_10
; %bb.7:                                ;   in Loop: Header=BB103_5 Depth=1
	v_dual_mov_b32 v5, v2 :: v_dual_mov_b32 v60, 0
	v_mov_b32_e32 v61, 0
	s_mov_b32 s33, exec_lo
	s_delay_alu instid0(VALU_DEP_2) | instskip(NEXT) | instid1(VALU_DEP_1)
	v_add_nc_u64_e32 v[4:5], v[58:59], v[4:5]
	v_add_nc_u64_e32 v[4:5], s[24:25], v[4:5]
	s_delay_alu instid0(VALU_DEP_1)
	v_cmpx_gt_i64_e64 s[4:5], v[4:5]
	s_cbranch_execz .LBB103_9
; %bb.8:                                ;   in Loop: Header=BB103_5 Depth=1
	v_lshlrev_b64_e32 v[4:5], 2, v[4:5]
	s_delay_alu instid0(VALU_DEP_1)
	v_add_nc_u64_e32 v[6:7], s[12:13], v[4:5]
	v_add_nc_u64_e32 v[4:5], s[14:15], v[4:5]
	global_load_b32 v60, v[6:7], off
	global_load_b32 v61, v[4:5], off
.LBB103_9:                              ;   in Loop: Header=BB103_5 Depth=1
	s_wait_xcnt 0x0
	s_or_b32 exec_lo, exec_lo, s33
.LBB103_10:                             ;   in Loop: Header=BB103_5 Depth=1
	s_delay_alu instid0(SALU_CYCLE_1)
	s_or_b32 exec_lo, exec_lo, s20
	v_add_nc_u64_e32 v[10:11], s[24:25], v[58:59]
	v_dual_mov_b32 v7, v2 :: v_dual_mov_b32 v8, v2
	v_dual_mov_b32 v9, v2 :: v_dual_mov_b32 v3, v2
	;; [unrolled: 1-line block ×3, first 2 shown]
	v_mov_b32_e32 v6, v2
	v_cmp_gt_i64_e32 vcc_lo, s[4:5], v[10:11]
	s_delay_alu instid0(VALU_DEP_4)
	v_mov_b64_e32 v[18:19], v[8:9]
	v_mov_b64_e32 v[12:13], v[2:3]
	;; [unrolled: 1-line block ×8, first 2 shown]
	s_and_b32 s33, s2, vcc_lo
	s_delay_alu instid0(SALU_CYCLE_1)
	s_and_saveexec_b32 s20, s33
	s_cbranch_execz .LBB103_12
; %bb.11:                               ;   in Loop: Header=BB103_5 Depth=1
	v_add_nc_u64_e32 v[4:5], v[24:25], v[22:23]
	v_add_nc_u64_e32 v[6:7], v[26:27], v[22:23]
	v_dual_mov_b32 v9, v2 :: v_dual_mov_b32 v10, v2
	v_dual_mov_b32 v11, v2 :: v_dual_mov_b32 v13, v2
	;; [unrolled: 1-line block ×3, first 2 shown]
	global_load_u16 v3, v[4:5], off
	global_load_u16 v12, v[6:7], off
	s_wait_xcnt 0x0
	v_dual_mov_b32 v5, v2 :: v_dual_mov_b32 v6, v2
	v_dual_mov_b32 v7, v2 :: v_dual_mov_b32 v8, v2
	;; [unrolled: 1-line block ×4, first 2 shown]
	s_wait_loadcnt 0x0
	v_dual_lshlrev_b32 v4, 16, v3 :: v_dual_lshlrev_b32 v12, 16, v12
.LBB103_12:                             ;   in Loop: Header=BB103_5 Depth=1
	s_or_b32 exec_lo, exec_lo, s20
	v_add_nc_u64_e32 v[64:65], s[26:27], v[58:59]
	s_delay_alu instid0(VALU_DEP_1) | instskip(SKIP_1) | instid1(SALU_CYCLE_1)
	v_cmp_gt_i64_e32 vcc_lo, s[4:5], v[64:65]
	s_and_b32 s33, s2, vcc_lo
	s_and_saveexec_b32 s20, s33
	s_cbranch_execz .LBB103_14
; %bb.13:                               ;   in Loop: Header=BB103_5 Depth=1
	v_add_nc_u64_e32 v[64:65], v[54:55], v[22:23]
	v_add_nc_u64_e32 v[66:67], v[56:57], v[22:23]
	global_load_u16 v3, v[64:65], off
	global_load_u16 v13, v[66:67], off
	s_wait_loadcnt 0x0
	v_dual_lshlrev_b32 v5, 16, v3 :: v_dual_lshlrev_b32 v13, 16, v13
.LBB103_14:                             ;   in Loop: Header=BB103_5 Depth=1
	s_or_b32 exec_lo, exec_lo, s20
	v_add_nc_u64_e32 v[64:65], s[28:29], v[58:59]
	s_delay_alu instid0(VALU_DEP_1) | instskip(SKIP_1) | instid1(SALU_CYCLE_1)
	v_cmp_gt_i64_e32 vcc_lo, s[4:5], v[64:65]
	s_and_b32 s33, s2, vcc_lo
	s_and_saveexec_b32 s20, s33
	s_cbranch_execz .LBB103_16
; %bb.15:                               ;   in Loop: Header=BB103_5 Depth=1
	v_add_nc_u64_e32 v[64:65], v[50:51], v[22:23]
	v_add_nc_u64_e32 v[66:67], v[52:53], v[22:23]
	global_load_u16 v3, v[64:65], off
	global_load_u16 v14, v[66:67], off
	s_wait_loadcnt 0x0
	v_dual_lshlrev_b32 v6, 16, v3 :: v_dual_lshlrev_b32 v14, 16, v14
.LBB103_16:                             ;   in Loop: Header=BB103_5 Depth=1
	s_or_b32 exec_lo, exec_lo, s20
	v_add_nc_u64_e32 v[64:65], s[30:31], v[58:59]
	s_delay_alu instid0(VALU_DEP_1) | instskip(SKIP_1) | instid1(SALU_CYCLE_1)
	v_cmp_gt_i64_e32 vcc_lo, s[4:5], v[64:65]
	s_and_b32 s33, s2, vcc_lo
	s_and_saveexec_b32 s20, s33
	s_cbranch_execz .LBB103_18
; %bb.17:                               ;   in Loop: Header=BB103_5 Depth=1
	v_add_nc_u64_e32 v[64:65], v[46:47], v[22:23]
	v_add_nc_u64_e32 v[66:67], v[48:49], v[22:23]
	global_load_u16 v3, v[64:65], off
	global_load_u16 v15, v[66:67], off
	s_wait_loadcnt 0x1
	v_lshlrev_b32_e32 v7, 16, v3
	s_wait_loadcnt 0x0
	v_lshlrev_b32_e32 v15, 16, v15
.LBB103_18:                             ;   in Loop: Header=BB103_5 Depth=1
	s_or_b32 exec_lo, exec_lo, s20
	v_add_nc_u64_e32 v[64:65], s[34:35], v[58:59]
	s_delay_alu instid0(VALU_DEP_1) | instskip(SKIP_1) | instid1(SALU_CYCLE_1)
	v_cmp_gt_i64_e32 vcc_lo, s[4:5], v[64:65]
	s_and_b32 s33, s2, vcc_lo
	s_and_saveexec_b32 s20, s33
	s_cbranch_execz .LBB103_20
; %bb.19:                               ;   in Loop: Header=BB103_5 Depth=1
	v_add_nc_u64_e32 v[64:65], v[42:43], v[22:23]
	v_add_nc_u64_e32 v[66:67], v[44:45], v[22:23]
	global_load_u16 v3, v[64:65], off
	global_load_u16 v16, v[66:67], off
	s_wait_loadcnt 0x0
	v_dual_lshlrev_b32 v8, 16, v3 :: v_dual_lshlrev_b32 v16, 16, v16
.LBB103_20:                             ;   in Loop: Header=BB103_5 Depth=1
	s_or_b32 exec_lo, exec_lo, s20
	v_add_nc_u64_e32 v[64:65], s[38:39], v[58:59]
	s_delay_alu instid0(VALU_DEP_1) | instskip(SKIP_1) | instid1(SALU_CYCLE_1)
	v_cmp_gt_i64_e32 vcc_lo, s[4:5], v[64:65]
	s_and_b32 s33, s2, vcc_lo
	s_and_saveexec_b32 s20, s33
	s_cbranch_execz .LBB103_22
; %bb.21:                               ;   in Loop: Header=BB103_5 Depth=1
	v_add_nc_u64_e32 v[64:65], v[38:39], v[22:23]
	v_add_nc_u64_e32 v[66:67], v[40:41], v[22:23]
	global_load_u16 v3, v[64:65], off
	global_load_u16 v17, v[66:67], off
	s_wait_loadcnt 0x0
	v_dual_lshlrev_b32 v9, 16, v3 :: v_dual_lshlrev_b32 v17, 16, v17
.LBB103_22:                             ;   in Loop: Header=BB103_5 Depth=1
	;; [unrolled: 15-line block ×3, first 2 shown]
	s_or_b32 exec_lo, exec_lo, s20
	v_add_nc_u64_e32 v[64:65], s[42:43], v[58:59]
	s_delay_alu instid0(VALU_DEP_1) | instskip(SKIP_1) | instid1(SALU_CYCLE_1)
	v_cmp_gt_i64_e32 vcc_lo, s[4:5], v[64:65]
	s_and_b32 s33, s2, vcc_lo
	s_and_saveexec_b32 s20, s33
	s_cbranch_execz .LBB103_26
; %bb.25:                               ;   in Loop: Header=BB103_5 Depth=1
	v_add_nc_u64_e32 v[64:65], v[28:29], v[22:23]
	v_add_nc_u64_e32 v[66:67], v[30:31], v[22:23]
	global_load_u16 v3, v[64:65], off
	global_load_u16 v19, v[66:67], off
	s_wait_loadcnt 0x1
	v_lshlrev_b32_e32 v11, 16, v3
	s_wait_loadcnt 0x0
	v_lshlrev_b32_e32 v19, 16, v19
.LBB103_26:                             ;   in Loop: Header=BB103_5 Depth=1
	s_or_b32 exec_lo, exec_lo, s20
	s_wait_loadcnt 0x1
	ds_bpermute_b32 v3, v2, v60
	ds_bpermute_b32 v63, v2, v60 offset:4
	ds_bpermute_b32 v65, v2, v60 offset:8
	s_wait_loadcnt 0x0
	ds_bpermute_b32 v66, v2, v61
	ds_bpermute_b32 v67, v2, v60 offset:12
	ds_bpermute_b32 v68, v2, v61 offset:4
	ds_bpermute_b32 v69, v2, v61 offset:8
	ds_bpermute_b32 v71, v2, v60 offset:16
	ds_bpermute_b32 v70, v2, v61 offset:12
	ds_bpermute_b32 v74, v2, v60 offset:20
	ds_bpermute_b32 v72, v2, v61 offset:16
	ds_bpermute_b32 v73, v2, v61 offset:20
	s_mov_b32 s20, 0
	s_wait_dscnt 0xb
	v_dual_mov_b32 v64, v5 :: v_dual_sub_f32 v3, v12, v3
	s_wait_dscnt 0xa
	v_dual_mov_b32 v12, v4 :: v_dual_sub_f32 v13, v13, v63
	ds_bpermute_b32 v63, v2, v60 offset:24
	v_dual_mul_f32 v3, v4, v3 :: v_dual_mov_b32 v4, v6
	s_wait_dscnt 0xa
	v_sub_f32_e32 v65, v14, v65
	v_dual_mul_f32 v5, v5, v13 :: v_dual_mov_b32 v14, v7
	s_wait_dscnt 0x9
	v_mul_f32_e32 v13, v3, v66
	s_wait_dscnt 0x8
	v_dual_sub_f32 v3, v15, v67 :: v_dual_mul_f32 v6, v6, v65
	s_wait_dscnt 0x5
	v_dual_mul_f32 v65, v5, v68 :: v_dual_sub_f32 v15, v16, v71
	v_pk_add_f32 v[12:13], v[32:33], v[12:13]
	ds_bpermute_b32 v66, v2, v61 offset:24
	v_dual_mul_f32 v3, v7, v3 :: v_dual_mul_f32 v5, v6, v69
	v_pk_add_f32 v[6:7], v[64:65], v[12:13]
	s_wait_dscnt 0x4
	v_dual_mov_b32 v12, v8 :: v_dual_sub_f32 v13, v17, v74
	s_delay_alu instid0(VALU_DEP_3) | instskip(NEXT) | instid1(VALU_DEP_3)
	v_dual_mul_f32 v8, v8, v15 :: v_dual_mul_f32 v15, v3, v70
	v_pk_add_f32 v[4:5], v[4:5], v[6:7]
	ds_bpermute_b32 v3, v2, v61 offset:28
	s_wait_dscnt 0x2
	v_dual_sub_f32 v16, v18, v63 :: v_dual_mul_f32 v17, v9, v13
	v_dual_mul_f32 v13, v8, v72 :: v_dual_mov_b32 v8, v9
	v_pk_add_f32 v[6:7], v[14:15], v[4:5]
	ds_bpermute_b32 v4, v2, v60 offset:28
	v_dual_mul_f32 v5, v10, v16 :: v_dual_mul_f32 v9, v17, v73
	v_pk_add_f32 v[6:7], v[12:13], v[6:7]
	s_wait_dscnt 0x2
	s_delay_alu instid0(VALU_DEP_2) | instskip(NEXT) | instid1(VALU_DEP_2)
	v_dual_mov_b32 v12, v10 :: v_dual_mul_f32 v13, v5, v66
	v_pk_add_f32 v[6:7], v[8:9], v[6:7]
	s_delay_alu instid0(VALU_DEP_1)
	v_pk_add_f32 v[60:61], v[12:13], v[6:7]
.LBB103_27:                             ;   in Loop: Header=BB103_5 Depth=1
	s_and_b32 vcc_lo, exec_lo, s20
	s_cbranch_vccz .LBB103_4
; %bb.28:                               ;   in Loop: Header=BB103_5 Depth=1
	s_load_b32 s20, s[22:23], 0x0
	v_dual_mov_b32 v60, 0 :: v_dual_mov_b32 v61, 0
	s_wait_kmcnt 0x0
	s_cmp_lt_u32 s16, s20
	s_cselect_b32 s20, 12, 18
	s_delay_alu instid0(SALU_CYCLE_1)
	s_add_nc_u64 s[50:51], s[22:23], s[20:21]
	s_load_u16 s20, s[50:51], 0x0
	s_wait_dscnt 0x1
	s_wait_kmcnt 0x0
	v_mad_u32_u24 v3, v1, s20, v62
	s_mov_b32 s20, exec_lo
	s_wait_dscnt 0x0
	s_delay_alu instid0(VALU_DEP_1) | instskip(NEXT) | instid1(VALU_DEP_1)
	v_and_b32_e32 v4, 31, v3
	v_cmpx_gt_u32_e32 8, v4
	s_cbranch_execz .LBB103_32
; %bb.29:                               ;   in Loop: Header=BB103_5 Depth=1
	v_dual_mov_b32 v5, v2 :: v_dual_mov_b32 v60, 0
	v_mov_b32_e32 v61, 0
	s_mov_b32 s33, exec_lo
	s_delay_alu instid0(VALU_DEP_2) | instskip(NEXT) | instid1(VALU_DEP_1)
	v_add_nc_u64_e32 v[4:5], v[58:59], v[4:5]
	v_add_nc_u64_e32 v[4:5], s[24:25], v[4:5]
	s_delay_alu instid0(VALU_DEP_1)
	v_cmpx_gt_i64_e64 s[4:5], v[4:5]
	s_cbranch_execz .LBB103_31
; %bb.30:                               ;   in Loop: Header=BB103_5 Depth=1
	v_lshlrev_b64_e32 v[4:5], 2, v[4:5]
	s_delay_alu instid0(VALU_DEP_1)
	v_add_nc_u64_e32 v[6:7], s[12:13], v[4:5]
	v_add_nc_u64_e32 v[4:5], s[14:15], v[4:5]
	global_load_b32 v60, v[6:7], off
	global_load_b32 v61, v[4:5], off
.LBB103_31:                             ;   in Loop: Header=BB103_5 Depth=1
	s_wait_xcnt 0x0
	s_or_b32 exec_lo, exec_lo, s33
.LBB103_32:                             ;   in Loop: Header=BB103_5 Depth=1
	s_delay_alu instid0(SALU_CYCLE_1) | instskip(SKIP_4) | instid1(VALU_DEP_3)
	s_or_b32 exec_lo, exec_lo, s20
	v_dual_mov_b32 v7, v2 :: v_dual_mov_b32 v8, v2
	v_dual_mov_b32 v9, v2 :: v_dual_mov_b32 v3, v2
	;; [unrolled: 1-line block ×3, first 2 shown]
	v_mov_b32_e32 v6, v2
	v_mov_b64_e32 v[18:19], v[8:9]
	s_delay_alu instid0(VALU_DEP_4) | instskip(NEXT) | instid1(VALU_DEP_4)
	v_mov_b64_e32 v[12:13], v[2:3]
	v_mov_b64_e32 v[14:15], v[4:5]
	s_delay_alu instid0(VALU_DEP_4)
	v_mov_b64_e32 v[16:17], v[6:7]
	v_mov_b64_e32 v[10:11], v[8:9]
	;; [unrolled: 1-line block ×5, first 2 shown]
	s_and_saveexec_b32 s20, s2
	s_cbranch_execnz .LBB103_40
; %bb.33:                               ;   in Loop: Header=BB103_5 Depth=1
	s_or_b32 exec_lo, exec_lo, s20
	s_and_saveexec_b32 s20, s2
	s_cbranch_execnz .LBB103_41
.LBB103_34:                             ;   in Loop: Header=BB103_5 Depth=1
	s_or_b32 exec_lo, exec_lo, s20
	s_and_saveexec_b32 s20, s2
	s_cbranch_execnz .LBB103_42
.LBB103_35:                             ;   in Loop: Header=BB103_5 Depth=1
	s_or_b32 exec_lo, exec_lo, s20
	s_and_saveexec_b32 s20, s2
	s_cbranch_execnz .LBB103_43
.LBB103_36:                             ;   in Loop: Header=BB103_5 Depth=1
	s_or_b32 exec_lo, exec_lo, s20
	s_and_saveexec_b32 s20, s2
	s_cbranch_execnz .LBB103_44
.LBB103_37:                             ;   in Loop: Header=BB103_5 Depth=1
	s_or_b32 exec_lo, exec_lo, s20
	s_and_saveexec_b32 s20, s2
	s_cbranch_execnz .LBB103_45
.LBB103_38:                             ;   in Loop: Header=BB103_5 Depth=1
	s_or_b32 exec_lo, exec_lo, s20
	s_and_saveexec_b32 s20, s2
	s_cbranch_execnz .LBB103_46
.LBB103_39:                             ;   in Loop: Header=BB103_5 Depth=1
	s_or_b32 exec_lo, exec_lo, s20
	s_and_saveexec_b32 s20, s2
	s_cbranch_execz .LBB103_3
	s_branch .LBB103_47
.LBB103_40:                             ;   in Loop: Header=BB103_5 Depth=1
	v_add_nc_u64_e32 v[4:5], v[24:25], v[22:23]
	v_add_nc_u64_e32 v[6:7], v[26:27], v[22:23]
	v_dual_mov_b32 v9, v2 :: v_dual_mov_b32 v10, v2
	v_dual_mov_b32 v11, v2 :: v_dual_mov_b32 v13, v2
	;; [unrolled: 1-line block ×3, first 2 shown]
	global_load_u16 v3, v[4:5], off
	global_load_u16 v12, v[6:7], off
	s_wait_xcnt 0x0
	v_dual_mov_b32 v5, v2 :: v_dual_mov_b32 v6, v2
	v_dual_mov_b32 v7, v2 :: v_dual_mov_b32 v8, v2
	;; [unrolled: 1-line block ×4, first 2 shown]
	s_wait_loadcnt 0x0
	v_dual_lshlrev_b32 v4, 16, v3 :: v_dual_lshlrev_b32 v12, 16, v12
	s_or_b32 exec_lo, exec_lo, s20
	s_and_saveexec_b32 s20, s2
	s_cbranch_execz .LBB103_34
.LBB103_41:                             ;   in Loop: Header=BB103_5 Depth=1
	v_add_nc_u64_e32 v[58:59], v[54:55], v[22:23]
	v_add_nc_u64_e32 v[64:65], v[56:57], v[22:23]
	global_load_u16 v3, v[58:59], off
	global_load_u16 v13, v[64:65], off
	s_wait_loadcnt 0x0
	v_dual_lshlrev_b32 v5, 16, v3 :: v_dual_lshlrev_b32 v13, 16, v13
	s_or_b32 exec_lo, exec_lo, s20
	s_and_saveexec_b32 s20, s2
	s_cbranch_execz .LBB103_35
.LBB103_42:                             ;   in Loop: Header=BB103_5 Depth=1
	v_add_nc_u64_e32 v[58:59], v[50:51], v[22:23]
	v_add_nc_u64_e32 v[64:65], v[52:53], v[22:23]
	global_load_u16 v3, v[58:59], off
	global_load_u16 v14, v[64:65], off
	s_wait_loadcnt 0x0
	v_dual_lshlrev_b32 v6, 16, v3 :: v_dual_lshlrev_b32 v14, 16, v14
	s_or_b32 exec_lo, exec_lo, s20
	s_and_saveexec_b32 s20, s2
	s_cbranch_execz .LBB103_36
.LBB103_43:                             ;   in Loop: Header=BB103_5 Depth=1
	v_add_nc_u64_e32 v[58:59], v[46:47], v[22:23]
	v_add_nc_u64_e32 v[64:65], v[48:49], v[22:23]
	global_load_u16 v3, v[58:59], off
	global_load_u16 v15, v[64:65], off
	s_wait_loadcnt 0x1
	v_lshlrev_b32_e32 v7, 16, v3
	s_wait_loadcnt 0x0
	v_lshlrev_b32_e32 v15, 16, v15
	s_or_b32 exec_lo, exec_lo, s20
	s_and_saveexec_b32 s20, s2
	s_cbranch_execz .LBB103_37
.LBB103_44:                             ;   in Loop: Header=BB103_5 Depth=1
	v_add_nc_u64_e32 v[58:59], v[42:43], v[22:23]
	v_add_nc_u64_e32 v[64:65], v[44:45], v[22:23]
	global_load_u16 v3, v[58:59], off
	global_load_u16 v16, v[64:65], off
	s_wait_loadcnt 0x0
	v_dual_lshlrev_b32 v8, 16, v3 :: v_dual_lshlrev_b32 v16, 16, v16
	s_or_b32 exec_lo, exec_lo, s20
	s_and_saveexec_b32 s20, s2
	s_cbranch_execz .LBB103_38
.LBB103_45:                             ;   in Loop: Header=BB103_5 Depth=1
	v_add_nc_u64_e32 v[58:59], v[38:39], v[22:23]
	v_add_nc_u64_e32 v[64:65], v[40:41], v[22:23]
	global_load_u16 v3, v[58:59], off
	global_load_u16 v17, v[64:65], off
	s_wait_loadcnt 0x0
	v_dual_lshlrev_b32 v9, 16, v3 :: v_dual_lshlrev_b32 v17, 16, v17
	s_or_b32 exec_lo, exec_lo, s20
	s_and_saveexec_b32 s20, s2
	s_cbranch_execz .LBB103_39
.LBB103_46:                             ;   in Loop: Header=BB103_5 Depth=1
	v_add_nc_u64_e32 v[58:59], v[34:35], v[22:23]
	v_add_nc_u64_e32 v[64:65], v[36:37], v[22:23]
	global_load_u16 v3, v[58:59], off
	global_load_u16 v18, v[64:65], off
	s_wait_loadcnt 0x0
	v_dual_lshlrev_b32 v10, 16, v3 :: v_dual_lshlrev_b32 v18, 16, v18
	s_or_b32 exec_lo, exec_lo, s20
	s_and_saveexec_b32 s20, s2
	s_cbranch_execz .LBB103_3
.LBB103_47:                             ;   in Loop: Header=BB103_5 Depth=1
	v_add_nc_u64_e32 v[58:59], v[28:29], v[22:23]
	v_add_nc_u64_e32 v[64:65], v[30:31], v[22:23]
	global_load_u16 v3, v[58:59], off
	global_load_u16 v19, v[64:65], off
	s_wait_loadcnt 0x1
	v_lshlrev_b32_e32 v11, 16, v3
	s_wait_loadcnt 0x0
	v_lshlrev_b32_e32 v19, 16, v19
	s_branch .LBB103_3
.LBB103_48:
                                        ; implicit-def: $vgpr33
	s_branch .LBB103_50
.LBB103_49:
	s_cbranch_execnz .LBB103_81
.LBB103_50:
	v_mov_b32_e32 v33, 0
	s_and_not1_b32 vcc_lo, exec_lo, s17
	s_delay_alu instid0(VALU_DEP_1)
	v_mov_b32_e32 v32, v33
	s_cbranch_vccnz .LBB103_81
; %bb.51:
	v_bfe_u32 v1, v0, 10, 10
	v_mov_b32_e32 v2, 0
	v_and_b32_e32 v90, 0x3ff, v0
	s_load_b32 s2, s[0:1], 0x44
	s_mov_b64 s[22:23], 0xffffffffffffff83
	s_delay_alu instid0(VALU_DEP_2) | instskip(SKIP_3) | instid1(VALU_DEP_2)
	v_dual_mov_b32 v5, v2 :: v_dual_lshlrev_b32 v4, 4, v1
	v_dual_mov_b32 v21, v2 :: v_dual_lshlrev_b32 v20, 3, v1
	s_mov_b64 s[24:25], 0xffffffffffffff84
	s_mov_b64 s[26:27], 0xffffffffffffff85
	v_lshl_add_u64 v[8:9], s[18:19], 1, v[4:5]
	s_mov_b64 s[28:29], 0xffffffffffffff86
	v_add_nc_u64_e32 v[4:5], s[18:19], v[20:21]
	s_mov_b64 s[30:31], 0xffffffffffffff87
	s_mov_b64 s[34:35], 0xffffffffffffff88
	v_add_nc_u64_e32 v[10:11], 2, v[8:9]
	v_add_nc_u64_e32 v[12:13], 4, v[8:9]
	;; [unrolled: 1-line block ×4, first 2 shown]
	v_mul_u64_e32 v[6:7], s[6:7], v[4:5]
	v_add_nc_u64_e32 v[44:45], 4, v[4:5]
	v_add_nc_u64_e32 v[18:19], 10, v[8:9]
	v_mad_nc_u64_u32 v[22:23], s6, v10, s[8:9]
	v_mul_lo_u32 v3, s6, v11
	v_mul_lo_u32 v42, s7, v10
	v_mad_nc_u64_u32 v[24:25], s6, v12, s[8:9]
	v_mul_lo_u32 v43, s6, v13
	v_mul_lo_u32 v46, s7, v12
	v_mad_nc_u64_u32 v[34:35], s6, v10, s[10:11]
	v_mad_nc_u64_u32 v[36:37], s6, v12, s[10:11]
	v_add_nc_u64_e32 v[10:11], 7, v[4:5]
	v_add_nc_u64_e32 v[12:13], 6, v[4:5]
	v_mad_nc_u64_u32 v[26:27], s6, v14, s[8:9]
	v_mul_lo_u32 v52, s6, v15
	v_mul_lo_u32 v53, s7, v14
	v_mad_nc_u64_u32 v[28:29], s6, v16, s[8:9]
	v_mul_lo_u32 v54, s6, v17
	v_mul_lo_u32 v55, s7, v16
	v_add3_u32 v23, v42, v23, v3
	v_add3_u32 v25, v46, v25, v43
	v_mad_nc_u64_u32 v[40:41], s6, v14, s[10:11]
	v_mul_u64_e32 v[10:11], s[6:7], v[10:11]
	v_add3_u32 v35, v42, v35, v3
	v_add_nc_u64_e32 v[14:15], 5, v[4:5]
	v_mul_u64_e32 v[12:13], s[6:7], v[12:13]
	v_add3_u32 v37, v46, v37, v43
	v_mad_nc_u64_u32 v[42:43], s6, v16, s[10:11]
	v_add_nc_u64_e32 v[16:17], 3, v[4:5]
	v_add_nc_u64_e32 v[4:5], 2, v[4:5]
	v_mul_u64_e32 v[62:63], s[6:7], v[44:45]
	v_mul_u64_e32 v[14:15], s[6:7], v[14:15]
	v_add_nc_u64_e32 v[32:33], 12, v[8:9]
	v_add_nc_u64_e32 v[8:9], 14, v[8:9]
	v_mad_nc_u64_u32 v[30:31], s6, v18, s[8:9]
	v_mul_u64_e32 v[16:17], s[6:7], v[16:17]
	v_mul_u64_e32 v[4:5], s[6:7], v[4:5]
	v_mul_lo_u32 v19, s6, v19
	v_mul_lo_u32 v56, s7, v18
	v_mad_nc_u64_u32 v[44:45], s6, v18, s[10:11]
	v_mad_nc_u64_u32 v[46:47], s6, v8, s[8:9]
	v_mul_lo_u32 v3, s6, v9
	v_mul_lo_u32 v18, s7, v8
	v_mad_nc_u64_u32 v[50:51], s6, v8, s[10:11]
	v_dual_mov_b32 v9, v2 :: v_dual_add_nc_u32 v8, s3, v90
	v_add3_u32 v27, v53, v27, v52
	v_mad_nc_u64_u32 v[38:39], s6, v32, s[8:9]
	v_mul_lo_u32 v57, s7, v32
	v_add3_u32 v31, v56, v31, v19
	v_mad_nc_u64_u32 v[48:49], s6, v32, s[10:11]
	v_add3_u32 v41, v53, v41, v52
	v_add3_u32 v45, v56, v45, v19
	;; [unrolled: 1-line block ×4, first 2 shown]
	v_lshlrev_b64_e32 v[18:19], 1, v[6:7]
	v_lshlrev_b64_e32 v[10:11], 1, v[10:11]
	v_add_nc_u64_e32 v[6:7], s[6:7], v[6:7]
	v_mov_b32_e32 v32, 0
	v_lshlrev_b64_e32 v[52:53], 1, v[8:9]
	v_lshlrev_b64_e32 v[8:9], 1, v[12:13]
	v_mul_lo_u32 v33, s6, v33
	v_lshlrev_b64_e32 v[12:13], 1, v[62:63]
	v_add_nc_u64_e32 v[58:59], s[8:9], v[10:11]
	v_add_nc_u64_e32 v[60:61], s[10:11], v[10:11]
	v_lshlrev_b64_e32 v[10:11], 1, v[14:15]
	v_lshlrev_b64_e32 v[6:7], 1, v[6:7]
	v_add_nc_u64_e32 v[62:63], s[8:9], v[8:9]
	v_add_nc_u64_e32 v[64:65], s[10:11], v[8:9]
	v_lshlrev_b64_e32 v[8:9], 1, v[16:17]
	v_lshlrev_b64_e32 v[4:5], 1, v[4:5]
	s_mov_b32 s3, 0
	v_add3_u32 v29, v55, v29, v54
	v_add3_u32 v43, v55, v43, v54
	v_add3_u32 v39, v57, v39, v33
	v_add3_u32 v49, v57, v49, v33
	v_add_nc_u64_e32 v[54:55], s[8:9], v[18:19]
	v_add_nc_u64_e32 v[56:57], s[10:11], v[18:19]
	;; [unrolled: 1-line block ×12, first 2 shown]
	s_wait_kmcnt 0x0
	s_lshl_b32 s20, s2, 7
	s_mov_b32 s21, s3
	v_mov_b32_e32 v33, v2
	s_mul_u64 s[38:39], s[6:7], s[20:21]
	s_mov_b64 s[8:9], 0xffffffffffffff81
	s_mov_b64 s[10:11], 0xffffffffffffff82
	s_add_nc_u64 s[36:37], s[0:1], 64
	s_lshl_b64 s[38:39], s[38:39], 1
	s_add_nc_u64 s[40:41], s[18:19], 0x7f
	s_branch .LBB103_55
.LBB103_52:                             ;   in Loop: Header=BB103_55 Depth=1
	s_wait_xcnt 0x0
	s_or_b32 exec_lo, exec_lo, s17
.LBB103_53:                             ;   in Loop: Header=BB103_55 Depth=1
	s_delay_alu instid0(SALU_CYCLE_1)
	s_or_b32 exec_lo, exec_lo, s2
	v_add_nc_u64_e32 v[4:5], v[54:55], v[52:53]
	v_add_nc_u64_e32 v[8:9], v[56:57], v[52:53]
	;; [unrolled: 1-line block ×5, first 2 shown]
	s_wait_loadcnt 0x1
	ds_bpermute_b32 v94, v2, v3 offset:4
	ds_bpermute_b32 v96, v2, v3 offset:8
	global_load_u16 v7, v[4:5], off
	global_load_u16 v16, v[8:9], off
	;; [unrolled: 1-line block ×3, first 2 shown]
	s_wait_xcnt 0x2
	v_add_nc_u64_e32 v[4:5], v[36:37], v[52:53]
	s_wait_xcnt 0x1
	v_add_nc_u64_e32 v[8:9], v[26:27], v[52:53]
	;; [unrolled: 2-line block ×3, first 2 shown]
	global_load_u16 v18, v[12:13], off
	global_load_u16 v19, v[14:15], off
	s_wait_xcnt 0x1
	v_add_nc_u64_e32 v[12:13], v[28:29], v[52:53]
	s_wait_xcnt 0x0
	v_add_nc_u64_e32 v[14:15], v[42:43], v[52:53]
	global_load_u16 v32, v[4:5], off
	global_load_u16 v33, v[8:9], off
	;; [unrolled: 1-line block ×3, first 2 shown]
	s_wait_xcnt 0x2
	v_add_nc_u64_e32 v[4:5], v[30:31], v[52:53]
	global_load_u16 v12, v[12:13], off
	global_load_u16 v13, v[14:15], off
	v_add_nc_u64_e32 v[8:9], v[44:45], v[52:53]
	v_add_nc_u64_e32 v[10:11], v[46:47], v[52:53]
	ds_bpermute_b32 v98, v2, v3 offset:12
	global_load_u16 v14, v[4:5], off
	s_wait_xcnt 0x0
	v_add_nc_u64_e32 v[4:5], v[48:49], v[52:53]
	s_wait_loadcnt 0xb
	ds_bpermute_b32 v95, v2, v6 offset:8
	ds_bpermute_b32 v97, v2, v6 offset:12
	global_load_u16 v15, v[8:9], off
	s_wait_xcnt 0x0
	v_add_nc_u64_e32 v[8:9], v[38:39], v[52:53]
	ds_bpermute_b32 v99, v2, v6 offset:16
	ds_bpermute_b32 v100, v2, v3 offset:16
	global_load_u16 v89, v[4:5], off
	s_wait_xcnt 0x0
	v_add_nc_u64_e32 v[4:5], v[50:51], v[52:53]
	ds_bpermute_b32 v101, v2, v6 offset:20
	global_load_u16 v91, v[8:9], off
	global_load_u16 v92, v[4:5], off
	;; [unrolled: 1-line block ×3, first 2 shown]
	s_wait_xcnt 0x2
	ds_bpermute_b32 v9, v2, v3
	s_wait_xcnt 0x1
	ds_bpermute_b32 v5, v2, v6
	s_wait_xcnt 0x0
	ds_bpermute_b32 v11, v2, v6 offset:4
	ds_bpermute_b32 v103, v2, v6 offset:24
	ds_bpermute_b32 v105, v2, v6 offset:28
	ds_bpermute_b32 v102, v2, v3 offset:20
	ds_bpermute_b32 v104, v2, v3 offset:24
	ds_bpermute_b32 v3, v2, v3 offset:28
	s_wait_loadcnt 0xe
	v_dual_lshlrev_b32 v4, 16, v7 :: v_dual_lshlrev_b32 v10, 16, v16
	s_wait_loadcnt 0xc
	v_dual_lshlrev_b32 v6, 16, v17 :: v_dual_lshlrev_b32 v7, 16, v18
	s_wait_loadcnt_dscnt 0xb07
	s_delay_alu instid0(VALU_DEP_2)
	v_dual_sub_f32 v9, v10, v9 :: v_dual_lshlrev_b32 v8, 16, v19
	s_wait_loadcnt 0x9
	v_dual_lshlrev_b32 v16, 16, v32 :: v_dual_lshlrev_b32 v10, 16, v33
	s_wait_loadcnt 0x8
	v_dual_lshlrev_b32 v17, 16, v88 :: v_dual_sub_f32 v7, v7, v94
	v_mul_f32_e32 v9, v9, v4
	s_wait_loadcnt 0x6
	v_dual_lshlrev_b32 v12, 16, v12 :: v_dual_lshlrev_b32 v13, 16, v13
	s_delay_alu instid0(VALU_DEP_3) | instskip(SKIP_2) | instid1(VALU_DEP_2)
	v_dual_sub_f32 v16, v16, v96 :: v_dual_mul_f32 v7, v7, v6
	s_wait_loadcnt_dscnt 0x506
	v_dual_mul_f32 v5, v9, v5 :: v_dual_lshlrev_b32 v14, 16, v14
	v_dual_sub_f32 v9, v17, v98 :: v_dual_mul_f32 v16, v16, v8
	s_wait_dscnt 0x5
	v_mul_f32_e32 v7, v7, v11
	s_delay_alu instid0(VALU_DEP_3) | instskip(SKIP_3) | instid1(VALU_DEP_3)
	v_pk_add_f32 v[4:5], v[86:87], v[4:5]
	s_wait_loadcnt 0x4
	v_dual_lshlrev_b32 v11, 16, v15 :: v_dual_sub_f32 v13, v13, v100
	v_dual_mul_f32 v15, v9, v10 :: v_dual_mul_f32 v9, v16, v95
	v_pk_add_f32 v[4:5], v[4:5], v[6:7]
	s_wait_loadcnt_dscnt 0x302
	s_delay_alu instid0(VALU_DEP_3) | instskip(NEXT) | instid1(VALU_DEP_3)
	v_dual_sub_f32 v16, v11, v102 :: v_dual_lshlrev_b32 v7, 16, v89
	v_dual_mul_f32 v13, v13, v12 :: v_dual_mul_f32 v11, v15, v97
	s_delay_alu instid0(VALU_DEP_3) | instskip(SKIP_1) | instid1(VALU_DEP_3)
	v_pk_add_f32 v[4:5], v[4:5], v[8:9]
	s_wait_loadcnt_dscnt 0x201
	v_dual_sub_f32 v7, v7, v104 :: v_dual_lshlrev_b32 v6, 16, v91
	s_delay_alu instid0(VALU_DEP_3) | instskip(NEXT) | instid1(VALU_DEP_3)
	v_dual_mul_f32 v9, v16, v14 :: v_dual_mul_f32 v13, v13, v99
	v_pk_add_f32 v[4:5], v[4:5], v[10:11]
	s_wait_loadcnt 0x0
	v_dual_lshlrev_b32 v10, 16, v92 :: v_dual_lshlrev_b32 v8, 16, v93
	s_delay_alu instid0(VALU_DEP_3) | instskip(NEXT) | instid1(VALU_DEP_3)
	v_dual_mul_f32 v7, v7, v6 :: v_dual_mul_f32 v15, v9, v101
	v_pk_add_f32 v[4:5], v[4:5], v[12:13]
	s_wait_dscnt 0x0
	s_delay_alu instid0(VALU_DEP_3) | instskip(NEXT) | instid1(VALU_DEP_3)
	v_sub_f32_e32 v3, v10, v3
	v_mul_f32_e32 v7, v7, v103
	s_delay_alu instid0(VALU_DEP_3) | instskip(NEXT) | instid1(VALU_DEP_3)
	v_pk_add_f32 v[4:5], v[4:5], v[14:15]
	v_mul_f32_e32 v3, v3, v8
	s_delay_alu instid0(VALU_DEP_2) | instskip(NEXT) | instid1(VALU_DEP_2)
	v_pk_add_f32 v[4:5], v[4:5], v[6:7]
	v_mul_f32_e32 v9, v3, v105
	s_delay_alu instid0(VALU_DEP_1)
	v_pk_add_f32 v[32:33], v[4:5], v[8:9]
.LBB103_54:                             ;   in Loop: Header=BB103_55 Depth=1
	s_add_nc_u64 s[18:19], s[18:19], s[20:21]
	v_add_nc_u64_e32 v[54:55], s[38:39], v[54:55]
	v_cmp_ge_i64_e64 s2, s[18:19], s[4:5]
	v_add_nc_u64_e32 v[56:57], s[38:39], v[56:57]
	v_add_nc_u64_e32 v[22:23], s[38:39], v[22:23]
	;; [unrolled: 1-line block ×29, first 2 shown]
	s_and_b32 vcc_lo, exec_lo, s2
	s_add_nc_u64 s[40:41], s[40:41], s[20:21]
	s_cbranch_vccnz .LBB103_81
.LBB103_55:                             ; =>This Inner Loop Header: Depth=1
	v_cmp_ge_i64_e64 s2, s[40:41], s[4:5]
	v_add_nc_u64_e32 v[88:89], s[40:41], v[20:21]
	v_dual_mov_b32 v86, v32 :: v_dual_mov_b32 v87, v33
                                        ; implicit-def: $vgpr33
	s_and_b32 vcc_lo, exec_lo, s2
	s_mov_b32 s2, -1
	s_cbranch_vccz .LBB103_77
; %bb.56:                               ;   in Loop: Header=BB103_55 Depth=1
	s_load_b32 s2, s[36:37], 0xc
	v_dual_mov_b32 v33, 0 :: v_dual_mov_b32 v32, 0
	s_wait_kmcnt 0x0
	s_and_b32 s2, s2, 0xffff
	s_delay_alu instid0(SALU_CYCLE_1) | instskip(SKIP_1) | instid1(VALU_DEP_1)
	v_mad_u32_u24 v3, v1, s2, v90
	s_mov_b32 s2, exec_lo
	v_and_b32_e32 v4, 31, v3
	s_delay_alu instid0(VALU_DEP_1)
	v_cmpx_gt_u32_e32 8, v4
	s_cbranch_execz .LBB103_60
; %bb.57:                               ;   in Loop: Header=BB103_55 Depth=1
	v_dual_mov_b32 v5, v2 :: v_dual_mov_b32 v33, 0
	v_mov_b32_e32 v32, 0
	s_mov_b32 s17, exec_lo
	s_delay_alu instid0(VALU_DEP_2) | instskip(NEXT) | instid1(VALU_DEP_1)
	v_add_nc_u64_e32 v[4:5], v[88:89], v[4:5]
	v_add_nc_u64_e32 v[4:5], s[8:9], v[4:5]
	s_delay_alu instid0(VALU_DEP_1)
	v_cmpx_gt_i64_e64 s[4:5], v[4:5]
	s_cbranch_execz .LBB103_59
; %bb.58:                               ;   in Loop: Header=BB103_55 Depth=1
	v_lshlrev_b64_e32 v[4:5], 2, v[4:5]
	s_delay_alu instid0(VALU_DEP_1)
	v_add_nc_u64_e32 v[6:7], s[12:13], v[4:5]
	v_add_nc_u64_e32 v[4:5], s[14:15], v[4:5]
	global_load_b32 v33, v[6:7], off
	global_load_b32 v32, v[4:5], off
.LBB103_59:                             ;   in Loop: Header=BB103_55 Depth=1
	s_wait_xcnt 0x0
	s_or_b32 exec_lo, exec_lo, s17
.LBB103_60:                             ;   in Loop: Header=BB103_55 Depth=1
	s_delay_alu instid0(SALU_CYCLE_1)
	s_or_b32 exec_lo, exec_lo, s2
	v_add_nc_u64_e32 v[10:11], s[8:9], v[88:89]
	v_dual_mov_b32 v7, v2 :: v_dual_mov_b32 v8, v2
	v_dual_mov_b32 v9, v2 :: v_dual_mov_b32 v3, v2
	;; [unrolled: 1-line block ×3, first 2 shown]
	v_mov_b32_e32 v6, v2
	s_delay_alu instid0(VALU_DEP_3)
	v_mov_b64_e32 v[18:19], v[8:9]
	v_cmp_gt_i64_e32 vcc_lo, s[4:5], v[10:11]
	v_mov_b64_e32 v[12:13], v[2:3]
	v_mov_b64_e32 v[14:15], v[4:5]
	;; [unrolled: 1-line block ×7, first 2 shown]
	s_and_saveexec_b32 s2, vcc_lo
	s_cbranch_execz .LBB103_62
; %bb.61:                               ;   in Loop: Header=BB103_55 Depth=1
	v_add_nc_u64_e32 v[4:5], v[54:55], v[52:53]
	v_add_nc_u64_e32 v[6:7], v[56:57], v[52:53]
	v_dual_mov_b32 v9, v2 :: v_dual_mov_b32 v10, v2
	v_dual_mov_b32 v11, v2 :: v_dual_mov_b32 v13, v2
	;; [unrolled: 1-line block ×3, first 2 shown]
	global_load_u16 v3, v[4:5], off
	global_load_u16 v12, v[6:7], off
	s_wait_xcnt 0x0
	v_dual_mov_b32 v5, v2 :: v_dual_mov_b32 v6, v2
	v_dual_mov_b32 v7, v2 :: v_dual_mov_b32 v8, v2
	;; [unrolled: 1-line block ×4, first 2 shown]
	s_wait_loadcnt 0x0
	v_dual_lshlrev_b32 v4, 16, v3 :: v_dual_lshlrev_b32 v12, 16, v12
.LBB103_62:                             ;   in Loop: Header=BB103_55 Depth=1
	s_or_b32 exec_lo, exec_lo, s2
	v_add_nc_u64_e32 v[92:93], s[10:11], v[88:89]
	s_mov_b32 s2, exec_lo
	s_delay_alu instid0(VALU_DEP_1)
	v_cmpx_gt_i64_e64 s[4:5], v[92:93]
	s_cbranch_execz .LBB103_64
; %bb.63:                               ;   in Loop: Header=BB103_55 Depth=1
	v_add_nc_u64_e32 v[92:93], v[82:83], v[52:53]
	v_add_nc_u64_e32 v[94:95], v[84:85], v[52:53]
	global_load_u16 v3, v[92:93], off
	global_load_u16 v13, v[94:95], off
	s_wait_loadcnt 0x0
	v_dual_lshlrev_b32 v5, 16, v3 :: v_dual_lshlrev_b32 v13, 16, v13
.LBB103_64:                             ;   in Loop: Header=BB103_55 Depth=1
	s_or_b32 exec_lo, exec_lo, s2
	v_add_nc_u64_e32 v[92:93], s[22:23], v[88:89]
	s_mov_b32 s2, exec_lo
	s_delay_alu instid0(VALU_DEP_1)
	v_cmpx_gt_i64_e64 s[4:5], v[92:93]
	s_cbranch_execz .LBB103_66
; %bb.65:                               ;   in Loop: Header=BB103_55 Depth=1
	v_add_nc_u64_e32 v[92:93], v[78:79], v[52:53]
	v_add_nc_u64_e32 v[94:95], v[80:81], v[52:53]
	global_load_u16 v3, v[92:93], off
	global_load_u16 v14, v[94:95], off
	s_wait_loadcnt 0x0
	v_dual_lshlrev_b32 v6, 16, v3 :: v_dual_lshlrev_b32 v14, 16, v14
.LBB103_66:                             ;   in Loop: Header=BB103_55 Depth=1
	s_or_b32 exec_lo, exec_lo, s2
	v_add_nc_u64_e32 v[92:93], s[24:25], v[88:89]
	s_mov_b32 s2, exec_lo
	s_delay_alu instid0(VALU_DEP_1)
	v_cmpx_gt_i64_e64 s[4:5], v[92:93]
	s_cbranch_execz .LBB103_68
; %bb.67:                               ;   in Loop: Header=BB103_55 Depth=1
	v_add_nc_u64_e32 v[92:93], v[74:75], v[52:53]
	v_add_nc_u64_e32 v[94:95], v[76:77], v[52:53]
	global_load_u16 v3, v[92:93], off
	global_load_u16 v15, v[94:95], off
	s_wait_loadcnt 0x1
	v_lshlrev_b32_e32 v7, 16, v3
	s_wait_loadcnt 0x0
	v_lshlrev_b32_e32 v15, 16, v15
.LBB103_68:                             ;   in Loop: Header=BB103_55 Depth=1
	s_or_b32 exec_lo, exec_lo, s2
	v_add_nc_u64_e32 v[92:93], s[26:27], v[88:89]
	s_mov_b32 s2, exec_lo
	s_delay_alu instid0(VALU_DEP_1)
	v_cmpx_gt_i64_e64 s[4:5], v[92:93]
	s_cbranch_execz .LBB103_70
; %bb.69:                               ;   in Loop: Header=BB103_55 Depth=1
	v_add_nc_u64_e32 v[92:93], v[70:71], v[52:53]
	v_add_nc_u64_e32 v[94:95], v[72:73], v[52:53]
	global_load_u16 v3, v[92:93], off
	global_load_u16 v16, v[94:95], off
	s_wait_loadcnt 0x0
	v_dual_lshlrev_b32 v8, 16, v3 :: v_dual_lshlrev_b32 v16, 16, v16
.LBB103_70:                             ;   in Loop: Header=BB103_55 Depth=1
	s_or_b32 exec_lo, exec_lo, s2
	v_add_nc_u64_e32 v[92:93], s[28:29], v[88:89]
	s_mov_b32 s2, exec_lo
	s_delay_alu instid0(VALU_DEP_1)
	v_cmpx_gt_i64_e64 s[4:5], v[92:93]
	s_cbranch_execz .LBB103_72
; %bb.71:                               ;   in Loop: Header=BB103_55 Depth=1
	v_add_nc_u64_e32 v[92:93], v[66:67], v[52:53]
	v_add_nc_u64_e32 v[94:95], v[68:69], v[52:53]
	global_load_u16 v3, v[92:93], off
	global_load_u16 v17, v[94:95], off
	s_wait_loadcnt 0x0
	v_dual_lshlrev_b32 v9, 16, v3 :: v_dual_lshlrev_b32 v17, 16, v17
.LBB103_72:                             ;   in Loop: Header=BB103_55 Depth=1
	;; [unrolled: 14-line block ×3, first 2 shown]
	s_or_b32 exec_lo, exec_lo, s2
	v_add_nc_u64_e32 v[92:93], s[34:35], v[88:89]
	s_mov_b32 s2, exec_lo
	s_delay_alu instid0(VALU_DEP_1)
	v_cmpx_gt_i64_e64 s[4:5], v[92:93]
	s_cbranch_execz .LBB103_76
; %bb.75:                               ;   in Loop: Header=BB103_55 Depth=1
	v_add_nc_u64_e32 v[92:93], v[58:59], v[52:53]
	v_add_nc_u64_e32 v[94:95], v[60:61], v[52:53]
	global_load_u16 v3, v[92:93], off
	global_load_u16 v19, v[94:95], off
	s_wait_loadcnt 0x1
	v_lshlrev_b32_e32 v11, 16, v3
	s_wait_loadcnt 0x0
	v_lshlrev_b32_e32 v19, 16, v19
.LBB103_76:                             ;   in Loop: Header=BB103_55 Depth=1
	s_or_b32 exec_lo, exec_lo, s2
	s_wait_loadcnt 0x1
	ds_bpermute_b32 v3, v2, v33
	ds_bpermute_b32 v91, v2, v33 offset:4
	ds_bpermute_b32 v93, v2, v33 offset:8
	s_wait_loadcnt 0x0
	ds_bpermute_b32 v94, v2, v32
	ds_bpermute_b32 v95, v2, v33 offset:12
	ds_bpermute_b32 v96, v2, v32 offset:4
	;; [unrolled: 1-line block ×10, first 2 shown]
	s_mov_b32 s2, 0
	s_wait_dscnt 0xd
	v_dual_mov_b32 v92, v6 :: v_dual_sub_f32 v3, v12, v3
	s_wait_dscnt 0xc
	v_dual_mov_b32 v12, v4 :: v_dual_sub_f32 v13, v13, v91
	s_wait_dscnt 0x9
	v_sub_f32_e32 v15, v15, v95
	v_dual_mul_f32 v3, v4, v3 :: v_dual_mov_b32 v4, v5
	v_sub_f32_e32 v14, v14, v93
	s_wait_dscnt 0x6
	v_dual_mul_f32 v5, v5, v13 :: v_dual_sub_f32 v16, v16, v100
	s_delay_alu instid0(VALU_DEP_3) | instskip(SKIP_4) | instid1(VALU_DEP_3)
	v_mul_f32_e32 v13, v3, v94
	ds_bpermute_b32 v3, v2, v33 offset:28
	v_dual_mul_f32 v14, v6, v14 :: v_dual_mul_f32 v5, v5, v96
	v_mov_b32_e32 v6, v7
	v_pk_add_f32 v[12:13], v[86:87], v[12:13]
	v_dual_mul_f32 v7, v7, v15 :: v_dual_mul_f32 v93, v14, v97
	ds_bpermute_b32 v14, v2, v32 offset:28
	v_mul_f32_e32 v15, v8, v16
	v_pk_add_f32 v[4:5], v[4:5], v[12:13]
	s_wait_dscnt 0x6
	v_sub_f32_e32 v13, v17, v102
	v_dual_mul_f32 v7, v7, v98 :: v_dual_mov_b32 v12, v8
	s_wait_dscnt 0x4
	v_sub_f32_e32 v8, v18, v104
	v_pk_add_f32 v[4:5], v[92:93], v[4:5]
	v_dual_mul_f32 v16, v9, v13 :: v_dual_mul_f32 v13, v15, v99
	s_delay_alu instid0(VALU_DEP_2) | instskip(SKIP_2) | instid1(VALU_DEP_3)
	v_pk_add_f32 v[4:5], v[6:7], v[4:5]
	s_wait_dscnt 0x1
	v_dual_mov_b32 v6, v9 :: v_dual_sub_f32 v3, v19, v3
	v_dual_mul_f32 v9, v10, v8 :: v_dual_mul_f32 v7, v16, v101
	v_mov_b32_e32 v8, v10
	v_pk_add_f32 v[4:5], v[12:13], v[4:5]
	s_delay_alu instid0(VALU_DEP_4) | instskip(NEXT) | instid1(VALU_DEP_2)
	v_mul_f32_e32 v3, v11, v3
	v_pk_add_f32 v[4:5], v[6:7], v[4:5]
	v_dual_mov_b32 v6, v11 :: v_dual_mul_f32 v9, v9, v103
	s_wait_dscnt 0x0
	s_delay_alu instid0(VALU_DEP_3) | instskip(NEXT) | instid1(VALU_DEP_2)
	v_mul_f32_e32 v7, v3, v14
	v_pk_add_f32 v[4:5], v[8:9], v[4:5]
	s_delay_alu instid0(VALU_DEP_1)
	v_pk_add_f32 v[32:33], v[6:7], v[4:5]
.LBB103_77:                             ;   in Loop: Header=BB103_55 Depth=1
	s_and_b32 vcc_lo, exec_lo, s2
	s_cbranch_vccz .LBB103_54
; %bb.78:                               ;   in Loop: Header=BB103_55 Depth=1
	s_load_b32 s2, s[36:37], 0x0
	v_mov_b32_e32 v6, 0
	s_wait_kmcnt 0x0
	s_cmp_lt_u32 s16, s2
	s_cselect_b32 s2, 12, 18
	s_delay_alu instid0(SALU_CYCLE_1) | instskip(SKIP_4) | instid1(VALU_DEP_1)
	s_add_nc_u64 s[42:43], s[36:37], s[2:3]
	s_load_u16 s2, s[42:43], 0x0
	s_wait_kmcnt 0x0
	v_mad_u32_u24 v3, v1, s2, v90
	s_mov_b32 s2, exec_lo
	v_dual_mov_b32 v3, 0 :: v_dual_bitop2_b32 v4, 31, v3 bitop3:0x40
	s_delay_alu instid0(VALU_DEP_1)
	v_cmpx_gt_u32_e32 8, v4
	s_cbranch_execz .LBB103_53
; %bb.79:                               ;   in Loop: Header=BB103_55 Depth=1
	v_dual_mov_b32 v5, v2 :: v_dual_mov_b32 v3, 0
	v_mov_b32_e32 v6, 0
	s_mov_b32 s17, exec_lo
	s_delay_alu instid0(VALU_DEP_2) | instskip(NEXT) | instid1(VALU_DEP_1)
	v_add_nc_u64_e32 v[4:5], v[88:89], v[4:5]
	v_add_nc_u64_e32 v[4:5], s[8:9], v[4:5]
	s_delay_alu instid0(VALU_DEP_1)
	v_cmpx_gt_i64_e64 s[4:5], v[4:5]
	s_cbranch_execz .LBB103_52
; %bb.80:                               ;   in Loop: Header=BB103_55 Depth=1
	v_lshlrev_b64_e32 v[4:5], 2, v[4:5]
	s_delay_alu instid0(VALU_DEP_1)
	v_add_nc_u64_e32 v[6:7], s[12:13], v[4:5]
	v_add_nc_u64_e32 v[4:5], s[14:15], v[4:5]
	global_load_b32 v3, v[6:7], off
	global_load_b32 v6, v[4:5], off
	s_branch .LBB103_52
.LBB103_81:
	v_and_b32_e32 v1, 0x3ff, v0
	v_bfe_u32 v0, v0, 10, 10
	s_mov_b32 s2, exec_lo
	s_delay_alu instid0(VALU_DEP_1) | instskip(NEXT) | instid1(VALU_DEP_1)
	v_mad_u32_u24 v2, 0x41, v0, v1
	v_lshl_add_u32 v3, v2, 2, 0
	v_sub_nc_u32_e32 v6, v2, v0
	ds_store_b32 v3, v33
	ds_store_b32 v3, v32 offset:4160
	s_wait_dscnt 0x0
	s_barrier_signal -1
	s_barrier_wait -1
	v_cmpx_gt_u32_e32 0x800, v6
	s_cbranch_execz .LBB103_97
; %bb.82:
	s_load_b128 s[8:11], s[0:1], 0x30
	v_dual_lshrrev_b32 v0, 5, v6 :: v_dual_bitop2_b32 v2, 31, v1 bitop3:0x40
	s_wait_xcnt 0x0
	s_delay_alu instid0(VALU_DEP_1)
	v_cmp_gt_u32_e64 s0, 16, v2
	v_mul_u32_u24_e32 v7, 0x41, v2
                                        ; implicit-def: $vgpr2
	s_and_saveexec_b32 s1, s0
	s_cbranch_execz .LBB103_84
; %bb.83:
	s_delay_alu instid0(VALU_DEP_1) | instskip(NEXT) | instid1(VALU_DEP_1)
	v_add_nc_u32_e32 v2, v0, v7
	v_lshl_add_u32 v2, v2, 2, 0
	ds_load_b32 v3, v2
	ds_load_b32 v2, v2 offset:4160
.LBB103_84:
	s_or_b32 exec_lo, exec_lo, s1
	v_mbcnt_lo_u32_b32 v11, -1, 0
	s_mov_b32 s17, 0
	v_cmp_eq_u32_e64 s1, 0, v1
	s_lshl_b64 s[2:3], s[16:17], 6
	s_wait_kmcnt 0x0
	s_cmp_lg_u64 s[8:9], 0
	v_xor_b32_e32 v9, 4, v11
	v_dual_mov_b32 v1, 0 :: v_dual_bitop2_b32 v4, 8, v11 bitop3:0x14
	s_cselect_b32 s5, -1, 0
	s_cmp_lg_u64 s[10:11], 0
	v_xor_b32_e32 v10, 2, v11
	s_delay_alu instid0(VALU_DEP_2)
	v_cmp_gt_i32_e32 vcc_lo, 32, v4
	s_cselect_b32 s4, -1, 0
	v_dual_cndmask_b32 v4, v11, v4, vcc_lo :: v_dual_bitop2_b32 v12, 1, v11 bitop3:0x14
	v_cmp_gt_i32_e32 vcc_lo, 32, v9
	v_cndmask_b32_e32 v9, v11, v9, vcc_lo
	v_cmp_gt_i32_e32 vcc_lo, 32, v10
	s_delay_alu instid0(VALU_DEP_2)
	v_dual_lshlrev_b32 v9, 2, v9 :: v_dual_lshlrev_b32 v8, 2, v4
	v_cndmask_b32_e32 v10, v11, v10, vcc_lo
	v_cmp_gt_i32_e32 vcc_lo, 32, v12
	s_wait_dscnt 0x1
	ds_bpermute_b32 v5, v8, v3
	s_wait_dscnt 0x1
	ds_bpermute_b32 v4, v8, v2
	v_dual_cndmask_b32 v11, v11, v12 :: v_dual_lshlrev_b32 v10, 2, v10
	s_wait_dscnt 0x0
	v_pk_add_f32 v[2:3], v[2:3], v[4:5]
	ds_bpermute_b32 v5, v9, v3
	ds_bpermute_b32 v4, v9, v2
	s_wait_dscnt 0x0
	v_pk_add_f32 v[2:3], v[2:3], v[4:5]
	ds_bpermute_b32 v5, v10, v3
	ds_bpermute_b32 v4, v10, v2
	s_wait_dscnt 0x0
	v_pk_add_f32 v[2:3], v[2:3], v[4:5]
	v_dual_mov_b32 v5, s3 :: v_dual_lshlrev_b32 v11, 2, v11
	v_or_b32_e32 v4, s2, v0
	ds_bpermute_b32 v13, v11, v3
	ds_bpermute_b32 v12, v11, v2
	v_cmp_gt_i64_e32 vcc_lo, s[6:7], v[4:5]
	s_and_b32 s13, s1, vcc_lo
	s_wait_dscnt 0x0
	v_pk_add_f32 v[2:3], v[2:3], v[12:13]
	s_and_saveexec_b32 s12, s13
	s_cbranch_execz .LBB103_89
; %bb.85:
	s_and_not1_b32 vcc_lo, exec_lo, s5
	s_cbranch_vccnz .LBB103_87
; %bb.86:
	v_bfe_u32 v12, v3, 16, 1
	v_cmp_o_f32_e32 vcc_lo, v3, v3
	s_delay_alu instid0(VALU_DEP_2) | instskip(NEXT) | instid1(VALU_DEP_1)
	v_add3_u32 v12, v3, v12, 0x7fff
	v_lshrrev_b32_e32 v12, 16, v12
	s_delay_alu instid0(VALU_DEP_1)
	v_cndmask_b32_e32 v14, 0x7fc0, v12, vcc_lo
	v_lshl_add_u64 v[12:13], v[4:5], 1, s[8:9]
	global_store_b16 v[12:13], v14, off
.LBB103_87:
	s_and_not1_b32 vcc_lo, exec_lo, s4
	s_cbranch_vccnz .LBB103_89
; %bb.88:
	s_wait_xcnt 0x0
	v_bfe_u32 v12, v2, 16, 1
	v_cmp_o_f32_e32 vcc_lo, v2, v2
	v_lshl_add_u64 v[4:5], v[4:5], 1, s[10:11]
	s_delay_alu instid0(VALU_DEP_3) | instskip(NEXT) | instid1(VALU_DEP_1)
	v_add3_u32 v12, v2, v12, 0x7fff
	v_lshrrev_b32_e32 v12, 16, v12
	s_delay_alu instid0(VALU_DEP_1)
	v_cndmask_b32_e32 v12, 0x7fc0, v12, vcc_lo
	global_store_b16 v[4:5], v12, off
.LBB103_89:
	s_wait_xcnt 0x0
	s_or_b32 exec_lo, exec_lo, s12
	v_cmp_gt_u32_e32 vcc_lo, 0x400, v6
	s_and_b32 exec_lo, exec_lo, vcc_lo
	s_cbranch_execz .LBB103_97
; %bb.90:
	s_and_saveexec_b32 s12, s0
	s_cbranch_execz .LBB103_92
; %bb.91:
	v_add_nc_u32_e32 v2, v0, v7
	s_delay_alu instid0(VALU_DEP_1)
	v_lshl_add_u32 v2, v2, 2, 0
	ds_load_b32 v3, v2 offset:128
	ds_load_b32 v2, v2 offset:4288
.LBB103_92:
	s_or_b32 exec_lo, exec_lo, s12
	s_wait_dscnt 0x1
	ds_bpermute_b32 v4, v8, v3
	s_wait_dscnt 0x1
	ds_bpermute_b32 v5, v8, v2
	v_dual_mov_b32 v7, s3 :: v_dual_add_nc_u32 v6, 32, v0
	s_delay_alu instid0(VALU_DEP_1) | instskip(NEXT) | instid1(VALU_DEP_1)
	v_or_b32_e32 v6, s2, v6
	v_cmp_gt_i64_e32 vcc_lo, s[6:7], v[6:7]
	s_and_b32 s0, s1, vcc_lo
	s_wait_dscnt 0x0
	v_dual_add_f32 v3, v3, v4 :: v_dual_add_f32 v2, v2, v5
	ds_bpermute_b32 v4, v9, v3
	ds_bpermute_b32 v5, v9, v2
	s_wait_dscnt 0x0
	v_dual_add_f32 v3, v3, v4 :: v_dual_add_f32 v2, v2, v5
	ds_bpermute_b32 v4, v10, v3
	ds_bpermute_b32 v5, v10, v2
	;; [unrolled: 4-line block ×3, first 2 shown]
	s_and_b32 exec_lo, exec_lo, s0
	s_cbranch_execz .LBB103_97
; %bb.93:
	v_add_nc_u64_e32 v[0:1], s[2:3], v[0:1]
	s_and_not1_b32 vcc_lo, exec_lo, s5
	s_cbranch_vccnz .LBB103_95
; %bb.94:
	s_wait_dscnt 0x1
	v_add_f32_e32 v4, v4, v5
	s_delay_alu instid0(VALU_DEP_1) | instskip(NEXT) | instid1(VALU_DEP_1)
	v_bfe_u32 v5, v4, 16, 1
	v_add3_u32 v5, v4, v5, 0x7fff
	s_delay_alu instid0(VALU_DEP_1) | instskip(SKIP_1) | instid1(VALU_DEP_2)
	v_lshrrev_b32_e32 v5, 16, v5
	v_cmp_o_f32_e32 vcc_lo, v4, v4
	v_cndmask_b32_e32 v6, 0x7fc0, v5, vcc_lo
	v_lshl_add_u64 v[4:5], v[0:1], 1, s[8:9]
	global_store_b16 v[4:5], v6, off offset:64
.LBB103_95:
	s_and_not1_b32 vcc_lo, exec_lo, s4
	s_cbranch_vccnz .LBB103_97
; %bb.96:
	s_wait_dscnt 0x0
	v_add_f32_e32 v2, v2, v3
	v_lshl_add_u64 v[0:1], v[0:1], 1, s[10:11]
	s_delay_alu instid0(VALU_DEP_2) | instskip(NEXT) | instid1(VALU_DEP_1)
	v_bfe_u32 v3, v2, 16, 1
	v_add3_u32 v3, v2, v3, 0x7fff
	s_delay_alu instid0(VALU_DEP_1) | instskip(SKIP_1) | instid1(VALU_DEP_2)
	v_lshrrev_b32_e32 v3, 16, v3
	v_cmp_o_f32_e32 vcc_lo, v2, v2
	v_cndmask_b32_e32 v2, 0x7fc0, v3, vcc_lo
	global_store_b16 v[0:1], v2, off offset:64
.LBB103_97:
	s_sendmsg sendmsg(MSG_DEALLOC_VGPRS)
	s_endpgm
	.section	.rodata,"a",@progbits
	.p2align	6, 0x0
	.amdhsa_kernel _ZN2at6native12_GLOBAL__N_135GammaBetaBackwardCUDAKernelTemplateIN3c108BFloat16EfLj64ELj16ELj128ELb0ELb0ELb0EEEvllPKT_S7_PKT0_SA_PS5_SB_
		.amdhsa_group_segment_fixed_size 0
		.amdhsa_private_segment_fixed_size 0
		.amdhsa_kernarg_size 320
		.amdhsa_user_sgpr_count 2
		.amdhsa_user_sgpr_dispatch_ptr 0
		.amdhsa_user_sgpr_queue_ptr 0
		.amdhsa_user_sgpr_kernarg_segment_ptr 1
		.amdhsa_user_sgpr_dispatch_id 0
		.amdhsa_user_sgpr_kernarg_preload_length 0
		.amdhsa_user_sgpr_kernarg_preload_offset 0
		.amdhsa_user_sgpr_private_segment_size 0
		.amdhsa_wavefront_size32 1
		.amdhsa_uses_dynamic_stack 0
		.amdhsa_enable_private_segment 0
		.amdhsa_system_sgpr_workgroup_id_x 1
		.amdhsa_system_sgpr_workgroup_id_y 1
		.amdhsa_system_sgpr_workgroup_id_z 0
		.amdhsa_system_sgpr_workgroup_info 0
		.amdhsa_system_vgpr_workitem_id 1
		.amdhsa_next_free_vgpr 106
		.amdhsa_next_free_sgpr 52
		.amdhsa_named_barrier_count 0
		.amdhsa_reserve_vcc 1
		.amdhsa_float_round_mode_32 0
		.amdhsa_float_round_mode_16_64 0
		.amdhsa_float_denorm_mode_32 3
		.amdhsa_float_denorm_mode_16_64 3
		.amdhsa_fp16_overflow 0
		.amdhsa_memory_ordered 1
		.amdhsa_forward_progress 1
		.amdhsa_inst_pref_size 58
		.amdhsa_round_robin_scheduling 0
		.amdhsa_exception_fp_ieee_invalid_op 0
		.amdhsa_exception_fp_denorm_src 0
		.amdhsa_exception_fp_ieee_div_zero 0
		.amdhsa_exception_fp_ieee_overflow 0
		.amdhsa_exception_fp_ieee_underflow 0
		.amdhsa_exception_fp_ieee_inexact 0
		.amdhsa_exception_int_div_zero 0
	.end_amdhsa_kernel
	.section	.text._ZN2at6native12_GLOBAL__N_135GammaBetaBackwardCUDAKernelTemplateIN3c108BFloat16EfLj64ELj16ELj128ELb0ELb0ELb0EEEvllPKT_S7_PKT0_SA_PS5_SB_,"axG",@progbits,_ZN2at6native12_GLOBAL__N_135GammaBetaBackwardCUDAKernelTemplateIN3c108BFloat16EfLj64ELj16ELj128ELb0ELb0ELb0EEEvllPKT_S7_PKT0_SA_PS5_SB_,comdat
.Lfunc_end103:
	.size	_ZN2at6native12_GLOBAL__N_135GammaBetaBackwardCUDAKernelTemplateIN3c108BFloat16EfLj64ELj16ELj128ELb0ELb0ELb0EEEvllPKT_S7_PKT0_SA_PS5_SB_, .Lfunc_end103-_ZN2at6native12_GLOBAL__N_135GammaBetaBackwardCUDAKernelTemplateIN3c108BFloat16EfLj64ELj16ELj128ELb0ELb0ELb0EEEvllPKT_S7_PKT0_SA_PS5_SB_
                                        ; -- End function
	.set _ZN2at6native12_GLOBAL__N_135GammaBetaBackwardCUDAKernelTemplateIN3c108BFloat16EfLj64ELj16ELj128ELb0ELb0ELb0EEEvllPKT_S7_PKT0_SA_PS5_SB_.num_vgpr, 106
	.set _ZN2at6native12_GLOBAL__N_135GammaBetaBackwardCUDAKernelTemplateIN3c108BFloat16EfLj64ELj16ELj128ELb0ELb0ELb0EEEvllPKT_S7_PKT0_SA_PS5_SB_.num_agpr, 0
	.set _ZN2at6native12_GLOBAL__N_135GammaBetaBackwardCUDAKernelTemplateIN3c108BFloat16EfLj64ELj16ELj128ELb0ELb0ELb0EEEvllPKT_S7_PKT0_SA_PS5_SB_.numbered_sgpr, 52
	.set _ZN2at6native12_GLOBAL__N_135GammaBetaBackwardCUDAKernelTemplateIN3c108BFloat16EfLj64ELj16ELj128ELb0ELb0ELb0EEEvllPKT_S7_PKT0_SA_PS5_SB_.num_named_barrier, 0
	.set _ZN2at6native12_GLOBAL__N_135GammaBetaBackwardCUDAKernelTemplateIN3c108BFloat16EfLj64ELj16ELj128ELb0ELb0ELb0EEEvllPKT_S7_PKT0_SA_PS5_SB_.private_seg_size, 0
	.set _ZN2at6native12_GLOBAL__N_135GammaBetaBackwardCUDAKernelTemplateIN3c108BFloat16EfLj64ELj16ELj128ELb0ELb0ELb0EEEvllPKT_S7_PKT0_SA_PS5_SB_.uses_vcc, 1
	.set _ZN2at6native12_GLOBAL__N_135GammaBetaBackwardCUDAKernelTemplateIN3c108BFloat16EfLj64ELj16ELj128ELb0ELb0ELb0EEEvllPKT_S7_PKT0_SA_PS5_SB_.uses_flat_scratch, 0
	.set _ZN2at6native12_GLOBAL__N_135GammaBetaBackwardCUDAKernelTemplateIN3c108BFloat16EfLj64ELj16ELj128ELb0ELb0ELb0EEEvllPKT_S7_PKT0_SA_PS5_SB_.has_dyn_sized_stack, 0
	.set _ZN2at6native12_GLOBAL__N_135GammaBetaBackwardCUDAKernelTemplateIN3c108BFloat16EfLj64ELj16ELj128ELb0ELb0ELb0EEEvllPKT_S7_PKT0_SA_PS5_SB_.has_recursion, 0
	.set _ZN2at6native12_GLOBAL__N_135GammaBetaBackwardCUDAKernelTemplateIN3c108BFloat16EfLj64ELj16ELj128ELb0ELb0ELb0EEEvllPKT_S7_PKT0_SA_PS5_SB_.has_indirect_call, 0
	.section	.AMDGPU.csdata,"",@progbits
; Kernel info:
; codeLenInByte = 7372
; TotalNumSgprs: 54
; NumVgprs: 106
; ScratchSize: 0
; MemoryBound: 0
; FloatMode: 240
; IeeeMode: 1
; LDSByteSize: 0 bytes/workgroup (compile time only)
; SGPRBlocks: 0
; VGPRBlocks: 6
; NumSGPRsForWavesPerEU: 54
; NumVGPRsForWavesPerEU: 106
; NamedBarCnt: 0
; Occupancy: 9
; WaveLimiterHint : 0
; COMPUTE_PGM_RSRC2:SCRATCH_EN: 0
; COMPUTE_PGM_RSRC2:USER_SGPR: 2
; COMPUTE_PGM_RSRC2:TRAP_HANDLER: 0
; COMPUTE_PGM_RSRC2:TGID_X_EN: 1
; COMPUTE_PGM_RSRC2:TGID_Y_EN: 1
; COMPUTE_PGM_RSRC2:TGID_Z_EN: 0
; COMPUTE_PGM_RSRC2:TIDIG_COMP_CNT: 1
	.section	.text._ZN2at6native12_GLOBAL__N_135GammaBetaBackwardCUDAKernelTemplateIN3c108BFloat16EfLj64ELj16ELj256ELb0ELb1ELb0EEEvllPKT_S7_PKT0_SA_PS5_SB_,"axG",@progbits,_ZN2at6native12_GLOBAL__N_135GammaBetaBackwardCUDAKernelTemplateIN3c108BFloat16EfLj64ELj16ELj256ELb0ELb1ELb0EEEvllPKT_S7_PKT0_SA_PS5_SB_,comdat
	.globl	_ZN2at6native12_GLOBAL__N_135GammaBetaBackwardCUDAKernelTemplateIN3c108BFloat16EfLj64ELj16ELj256ELb0ELb1ELb0EEEvllPKT_S7_PKT0_SA_PS5_SB_ ; -- Begin function _ZN2at6native12_GLOBAL__N_135GammaBetaBackwardCUDAKernelTemplateIN3c108BFloat16EfLj64ELj16ELj256ELb0ELb1ELb0EEEvllPKT_S7_PKT0_SA_PS5_SB_
	.p2align	8
	.type	_ZN2at6native12_GLOBAL__N_135GammaBetaBackwardCUDAKernelTemplateIN3c108BFloat16EfLj64ELj16ELj256ELb0ELb1ELb0EEEvllPKT_S7_PKT0_SA_PS5_SB_,@function
_ZN2at6native12_GLOBAL__N_135GammaBetaBackwardCUDAKernelTemplateIN3c108BFloat16EfLj64ELj16ELj256ELb0ELb1ELb0EEEvllPKT_S7_PKT0_SA_PS5_SB_: ; @_ZN2at6native12_GLOBAL__N_135GammaBetaBackwardCUDAKernelTemplateIN3c108BFloat16EfLj64ELj16ELj256ELb0ELb1ELb0EEEvllPKT_S7_PKT0_SA_PS5_SB_
; %bb.0:
	s_load_b128 s[12:15], s[0:1], 0x0
	s_bfe_u32 s2, ttmp6, 0x40010
	s_bfe_u32 s4, ttmp6, 0x40004
	s_add_co_i32 s2, s2, 1
	s_getreg_b32 s3, hwreg(HW_REG_IB_STS2, 6, 4)
	s_mul_i32 s2, ttmp7, s2
	s_mov_b32 s17, 0
	s_add_co_i32 s4, s4, s2
	s_cmp_eq_u32 s3, 0
	v_bfe_u32 v11, v0, 10, 10
	s_cselect_b32 s2, ttmp7, s4
	s_delay_alu instid0(SALU_CYCLE_1)
	s_lshl_b32 s16, s2, 8
	s_wait_kmcnt 0x0
	v_cmp_gt_i64_e64 s2, s[12:13], s[16:17]
	s_and_b32 vcc_lo, exec_lo, s2
	s_cbranch_vccnz .LBB104_2
; %bb.1:
	v_bfe_u32 v1, v0, 10, 10
	s_mov_b32 s2, s17
	s_branch .LBB104_3
.LBB104_2:
	s_mov_b32 s2, -1
                                        ; implicit-def: $vgpr1
.LBB104_3:
	v_mov_b32_e32 v9, 0
	v_and_b32_e32 v10, 0x3ff, v0
	s_and_not1_b32 vcc_lo, exec_lo, s2
	s_delay_alu instid0(VALU_DEP_2)
	v_mov_b32_e32 v8, v9
	s_cbranch_vccnz .LBB104_11
; %bb.4:
	v_dual_mov_b32 v1, 0 :: v_dual_lshlrev_b32 v0, 4, v11
	s_clause 0x1
	s_load_b32 s2, s[0:1], 0x44
	s_load_b32 s18, s[0:1], 0x4c
	s_bfe_u32 s21, ttmp6, 0x4000c
	s_and_b32 s20, ttmp6, 15
	s_add_co_i32 s21, s21, 1
	v_add_nc_u64_e32 v[2:3], s[16:17], v[0:1]
	s_mul_i32 s21, ttmp9, s21
	s_load_b256 s[4:11], s[0:1], 0x10
	s_add_co_i32 s20, s20, s21
	v_dual_mov_b32 v21, 44 :: v_dual_mov_b32 v5, v1
	s_mov_b32 s19, 0
	s_delay_alu instid0(VALU_DEP_2)
	v_mul_u64_e32 v[6:7], s[14:15], v[2:3]
	v_dual_mov_b32 v0, 16 :: v_dual_mov_b32 v12, 4
	v_dual_mov_b32 v13, 8 :: v_dual_mov_b32 v14, 12
	;; [unrolled: 1-line block ×4, first 2 shown]
	s_wait_kmcnt 0x0
	s_and_b32 s18, s18, 0xffff
	s_cmp_eq_u32 s3, 0
	v_mad_u32_u24 v4, v11, s18, v10
	v_mov_b32_e32 v9, v1
	s_cselect_b32 s18, ttmp9, s20
	v_dual_mov_b32 v19, 36 :: v_dual_mov_b32 v20, 40
	s_delay_alu instid0(VALU_DEP_3) | instskip(SKIP_3) | instid1(VALU_DEP_3)
	v_and_b32_e32 v4, 31, v4
	v_lshl_add_u32 v8, s18, 6, v10
	s_lshl_b32 s18, s2, 8
	v_dual_mov_b32 v22, 48 :: v_dual_mov_b32 v23, 52
	v_add_nc_u64_e32 v[2:3], v[2:3], v[4:5]
	s_delay_alu instid0(VALU_DEP_3)
	v_lshlrev_b64_e32 v[26:27], 1, v[8:9]
	v_cmp_gt_u32_e64 s2, 16, v4
	v_dual_mov_b32 v24, 56 :: v_dual_mov_b32 v25, 60
	v_mov_b32_e32 v8, 0
	s_mul_u64 s[22:23], s[14:15], s[18:19]
	v_lshlrev_b64_e32 v[4:5], 2, v[2:3]
	s_lshl_b64 s[20:21], s[18:19], 2
	s_lshl_b64 s[22:23], s[22:23], 1
	;; [unrolled: 1-line block ×3, first 2 shown]
	v_lshl_add_u64 v[6:7], v[6:7], 1, v[26:27]
	s_branch .LBB104_7
.LBB104_5:                              ;   in Loop: Header=BB104_7 Depth=1
	s_wait_xcnt 0x0
	s_or_b32 exec_lo, exec_lo, s25
.LBB104_6:                              ;   in Loop: Header=BB104_7 Depth=1
	s_delay_alu instid0(SALU_CYCLE_1)
	s_or_b32 exec_lo, exec_lo, s24
	v_add_nc_u64_e32 v[28:29], s[6:7], v[6:7]
	v_add_nc_u64_e32 v[30:31], s[4:5], v[6:7]
	s_wait_loadcnt 0x1
	ds_bpermute_b32 v54, v1, v27
	s_wait_loadcnt 0x0
	ds_bpermute_b32 v58, v1, v26
	s_add_nc_u64 s[16:17], s[16:17], s[18:19]
	v_add_nc_u64_e32 v[4:5], s[20:21], v[4:5]
	v_cmp_lt_i64_e64 s24, s[16:17], s[12:13]
	global_load_u16 v40, v[28:29], off
	global_load_u16 v41, v[30:31], off
	s_wait_xcnt 0x1
	v_add_nc_u64_e32 v[28:29], s[14:15], v[28:29]
	s_wait_xcnt 0x0
	v_add_nc_u64_e32 v[30:31], s[14:15], v[30:31]
	v_add_nc_u64_e32 v[2:3], s[18:19], v[2:3]
	;; [unrolled: 1-line block ×3, first 2 shown]
	global_load_u16 v42, v[28:29], off
	global_load_u16 v43, v[30:31], off
	s_wait_xcnt 0x1
	v_add_nc_u64_e32 v[28:29], s[14:15], v[28:29]
	s_wait_xcnt 0x0
	v_add_nc_u64_e32 v[30:31], s[14:15], v[30:31]
	s_and_b32 vcc_lo, exec_lo, s24
	global_load_u16 v44, v[28:29], off
	global_load_u16 v45, v[30:31], off
	s_wait_xcnt 0x1
	v_add_nc_u64_e32 v[28:29], s[14:15], v[28:29]
	s_wait_xcnt 0x0
	v_add_nc_u64_e32 v[30:31], s[14:15], v[30:31]
	global_load_u16 v46, v[28:29], off
	s_wait_xcnt 0x0
	v_add_nc_u64_e32 v[28:29], s[14:15], v[28:29]
	global_load_u16 v47, v[30:31], off
	;; [unrolled: 3-line block ×3, first 2 shown]
	s_wait_xcnt 0x0
	v_add_nc_u64_e32 v[28:29], s[14:15], v[28:29]
	v_add_nc_u64_e32 v[32:33], s[14:15], v[30:31]
	global_load_u16 v49, v[30:31], off
	global_load_u16 v50, v[28:29], off
	;; [unrolled: 1-line block ×3, first 2 shown]
	s_wait_xcnt 0x2
	v_add_nc_u64_e32 v[30:31], s[14:15], v[28:29]
	s_wait_xcnt 0x1
	v_add_nc_u64_e32 v[28:29], s[14:15], v[32:33]
	s_delay_alu instid0(VALU_DEP_2) | instskip(SKIP_1) | instid1(VALU_DEP_2)
	v_add_nc_u64_e32 v[34:35], s[14:15], v[30:31]
	s_wait_xcnt 0x0
	v_add_nc_u64_e32 v[32:33], s[14:15], v[28:29]
	global_load_u16 v52, v[30:31], off
	global_load_u16 v53, v[28:29], off
	s_wait_xcnt 0x1
	v_add_nc_u64_e32 v[30:31], s[14:15], v[34:35]
	s_wait_xcnt 0x0
	v_add_nc_u64_e32 v[28:29], s[14:15], v[32:33]
	global_load_u16 v55, v[34:35], off
	global_load_u16 v56, v[32:33], off
	v_add_nc_u64_e32 v[36:37], s[14:15], v[30:31]
	v_add_nc_u64_e32 v[38:39], s[14:15], v[28:29]
	global_load_u16 v57, v[30:31], off
	global_load_u16 v59, v[28:29], off
	;; [unrolled: 1-line block ×3, first 2 shown]
	s_wait_xcnt 0x4
	v_add_nc_u64_e32 v[34:35], s[14:15], v[36:37]
	s_wait_xcnt 0x3
	v_add_nc_u64_e32 v[32:33], s[14:15], v[38:39]
	global_load_u16 v38, v[38:39], off
	s_wait_xcnt 0x3
	v_add_nc_u64_e32 v[30:31], s[14:15], v[34:35]
	s_wait_xcnt 0x2
	v_add_nc_u64_e32 v[28:29], s[14:15], v[32:33]
	global_load_u16 v39, v[32:33], off
	v_add_nc_u64_e32 v[36:37], s[14:15], v[30:31]
	s_wait_loadcnt 0x13
	s_wait_xcnt 0x0
	v_dual_lshlrev_b32 v40, 16, v40 :: v_dual_lshlrev_b32 v32, 16, v41
	global_load_u16 v41, v[28:29], off
	s_wait_dscnt 0x1
	v_sub_f32_e32 v33, v40, v54
	global_load_u16 v40, v[34:35], off
	s_wait_xcnt 0x0
	v_add_nc_u64_e32 v[34:35], s[14:15], v[28:29]
	v_add_nc_u64_e32 v[28:29], s[14:15], v[36:37]
	global_load_u16 v54, v[30:31], off
	global_load_u16 v61, v[36:37], off
	v_mul_f32_e32 v33, v33, v32
	s_wait_xcnt 0x1
	v_add_nc_u64_e32 v[30:31], s[14:15], v[34:35]
	s_wait_xcnt 0x0
	v_add_nc_u64_e32 v[36:37], s[14:15], v[28:29]
	s_wait_dscnt 0x0
	v_mul_f32_e32 v33, v33, v58
	global_load_u16 v58, v[34:35], off
	global_load_u16 v62, v[30:31], off
	;; [unrolled: 1-line block ×3, first 2 shown]
                                        ; kill: killed $vgpr28_vgpr29
                                        ; kill: killed $vgpr34_vgpr35
	global_load_u16 v34, v[36:37], off
	s_wait_xcnt 0x2
	v_add_nc_u64_e32 v[30:31], s[14:15], v[30:31]
	s_wait_xcnt 0x1
	v_add_nc_u64_e32 v[28:29], s[14:15], v[36:37]
	global_load_u16 v35, v[28:29], off
	global_load_u16 v36, v[30:31], off
	s_wait_xcnt 0x1
	v_add_nc_u64_e32 v[28:29], s[14:15], v[30:31]
	s_wait_loadcnt 0x1c
	s_wait_xcnt 0x0
	v_lshlrev_b32_e32 v30, 16, v42
	ds_bpermute_b32 v31, v13, v27
	ds_bpermute_b32 v42, v14, v26
	global_load_u16 v37, v[28:29], off
	s_wait_xcnt 0x0
	ds_bpermute_b32 v28, v12, v27
	ds_bpermute_b32 v29, v12, v26
	s_wait_loadcnt_dscnt 0x1c01
	v_dual_sub_f32 v30, v30, v28 :: v_dual_lshlrev_b32 v28, 16, v43
	v_pk_add_f32 v[8:9], v[8:9], v[32:33]
	ds_bpermute_b32 v32, v13, v26
	ds_bpermute_b32 v33, v14, v27
	s_wait_loadcnt 0x19
	v_dual_mul_f32 v30, v30, v28 :: v_dual_lshlrev_b32 v43, 16, v46
	ds_bpermute_b32 v46, v16, v27
	s_wait_dscnt 0x3
	v_dual_mul_f32 v29, v30, v29 :: v_dual_lshlrev_b32 v30, 16, v44
	s_wait_loadcnt 0x17
	v_lshlrev_b32_e32 v44, 16, v48
	ds_bpermute_b32 v48, v18, v26
	v_pk_add_f32 v[8:9], v[8:9], v[28:29]
	v_dual_sub_f32 v31, v30, v31 :: v_dual_lshlrev_b32 v30, 16, v45
	ds_bpermute_b32 v29, v0, v27
	ds_bpermute_b32 v45, v15, v26
	v_mul_f32_e32 v28, v31, v30
	s_wait_dscnt 0x4
	v_sub_f32_e32 v33, v43, v33
	ds_bpermute_b32 v43, v0, v26
	v_dual_mul_f32 v31, v28, v32 :: v_dual_lshlrev_b32 v28, 16, v47
	ds_bpermute_b32 v32, v15, v27
	ds_bpermute_b32 v47, v17, v27
	v_pk_add_f32 v[8:9], v[8:9], v[30:31]
	s_wait_loadcnt 0x16
	v_lshlrev_b32_e32 v30, 16, v49
	ds_bpermute_b32 v49, v19, v27
	s_wait_loadcnt_dscnt 0x1505
	v_dual_sub_f32 v31, v44, v29 :: v_dual_lshlrev_b32 v44, 16, v50
	v_mul_f32_e32 v33, v33, v28
	ds_bpermute_b32 v50, v21, v27
	v_mul_f32_e32 v29, v33, v42
	ds_bpermute_b32 v33, v16, v26
	;; [unrolled: 2-line block ×3, first 2 shown]
	v_pk_add_f32 v[8:9], v[8:9], v[28:29]
	s_wait_loadcnt_dscnt 0x1405
	v_dual_sub_f32 v29, v44, v32 :: v_dual_lshlrev_b32 v28, 16, v51
	s_wait_loadcnt 0x13
	v_dual_mul_f32 v31, v31, v43 :: v_dual_lshlrev_b32 v44, 16, v52
	ds_bpermute_b32 v32, v18, v27
	ds_bpermute_b32 v43, v19, v26
	v_mul_f32_e32 v29, v29, v28
	ds_bpermute_b32 v52, v22, v27
	v_pk_add_f32 v[8:9], v[8:9], v[30:31]
	s_wait_loadcnt 0x12
	v_dual_sub_f32 v31, v44, v46 :: v_dual_lshlrev_b32 v30, 16, v53
	v_mul_f32_e32 v29, v29, v45
	ds_bpermute_b32 v45, v20, v27
	ds_bpermute_b32 v44, v20, v26
	;; [unrolled: 1-line block ×3, first 2 shown]
	v_mul_f32_e32 v31, v31, v30
	v_pk_add_f32 v[8:9], v[8:9], v[28:29]
	s_wait_loadcnt 0x11
	v_lshlrev_b32_e32 v29, 16, v55
	ds_bpermute_b32 v53, v23, v27
	ds_bpermute_b32 v51, v22, v26
	s_wait_loadcnt_dscnt 0x1009
	v_dual_mul_f32 v31, v31, v33 :: v_dual_lshlrev_b32 v28, 16, v56
	s_wait_loadcnt 0xf
	v_dual_sub_f32 v29, v29, v47 :: v_dual_lshlrev_b32 v33, 16, v57
	ds_bpermute_b32 v47, v23, v26
	v_pk_add_f32 v[8:9], v[8:9], v[30:31]
	s_wait_loadcnt 0xe
	v_dual_mul_f32 v29, v29, v28 :: v_dual_lshlrev_b32 v30, 16, v59
	s_wait_dscnt 0x8
	v_sub_f32_e32 v31, v33, v32
	s_wait_loadcnt 0xd
	v_lshlrev_b32_e32 v33, 16, v60
	ds_bpermute_b32 v55, v24, v26
	v_mul_f32_e32 v29, v29, v42
	ds_bpermute_b32 v42, v24, v27
	s_wait_loadcnt 0xc
	v_dual_sub_f32 v33, v33, v49 :: v_dual_lshlrev_b32 v32, 16, v38
	v_mul_f32_e32 v31, v31, v30
	ds_bpermute_b32 v38, v25, v27
	v_pk_add_f32 v[8:9], v[8:9], v[28:29]
	s_wait_loadcnt 0x9
	v_dual_lshlrev_b32 v28, 16, v39 :: v_dual_lshlrev_b32 v27, 16, v40
	v_mul_f32_e32 v31, v31, v48
	s_wait_dscnt 0x8
	s_delay_alu instid0(VALU_DEP_2) | instskip(SKIP_1) | instid1(VALU_DEP_1)
	v_dual_mul_f32 v29, v33, v32 :: v_dual_sub_f32 v27, v27, v45
	s_wait_loadcnt 0x8
	v_dual_lshlrev_b32 v39, 16, v54 :: v_dual_mul_f32 v33, v29, v43
	v_pk_add_f32 v[8:9], v[8:9], v[30:31]
	s_delay_alu instid0(VALU_DEP_3) | instskip(SKIP_1) | instid1(VALU_DEP_3)
	v_dual_mul_f32 v27, v27, v28 :: v_dual_lshlrev_b32 v30, 16, v41
	s_wait_loadcnt 0x7
	v_dual_sub_f32 v31, v39, v50 :: v_dual_lshlrev_b32 v39, 16, v61
	s_delay_alu instid0(VALU_DEP_3)
	v_pk_add_f32 v[8:9], v[8:9], v[32:33]
	s_wait_loadcnt_dscnt 0x607
	v_dual_mul_f32 v29, v27, v44 :: v_dual_lshlrev_b32 v32, 16, v58
	s_wait_loadcnt 0x4
	v_dual_mul_f32 v27, v31, v30 :: v_dual_lshlrev_b32 v40, 16, v63
	v_sub_f32_e32 v33, v39, v52
	ds_bpermute_b32 v39, v25, v26
	v_pk_add_f32 v[8:9], v[8:9], v[28:29]
	v_lshlrev_b32_e32 v26, 16, v62
	s_wait_dscnt 0x7
	v_dual_mul_f32 v31, v27, v46 :: v_dual_mul_f32 v27, v33, v32
	s_wait_loadcnt_dscnt 0x306
	v_dual_sub_f32 v29, v40, v53 :: v_dual_lshlrev_b32 v34, 16, v34
	s_wait_loadcnt 0x1
	v_lshlrev_b32_e32 v28, 16, v36
	v_pk_add_f32 v[8:9], v[8:9], v[30:31]
	s_wait_dscnt 0x5
	v_dual_mul_f32 v33, v27, v51 :: v_dual_mul_f32 v27, v29, v26
	s_wait_dscnt 0x2
	v_dual_lshlrev_b32 v31, 16, v35 :: v_dual_sub_f32 v29, v34, v42
	s_wait_loadcnt 0x0
	v_lshlrev_b32_e32 v30, 16, v37
	v_pk_add_f32 v[8:9], v[8:9], v[32:33]
	s_delay_alu instid0(VALU_DEP_3) | instskip(SKIP_2) | instid1(VALU_DEP_2)
	v_dual_mul_f32 v27, v27, v47 :: v_dual_mul_f32 v29, v29, v28
	s_wait_dscnt 0x1
	v_sub_f32_e32 v31, v31, v38
	v_pk_add_f32 v[8:9], v[8:9], v[26:27]
	s_delay_alu instid0(VALU_DEP_2) | instskip(NEXT) | instid1(VALU_DEP_1)
	v_dual_mul_f32 v29, v29, v55 :: v_dual_mul_f32 v26, v31, v30
	v_pk_add_f32 v[8:9], v[8:9], v[28:29]
	s_wait_dscnt 0x0
	s_delay_alu instid0(VALU_DEP_2) | instskip(NEXT) | instid1(VALU_DEP_1)
	v_mul_f32_e32 v31, v26, v39
	v_pk_add_f32 v[8:9], v[8:9], v[30:31]
	s_cbranch_vccz .LBB104_10
.LBB104_7:                              ; =>This Inner Loop Header: Depth=1
	v_dual_mov_b32 v26, 0 :: v_dual_mov_b32 v27, 0
	s_and_saveexec_b32 s24, s2
	s_cbranch_execz .LBB104_6
; %bb.8:                                ;   in Loop: Header=BB104_7 Depth=1
	v_dual_mov_b32 v27, 0 :: v_dual_mov_b32 v26, 0
	s_mov_b32 s25, exec_lo
	v_cmpx_gt_i64_e64 s[12:13], v[2:3]
	s_cbranch_execz .LBB104_5
; %bb.9:                                ;   in Loop: Header=BB104_7 Depth=1
	v_add_nc_u64_e32 v[28:29], s[8:9], v[4:5]
	v_add_nc_u64_e32 v[30:31], s[10:11], v[4:5]
	global_load_b32 v27, v[28:29], off
	global_load_b32 v26, v[30:31], off
	s_branch .LBB104_5
.LBB104_10:
	v_mov_b32_e32 v1, v11
.LBB104_11:
	s_load_b128 s[4:7], s[0:1], 0x30
	s_delay_alu instid0(VALU_DEP_1) | instskip(SKIP_2) | instid1(VALU_DEP_1)
	v_mad_u32_u24 v0, 0x41, v1, v10
	s_wait_xcnt 0x0
	s_mov_b32 s0, exec_lo
	v_lshl_add_u32 v2, v0, 2, 0
	v_sub_nc_u32_e32 v6, v0, v1
	ds_store_b32 v2, v9
	ds_store_b32 v2, v8 offset:4160
	s_wait_dscnt 0x0
	s_barrier_signal -1
	s_barrier_wait -1
	v_cmpx_gt_u32_e32 0x800, v6
	s_cbranch_execz .LBB104_27
; %bb.12:
	v_and_b32_e32 v1, 31, v10
	v_lshrrev_b32_e32 v0, 5, v6
                                        ; implicit-def: $vgpr2
	s_delay_alu instid0(VALU_DEP_2)
	v_cmp_gt_u32_e64 s0, 16, v1
	v_mul_u32_u24_e32 v7, 0x41, v1
	s_and_saveexec_b32 s1, s0
	s_cbranch_execz .LBB104_14
; %bb.13:
	s_delay_alu instid0(VALU_DEP_1) | instskip(NEXT) | instid1(VALU_DEP_1)
	v_add_nc_u32_e32 v1, v0, v7
	v_lshl_add_u32 v1, v1, 2, 0
	ds_load_b32 v3, v1
	ds_load_b32 v2, v1 offset:4160
.LBB104_14:
	s_or_b32 exec_lo, exec_lo, s1
	v_mbcnt_lo_u32_b32 v1, -1, 0
	s_bfe_u32 s1, ttmp6, 0x4000c
	s_and_b32 s2, ttmp6, 15
	s_add_co_i32 s1, s1, 1
	s_delay_alu instid0(SALU_CYCLE_1)
	s_mul_i32 s1, ttmp9, s1
	v_xor_b32_e32 v12, 1, v1
	v_xor_b32_e32 v11, 2, v1
	;; [unrolled: 1-line block ×3, first 2 shown]
	s_add_co_i32 s2, s2, s1
	s_cmp_eq_u32 s3, 0
	s_mov_b32 s3, 0
	s_cselect_b32 s2, ttmp9, s2
	v_cmp_gt_i32_e32 vcc_lo, 32, v4
	s_lshl_b64 s[2:3], s[2:3], 6
	v_xor_b32_e32 v9, 4, v1
	s_wait_kmcnt 0x0
	s_cmp_lg_u64 s[4:5], 0
	v_cmp_eq_u32_e64 s1, 0, v10
	v_cndmask_b32_e32 v4, v1, v4, vcc_lo
	s_cselect_b32 s9, -1, 0
	v_cmp_gt_i32_e32 vcc_lo, 32, v9
	s_cmp_lg_u64 s[6:7], 0
	s_delay_alu instid0(VALU_DEP_2)
	v_lshlrev_b32_e32 v8, 2, v4
	s_cselect_b32 s8, -1, 0
	v_cndmask_b32_e32 v9, v1, v9, vcc_lo
	v_cmp_gt_i32_e32 vcc_lo, 32, v11
	s_wait_dscnt 0x1
	ds_bpermute_b32 v5, v8, v3
	s_wait_dscnt 0x1
	ds_bpermute_b32 v4, v8, v2
	v_dual_cndmask_b32 v11, v1, v11, vcc_lo :: v_dual_lshlrev_b32 v9, 2, v9
	v_cmp_gt_i32_e32 vcc_lo, 32, v12
	s_delay_alu instid0(VALU_DEP_2) | instskip(NEXT) | instid1(VALU_DEP_1)
	v_dual_lshlrev_b32 v11, 2, v11 :: v_dual_cndmask_b32 v1, v1, v12, vcc_lo
	v_dual_mov_b32 v1, 0 :: v_dual_lshlrev_b32 v12, 2, v1
	s_wait_dscnt 0x0
	v_pk_add_f32 v[2:3], v[2:3], v[4:5]
	ds_bpermute_b32 v5, v9, v3
	ds_bpermute_b32 v4, v9, v2
	s_wait_dscnt 0x0
	v_pk_add_f32 v[2:3], v[2:3], v[4:5]
	ds_bpermute_b32 v5, v11, v3
	ds_bpermute_b32 v4, v11, v2
	;; [unrolled: 4-line block ×3, first 2 shown]
	s_wait_dscnt 0x0
	v_pk_add_f32 v[2:3], v[2:3], v[4:5]
	s_and_saveexec_b32 s10, s1
	s_cbranch_execz .LBB104_19
; %bb.15:
	v_dual_mov_b32 v5, s3 :: v_dual_bitop2_b32 v4, s2, v0 bitop3:0x54
	s_and_not1_b32 vcc_lo, exec_lo, s9
	s_cbranch_vccnz .LBB104_17
; %bb.16:
	v_bfe_u32 v10, v3, 16, 1
	v_cmp_o_f32_e32 vcc_lo, v3, v3
	v_lshl_add_u64 v[14:15], v[4:5], 1, s[4:5]
	s_delay_alu instid0(VALU_DEP_3) | instskip(NEXT) | instid1(VALU_DEP_1)
	v_add3_u32 v10, v3, v10, 0x7fff
	v_lshrrev_b32_e32 v10, 16, v10
	s_delay_alu instid0(VALU_DEP_1)
	v_cndmask_b32_e32 v10, 0x7fc0, v10, vcc_lo
	global_store_b16 v[14:15], v10, off
.LBB104_17:
	s_and_not1_b32 vcc_lo, exec_lo, s8
	s_cbranch_vccnz .LBB104_19
; %bb.18:
	s_wait_xcnt 0x0
	v_bfe_u32 v10, v2, 16, 1
	v_cmp_o_f32_e32 vcc_lo, v2, v2
	v_lshl_add_u64 v[4:5], v[4:5], 1, s[6:7]
	s_delay_alu instid0(VALU_DEP_3) | instskip(NEXT) | instid1(VALU_DEP_1)
	v_add3_u32 v10, v2, v10, 0x7fff
	v_lshrrev_b32_e32 v10, 16, v10
	s_delay_alu instid0(VALU_DEP_1)
	v_cndmask_b32_e32 v10, 0x7fc0, v10, vcc_lo
	global_store_b16 v[4:5], v10, off
.LBB104_19:
	s_wait_xcnt 0x0
	s_or_b32 exec_lo, exec_lo, s10
	v_cmp_gt_u32_e32 vcc_lo, 0x400, v6
	s_and_b32 exec_lo, exec_lo, vcc_lo
	s_cbranch_execz .LBB104_27
; %bb.20:
	s_and_saveexec_b32 s10, s0
	s_cbranch_execz .LBB104_22
; %bb.21:
	v_add_nc_u32_e32 v2, v0, v7
	s_delay_alu instid0(VALU_DEP_1)
	v_lshl_add_u32 v2, v2, 2, 0
	ds_load_b32 v3, v2 offset:128
	ds_load_b32 v2, v2 offset:4288
.LBB104_22:
	s_or_b32 exec_lo, exec_lo, s10
	s_wait_dscnt 0x1
	ds_bpermute_b32 v4, v8, v3
	s_wait_dscnt 0x1
	ds_bpermute_b32 v5, v8, v2
	s_wait_dscnt 0x0
	v_dual_add_f32 v3, v3, v4 :: v_dual_add_f32 v2, v2, v5
	ds_bpermute_b32 v4, v9, v3
	ds_bpermute_b32 v5, v9, v2
	s_wait_dscnt 0x0
	v_dual_add_f32 v3, v3, v4 :: v_dual_add_f32 v2, v2, v5
	ds_bpermute_b32 v4, v11, v3
	ds_bpermute_b32 v5, v11, v2
	s_wait_dscnt 0x0
	v_dual_add_f32 v4, v3, v4 :: v_dual_add_f32 v2, v2, v5
	ds_bpermute_b32 v5, v12, v4
	ds_bpermute_b32 v3, v12, v2
	s_and_b32 exec_lo, exec_lo, s1
	s_cbranch_execz .LBB104_27
; %bb.23:
	v_add_nc_u64_e32 v[0:1], s[2:3], v[0:1]
	s_and_not1_b32 vcc_lo, exec_lo, s9
	s_cbranch_vccnz .LBB104_25
; %bb.24:
	s_wait_dscnt 0x1
	v_add_f32_e32 v4, v4, v5
	s_delay_alu instid0(VALU_DEP_1) | instskip(NEXT) | instid1(VALU_DEP_1)
	v_bfe_u32 v5, v4, 16, 1
	v_add3_u32 v5, v4, v5, 0x7fff
	s_delay_alu instid0(VALU_DEP_1) | instskip(SKIP_1) | instid1(VALU_DEP_2)
	v_lshrrev_b32_e32 v5, 16, v5
	v_cmp_o_f32_e32 vcc_lo, v4, v4
	v_cndmask_b32_e32 v6, 0x7fc0, v5, vcc_lo
	v_lshl_add_u64 v[4:5], v[0:1], 1, s[4:5]
	global_store_b16 v[4:5], v6, off offset:64
.LBB104_25:
	s_and_not1_b32 vcc_lo, exec_lo, s8
	s_cbranch_vccnz .LBB104_27
; %bb.26:
	s_wait_dscnt 0x0
	v_add_f32_e32 v2, v2, v3
	v_lshl_add_u64 v[0:1], v[0:1], 1, s[6:7]
	s_delay_alu instid0(VALU_DEP_2) | instskip(NEXT) | instid1(VALU_DEP_1)
	v_bfe_u32 v3, v2, 16, 1
	v_add3_u32 v3, v2, v3, 0x7fff
	s_delay_alu instid0(VALU_DEP_1) | instskip(SKIP_1) | instid1(VALU_DEP_2)
	v_lshrrev_b32_e32 v3, 16, v3
	v_cmp_o_f32_e32 vcc_lo, v2, v2
	v_cndmask_b32_e32 v2, 0x7fc0, v3, vcc_lo
	global_store_b16 v[0:1], v2, off offset:64
.LBB104_27:
	s_endpgm
	.section	.rodata,"a",@progbits
	.p2align	6, 0x0
	.amdhsa_kernel _ZN2at6native12_GLOBAL__N_135GammaBetaBackwardCUDAKernelTemplateIN3c108BFloat16EfLj64ELj16ELj256ELb0ELb1ELb0EEEvllPKT_S7_PKT0_SA_PS5_SB_
		.amdhsa_group_segment_fixed_size 0
		.amdhsa_private_segment_fixed_size 0
		.amdhsa_kernarg_size 320
		.amdhsa_user_sgpr_count 2
		.amdhsa_user_sgpr_dispatch_ptr 0
		.amdhsa_user_sgpr_queue_ptr 0
		.amdhsa_user_sgpr_kernarg_segment_ptr 1
		.amdhsa_user_sgpr_dispatch_id 0
		.amdhsa_user_sgpr_kernarg_preload_length 0
		.amdhsa_user_sgpr_kernarg_preload_offset 0
		.amdhsa_user_sgpr_private_segment_size 0
		.amdhsa_wavefront_size32 1
		.amdhsa_uses_dynamic_stack 0
		.amdhsa_enable_private_segment 0
		.amdhsa_system_sgpr_workgroup_id_x 1
		.amdhsa_system_sgpr_workgroup_id_y 1
		.amdhsa_system_sgpr_workgroup_id_z 0
		.amdhsa_system_sgpr_workgroup_info 0
		.amdhsa_system_vgpr_workitem_id 1
		.amdhsa_next_free_vgpr 64
		.amdhsa_next_free_sgpr 26
		.amdhsa_named_barrier_count 0
		.amdhsa_reserve_vcc 1
		.amdhsa_float_round_mode_32 0
		.amdhsa_float_round_mode_16_64 0
		.amdhsa_float_denorm_mode_32 3
		.amdhsa_float_denorm_mode_16_64 3
		.amdhsa_fp16_overflow 0
		.amdhsa_memory_ordered 1
		.amdhsa_forward_progress 1
		.amdhsa_inst_pref_size 24
		.amdhsa_round_robin_scheduling 0
		.amdhsa_exception_fp_ieee_invalid_op 0
		.amdhsa_exception_fp_denorm_src 0
		.amdhsa_exception_fp_ieee_div_zero 0
		.amdhsa_exception_fp_ieee_overflow 0
		.amdhsa_exception_fp_ieee_underflow 0
		.amdhsa_exception_fp_ieee_inexact 0
		.amdhsa_exception_int_div_zero 0
	.end_amdhsa_kernel
	.section	.text._ZN2at6native12_GLOBAL__N_135GammaBetaBackwardCUDAKernelTemplateIN3c108BFloat16EfLj64ELj16ELj256ELb0ELb1ELb0EEEvllPKT_S7_PKT0_SA_PS5_SB_,"axG",@progbits,_ZN2at6native12_GLOBAL__N_135GammaBetaBackwardCUDAKernelTemplateIN3c108BFloat16EfLj64ELj16ELj256ELb0ELb1ELb0EEEvllPKT_S7_PKT0_SA_PS5_SB_,comdat
.Lfunc_end104:
	.size	_ZN2at6native12_GLOBAL__N_135GammaBetaBackwardCUDAKernelTemplateIN3c108BFloat16EfLj64ELj16ELj256ELb0ELb1ELb0EEEvllPKT_S7_PKT0_SA_PS5_SB_, .Lfunc_end104-_ZN2at6native12_GLOBAL__N_135GammaBetaBackwardCUDAKernelTemplateIN3c108BFloat16EfLj64ELj16ELj256ELb0ELb1ELb0EEEvllPKT_S7_PKT0_SA_PS5_SB_
                                        ; -- End function
	.set _ZN2at6native12_GLOBAL__N_135GammaBetaBackwardCUDAKernelTemplateIN3c108BFloat16EfLj64ELj16ELj256ELb0ELb1ELb0EEEvllPKT_S7_PKT0_SA_PS5_SB_.num_vgpr, 64
	.set _ZN2at6native12_GLOBAL__N_135GammaBetaBackwardCUDAKernelTemplateIN3c108BFloat16EfLj64ELj16ELj256ELb0ELb1ELb0EEEvllPKT_S7_PKT0_SA_PS5_SB_.num_agpr, 0
	.set _ZN2at6native12_GLOBAL__N_135GammaBetaBackwardCUDAKernelTemplateIN3c108BFloat16EfLj64ELj16ELj256ELb0ELb1ELb0EEEvllPKT_S7_PKT0_SA_PS5_SB_.numbered_sgpr, 26
	.set _ZN2at6native12_GLOBAL__N_135GammaBetaBackwardCUDAKernelTemplateIN3c108BFloat16EfLj64ELj16ELj256ELb0ELb1ELb0EEEvllPKT_S7_PKT0_SA_PS5_SB_.num_named_barrier, 0
	.set _ZN2at6native12_GLOBAL__N_135GammaBetaBackwardCUDAKernelTemplateIN3c108BFloat16EfLj64ELj16ELj256ELb0ELb1ELb0EEEvllPKT_S7_PKT0_SA_PS5_SB_.private_seg_size, 0
	.set _ZN2at6native12_GLOBAL__N_135GammaBetaBackwardCUDAKernelTemplateIN3c108BFloat16EfLj64ELj16ELj256ELb0ELb1ELb0EEEvllPKT_S7_PKT0_SA_PS5_SB_.uses_vcc, 1
	.set _ZN2at6native12_GLOBAL__N_135GammaBetaBackwardCUDAKernelTemplateIN3c108BFloat16EfLj64ELj16ELj256ELb0ELb1ELb0EEEvllPKT_S7_PKT0_SA_PS5_SB_.uses_flat_scratch, 0
	.set _ZN2at6native12_GLOBAL__N_135GammaBetaBackwardCUDAKernelTemplateIN3c108BFloat16EfLj64ELj16ELj256ELb0ELb1ELb0EEEvllPKT_S7_PKT0_SA_PS5_SB_.has_dyn_sized_stack, 0
	.set _ZN2at6native12_GLOBAL__N_135GammaBetaBackwardCUDAKernelTemplateIN3c108BFloat16EfLj64ELj16ELj256ELb0ELb1ELb0EEEvllPKT_S7_PKT0_SA_PS5_SB_.has_recursion, 0
	.set _ZN2at6native12_GLOBAL__N_135GammaBetaBackwardCUDAKernelTemplateIN3c108BFloat16EfLj64ELj16ELj256ELb0ELb1ELb0EEEvllPKT_S7_PKT0_SA_PS5_SB_.has_indirect_call, 0
	.section	.AMDGPU.csdata,"",@progbits
; Kernel info:
; codeLenInByte = 3028
; TotalNumSgprs: 28
; NumVgprs: 64
; ScratchSize: 0
; MemoryBound: 0
; FloatMode: 240
; IeeeMode: 1
; LDSByteSize: 0 bytes/workgroup (compile time only)
; SGPRBlocks: 0
; VGPRBlocks: 3
; NumSGPRsForWavesPerEU: 28
; NumVGPRsForWavesPerEU: 64
; NamedBarCnt: 0
; Occupancy: 16
; WaveLimiterHint : 0
; COMPUTE_PGM_RSRC2:SCRATCH_EN: 0
; COMPUTE_PGM_RSRC2:USER_SGPR: 2
; COMPUTE_PGM_RSRC2:TRAP_HANDLER: 0
; COMPUTE_PGM_RSRC2:TGID_X_EN: 1
; COMPUTE_PGM_RSRC2:TGID_Y_EN: 1
; COMPUTE_PGM_RSRC2:TGID_Z_EN: 0
; COMPUTE_PGM_RSRC2:TIDIG_COMP_CNT: 1
	.section	.text._ZN2at6native12_GLOBAL__N_135GammaBetaBackwardCUDAKernelTemplateIN3c108BFloat16EfLj64ELj16ELj256ELb0ELb0ELb0EEEvllPKT_S7_PKT0_SA_PS5_SB_,"axG",@progbits,_ZN2at6native12_GLOBAL__N_135GammaBetaBackwardCUDAKernelTemplateIN3c108BFloat16EfLj64ELj16ELj256ELb0ELb0ELb0EEEvllPKT_S7_PKT0_SA_PS5_SB_,comdat
	.globl	_ZN2at6native12_GLOBAL__N_135GammaBetaBackwardCUDAKernelTemplateIN3c108BFloat16EfLj64ELj16ELj256ELb0ELb0ELb0EEEvllPKT_S7_PKT0_SA_PS5_SB_ ; -- Begin function _ZN2at6native12_GLOBAL__N_135GammaBetaBackwardCUDAKernelTemplateIN3c108BFloat16EfLj64ELj16ELj256ELb0ELb0ELb0EEEvllPKT_S7_PKT0_SA_PS5_SB_
	.p2align	8
	.type	_ZN2at6native12_GLOBAL__N_135GammaBetaBackwardCUDAKernelTemplateIN3c108BFloat16EfLj64ELj16ELj256ELb0ELb0ELb0EEEvllPKT_S7_PKT0_SA_PS5_SB_,@function
_ZN2at6native12_GLOBAL__N_135GammaBetaBackwardCUDAKernelTemplateIN3c108BFloat16EfLj64ELj16ELj256ELb0ELb0ELb0EEEvllPKT_S7_PKT0_SA_PS5_SB_: ; @_ZN2at6native12_GLOBAL__N_135GammaBetaBackwardCUDAKernelTemplateIN3c108BFloat16EfLj64ELj16ELj256ELb0ELb0ELb0EEEvllPKT_S7_PKT0_SA_PS5_SB_
; %bb.0:
	s_load_b256 s[4:11], s[0:1], 0x0
	s_bfe_u32 s3, ttmp6, 0x4000c
	s_bfe_u32 s12, ttmp6, 0x40010
	s_add_co_i32 s3, s3, 1
	s_add_co_i32 s12, s12, 1
	s_and_b32 s2, ttmp6, 15
	s_bfe_u32 s13, ttmp6, 0x40004
	s_mul_i32 s3, ttmp9, s3
	s_mul_i32 s12, ttmp7, s12
	s_getreg_b32 s14, hwreg(HW_REG_IB_STS2, 6, 4)
	s_add_co_i32 s2, s2, s3
	s_add_co_i32 s3, s13, s12
	s_cmp_eq_u32 s14, 0
	s_mov_b32 s19, 0
	s_cselect_b32 s16, ttmp9, s2
	s_cselect_b32 s2, ttmp7, s3
	s_lshl_b32 s3, s16, 6
	s_load_b128 s[12:15], s[0:1], 0x20
	s_or_b32 s18, s3, 63
	s_wait_kmcnt 0x0
	v_cmp_le_i64_e64 s20, s[6:7], s[18:19]
	s_lshl_b32 s18, s2, 8
	s_delay_alu instid0(SALU_CYCLE_1) | instskip(SKIP_2) | instid1(VALU_DEP_1)
	v_cmp_gt_i64_e64 s17, s[4:5], s[18:19]
	s_and_b32 vcc_lo, exec_lo, s20
	v_cndmask_b32_e64 v1, 0, 1, s17
	v_cmp_ne_u32_e64 s2, 1, v1
	s_cbranch_vccz .LBB105_80
; %bb.1:
	v_mov_b32_e32 v105, 0
	s_and_b32 vcc_lo, exec_lo, s2
	s_delay_alu instid0(VALU_DEP_1)
	v_mov_b32_e32 v104, v105
	s_cbranch_vccnz .LBB105_81
; %bb.2:
	v_bfe_u32 v108, v0, 10, 10
	v_mov_b32_e32 v2, 0
	v_and_b32_e32 v109, 0x3ff, v0
	s_load_b32 s20, s[0:1], 0x44
	s_mov_b32 s21, 0
	s_delay_alu instid0(VALU_DEP_2) | instskip(NEXT) | instid1(VALU_DEP_2)
	v_dual_mov_b32 v37, v2 :: v_dual_lshlrev_b32 v36, 4, v108
	v_dual_mov_b32 v21, v2 :: v_dual_add_nc_u32 v20, s3, v109
	v_mov_b32_e32 v104, 0
	s_mov_b32 s25, s21
	s_delay_alu instid0(VALU_DEP_3)
	v_add_nc_u64_e32 v[34:35], s[18:19], v[36:37]
	v_mov_b32_e32 v105, v2
	v_cmp_gt_i64_e64 s2, s[6:7], v[20:21]
	v_lshlrev_b64_e32 v[116:117], 1, v[20:21]
	s_add_nc_u64 s[22:23], s[0:1], 64
	s_mov_b64 s[26:27], 0xffffffffffffff01
	s_mov_b64 s[28:29], 0xffffffffffffff02
	v_add_nc_u64_e32 v[6:7], 15, v[34:35]
	v_add_nc_u64_e32 v[8:9], 14, v[34:35]
	;; [unrolled: 1-line block ×7, first 2 shown]
	v_mul_u64_e32 v[6:7], s[6:7], v[6:7]
	v_mul_u64_e32 v[8:9], s[6:7], v[8:9]
	;; [unrolled: 1-line block ×4, first 2 shown]
	v_add_nc_u64_e32 v[14:15], 11, v[34:35]
	v_add_nc_u64_e32 v[16:17], 10, v[34:35]
	;; [unrolled: 1-line block ×3, first 2 shown]
	v_mul_u64_e32 v[12:13], s[6:7], v[12:13]
	v_add_nc_u64_e32 v[28:29], 5, v[34:35]
	v_add_nc_u64_e32 v[30:31], 4, v[34:35]
	v_mul_u64_e32 v[22:23], s[6:7], v[22:23]
	v_add_nc_u64_e32 v[32:33], 3, v[34:35]
	v_mul_u64_e32 v[24:25], s[6:7], v[24:25]
	;; [unrolled: 2-line block ×3, first 2 shown]
	v_mul_u64_e32 v[14:15], s[6:7], v[14:15]
	v_mul_u64_e32 v[16:17], s[6:7], v[16:17]
	;; [unrolled: 1-line block ×7, first 2 shown]
	s_wait_kmcnt 0x0
	s_lshl_b32 s24, s20, 8
	s_mov_b64 s[30:31], 0xffffffffffffff03
	s_mul_u64 s[60:61], s[6:7], s[24:25]
	s_mov_b64 s[34:35], 0xffffffffffffff04
	s_mov_b64 s[36:37], 0xffffffffffffff05
	;; [unrolled: 1-line block ×7, first 2 shown]
	v_lshlrev_b64_e32 v[6:7], 1, v[6:7]
	v_lshlrev_b64_e32 v[8:9], 1, v[8:9]
	v_lshlrev_b64_e32 v[10:11], 1, v[10:11]
	v_lshlrev_b64_e32 v[40:41], 1, v[4:5]
	v_add_nc_u64_e32 v[4:5], s[6:7], v[4:5]
	s_mov_b64 s[48:49], 0xffffffffffffff0b
	s_mov_b64 s[50:51], 0xffffffffffffff0c
	v_lshlrev_b64_e32 v[12:13], 1, v[12:13]
	v_add_nc_u64_e32 v[42:43], s[8:9], v[6:7]
	v_add_nc_u64_e32 v[44:45], s[10:11], v[6:7]
	;; [unrolled: 1-line block ×6, first 2 shown]
	v_lshlrev_b64_e32 v[6:7], 1, v[22:23]
	v_lshlrev_b64_e32 v[8:9], 1, v[24:25]
	;; [unrolled: 1-line block ×6, first 2 shown]
	v_add_nc_u64_e32 v[54:55], s[8:9], v[12:13]
	v_add_nc_u64_e32 v[56:57], s[10:11], v[12:13]
	;; [unrolled: 1-line block ×5, first 2 shown]
	v_lshlrev_b64_e32 v[6:7], 1, v[20:21]
	v_add_nc_u64_e32 v[76:77], s[10:11], v[8:9]
	v_add_nc_u64_e32 v[78:79], s[8:9], v[10:11]
	v_lshlrev_b64_e32 v[8:9], 1, v[28:29]
	v_add_nc_u64_e32 v[80:81], s[10:11], v[10:11]
	v_lshlrev_b64_e32 v[10:11], 1, v[30:31]
	v_lshlrev_b64_e32 v[12:13], 1, v[32:33]
	;; [unrolled: 1-line block ×3, first 2 shown]
	v_add_nc_u64_e32 v[38:39], s[8:9], v[40:41]
	v_add_nc_u64_e32 v[40:41], s[10:11], v[40:41]
	;; [unrolled: 1-line block ×18, first 2 shown]
	s_mov_b64 s[52:53], 0xffffffffffffff0d
	s_mov_b64 s[54:55], 0xffffffffffffff0e
	;; [unrolled: 1-line block ×4, first 2 shown]
	s_lshl_b64 s[60:61], s[60:61], 1
	s_add_nc_u64 s[62:63], s[18:19], 0xff
	s_mov_b64 s[64:65], s[18:19]
	s_branch .LBB105_5
.LBB105_3:                              ;   in Loop: Header=BB105_5 Depth=1
	s_or_b32 exec_lo, exec_lo, s20
	s_wait_loadcnt 0x1
	ds_bpermute_b32 v102, v2, v110
	s_wait_loadcnt 0x0
	ds_bpermute_b32 v3, v2, v111
	v_dual_mov_b32 v106, v6 :: v_dual_mov_b32 v112, v8
	s_wait_dscnt 0x1
	v_sub_f32_e32 v20, v20, v102
	s_delay_alu instid0(VALU_DEP_1) | instskip(SKIP_1) | instid1(VALU_DEP_1)
	v_dual_mov_b32 v102, v4 :: v_dual_mul_f32 v20, v4, v20
	s_wait_dscnt 0x0
	v_mul_f32_e32 v103, v20, v3
	ds_bpermute_b32 v20, v2, v110 offset:4
	ds_bpermute_b32 v3, v2, v111 offset:4
	s_wait_dscnt 0x1
	v_sub_f32_e32 v20, v21, v20
	v_pk_add_f32 v[102:103], v[104:105], v[102:103]
	s_delay_alu instid0(VALU_DEP_2) | instskip(SKIP_1) | instid1(VALU_DEP_1)
	v_mul_f32_e32 v20, v5, v20
	s_wait_dscnt 0x0
	v_mul_f32_e32 v21, v20, v3
	ds_bpermute_b32 v20, v2, v110 offset:8
	ds_bpermute_b32 v3, v2, v111 offset:8
	s_wait_dscnt 0x1
	v_dual_sub_f32 v20, v22, v20 :: v_dual_mov_b32 v22, v7
	s_delay_alu instid0(VALU_DEP_1)
	v_mul_f32_e32 v20, v6, v20
	ds_bpermute_b32 v6, v2, v110 offset:24
	s_wait_dscnt 0x1
	v_mul_f32_e32 v107, v20, v3
	ds_bpermute_b32 v20, v2, v110 offset:12
	ds_bpermute_b32 v3, v2, v111 offset:12
	s_wait_dscnt 0x2
	v_dual_sub_f32 v6, v26, v6 :: v_dual_mov_b32 v26, v15
	s_wait_dscnt 0x1
	s_delay_alu instid0(VALU_DEP_1) | instskip(NEXT) | instid1(VALU_DEP_1)
	v_dual_sub_f32 v20, v23, v20 :: v_dual_mul_f32 v6, v10, v6
	v_mul_f32_e32 v20, v7, v20
	s_wait_dscnt 0x0
	s_delay_alu instid0(VALU_DEP_1) | instskip(SKIP_4) | instid1(VALU_DEP_1)
	v_mul_f32_e32 v23, v20, v3
	ds_bpermute_b32 v20, v2, v110 offset:16
	ds_bpermute_b32 v3, v2, v111 offset:16
	s_wait_dscnt 0x1
	v_dual_sub_f32 v20, v24, v20 :: v_dual_mov_b32 v24, v9
	v_dual_mul_f32 v20, v8, v20 :: v_dual_mov_b32 v8, v11
	s_wait_dscnt 0x0
	s_delay_alu instid0(VALU_DEP_1) | instskip(SKIP_4) | instid1(VALU_DEP_1)
	v_mul_f32_e32 v113, v20, v3
	ds_bpermute_b32 v20, v2, v110 offset:20
	ds_bpermute_b32 v3, v2, v111 offset:20
	s_wait_dscnt 0x1
	v_sub_f32_e32 v20, v25, v20
	v_mul_f32_e32 v20, v9, v20
	s_wait_dscnt 0x0
	s_delay_alu instid0(VALU_DEP_1) | instskip(SKIP_3) | instid1(VALU_DEP_2)
	v_dual_mul_f32 v25, v20, v3 :: v_dual_mov_b32 v20, v5
	ds_bpermute_b32 v3, v2, v111 offset:24
	v_pk_add_f32 v[4:5], v[20:21], v[102:103]
	v_mov_b32_e32 v20, v12
	v_pk_add_f32 v[4:5], v[106:107], v[4:5]
	s_delay_alu instid0(VALU_DEP_1) | instskip(SKIP_1) | instid1(VALU_DEP_2)
	v_pk_add_f32 v[4:5], v[22:23], v[4:5]
	v_mov_b32_e32 v22, v13
	v_pk_add_f32 v[4:5], v[112:113], v[4:5]
	s_wait_dscnt 0x0
	v_mul_f32_e32 v7, v6, v3
	ds_bpermute_b32 v6, v2, v110 offset:28
	ds_bpermute_b32 v3, v2, v111 offset:28
	v_pk_add_f32 v[4:5], v[24:25], v[4:5]
	s_wait_dscnt 0x1
	v_dual_mov_b32 v24, v14 :: v_dual_sub_f32 v6, v27, v6
	s_delay_alu instid0(VALU_DEP_1) | instskip(SKIP_1) | instid1(VALU_DEP_1)
	v_mul_f32_e32 v6, v11, v6
	s_wait_dscnt 0x0
	v_mul_f32_e32 v9, v6, v3
	ds_bpermute_b32 v6, v2, v110 offset:32
	ds_bpermute_b32 v3, v2, v111 offset:32
	s_wait_dscnt 0x1
	v_sub_f32_e32 v6, v28, v6
	v_mov_b32_e32 v28, v16
	s_delay_alu instid0(VALU_DEP_2) | instskip(SKIP_1) | instid1(VALU_DEP_1)
	v_mul_f32_e32 v6, v12, v6
	s_wait_dscnt 0x0
	v_mul_f32_e32 v21, v6, v3
	ds_bpermute_b32 v6, v2, v110 offset:36
	ds_bpermute_b32 v3, v2, v111 offset:36
	s_wait_dscnt 0x1
	v_sub_f32_e32 v6, v29, v6
	s_delay_alu instid0(VALU_DEP_1) | instskip(SKIP_1) | instid1(VALU_DEP_1)
	v_mul_f32_e32 v6, v13, v6
	s_wait_dscnt 0x0
	v_mul_f32_e32 v23, v6, v3
	ds_bpermute_b32 v6, v2, v110 offset:40
	ds_bpermute_b32 v3, v2, v111 offset:40
	s_wait_dscnt 0x1
	v_dual_sub_f32 v6, v30, v6 :: v_dual_mov_b32 v30, v17
	s_delay_alu instid0(VALU_DEP_1) | instskip(SKIP_1) | instid1(VALU_DEP_1)
	v_mul_f32_e32 v6, v14, v6
	s_wait_dscnt 0x0
	v_mul_f32_e32 v25, v6, v3
	ds_bpermute_b32 v6, v2, v110 offset:44
	ds_bpermute_b32 v3, v2, v111 offset:44
	s_wait_dscnt 0x1
	v_sub_f32_e32 v6, v31, v6
	s_delay_alu instid0(VALU_DEP_1) | instskip(SKIP_1) | instid1(VALU_DEP_1)
	v_mul_f32_e32 v6, v15, v6
	s_wait_dscnt 0x0
	v_mul_f32_e32 v27, v6, v3
	ds_bpermute_b32 v6, v2, v110 offset:48
	ds_bpermute_b32 v3, v2, v111 offset:48
	s_wait_dscnt 0x1
	v_sub_f32_e32 v6, v32, v6
	;; [unrolled: 8-line block ×3, first 2 shown]
	s_delay_alu instid0(VALU_DEP_1) | instskip(SKIP_1) | instid1(VALU_DEP_1)
	v_mul_f32_e32 v6, v17, v6
	s_wait_dscnt 0x0
	v_mul_f32_e32 v31, v6, v3
	v_mov_b32_e32 v6, v10
	ds_bpermute_b32 v3, v2, v111 offset:56
	v_pk_add_f32 v[4:5], v[6:7], v[4:5]
	ds_bpermute_b32 v6, v2, v110 offset:56
	v_pk_add_f32 v[4:5], v[8:9], v[4:5]
	s_delay_alu instid0(VALU_DEP_1) | instskip(NEXT) | instid1(VALU_DEP_1)
	v_pk_add_f32 v[4:5], v[20:21], v[4:5]
	v_pk_add_f32 v[4:5], v[22:23], v[4:5]
	s_delay_alu instid0(VALU_DEP_1) | instskip(SKIP_2) | instid1(VALU_DEP_2)
	v_pk_add_f32 v[4:5], v[24:25], v[4:5]
	s_wait_dscnt 0x0
	v_sub_f32_e32 v6, v34, v6
	v_pk_add_f32 v[4:5], v[26:27], v[4:5]
	s_delay_alu instid0(VALU_DEP_2) | instskip(NEXT) | instid1(VALU_DEP_2)
	v_mul_f32_e32 v6, v18, v6
	v_pk_add_f32 v[4:5], v[28:29], v[4:5]
	s_delay_alu instid0(VALU_DEP_2) | instskip(SKIP_3) | instid1(VALU_DEP_1)
	v_mul_f32_e32 v7, v6, v3
	v_mov_b32_e32 v6, v18
	ds_bpermute_b32 v3, v2, v111 offset:60
	v_pk_add_f32 v[4:5], v[30:31], v[4:5]
	v_pk_add_f32 v[106:107], v[6:7], v[4:5]
	ds_bpermute_b32 v4, v2, v110 offset:60
.LBB105_4:                              ;   in Loop: Header=BB105_5 Depth=1
	s_wait_dscnt 0x0
	v_sub_f32_e32 v5, v35, v4
	v_mov_b32_e32 v4, v19
	s_add_nc_u64 s[64:65], s[64:65], s[24:25]
	v_add_nc_u64_e32 v[38:39], s[60:61], v[38:39]
	v_cmp_lt_i64_e64 s20, s[64:65], s[4:5]
	v_mul_f32_e32 v5, v19, v5
	v_add_nc_u64_e32 v[40:41], s[60:61], v[40:41]
	v_add_nc_u64_e32 v[42:43], s[60:61], v[42:43]
	;; [unrolled: 1-line block ×4, first 2 shown]
	v_mul_f32_e32 v5, v5, v3
	v_add_nc_u64_e32 v[48:49], s[60:61], v[48:49]
	v_add_nc_u64_e32 v[50:51], s[60:61], v[50:51]
	;; [unrolled: 1-line block ×27, first 2 shown]
	v_pk_add_f32 v[104:105], v[106:107], v[4:5]
	s_and_b32 vcc_lo, exec_lo, s20
	s_add_nc_u64 s[62:63], s[62:63], s[24:25]
	s_cbranch_vccz .LBB105_81
.LBB105_5:                              ; =>This Inner Loop Header: Depth=1
	v_cmp_ge_i64_e64 s20, s[62:63], s[4:5]
	v_add_nc_u64_e32 v[102:103], s[62:63], v[36:37]
                                        ; implicit-def: $vgpr4_vgpr5_vgpr6_vgpr7_vgpr8_vgpr9_vgpr10_vgpr11_vgpr12_vgpr13_vgpr14_vgpr15_vgpr16_vgpr17_vgpr18_vgpr19
                                        ; implicit-def: $vgpr106_vgpr107
                                        ; implicit-def: $vgpr3
                                        ; implicit-def: $vgpr20_vgpr21_vgpr22_vgpr23_vgpr24_vgpr25_vgpr26_vgpr27_vgpr28_vgpr29_vgpr30_vgpr31_vgpr32_vgpr33_vgpr34_vgpr35
                                        ; implicit-def: $vgpr4
	s_and_b32 vcc_lo, exec_lo, s20
	s_mov_b32 s20, -1
	s_cbranch_vccz .LBB105_43
; %bb.6:                                ;   in Loop: Header=BB105_5 Depth=1
	s_load_b32 s20, s[22:23], 0xc
	v_dual_mov_b32 v110, 0 :: v_dual_mov_b32 v111, 0
	s_wait_kmcnt 0x0
	s_and_b32 s20, s20, 0xffff
	s_delay_alu instid0(SALU_CYCLE_1) | instskip(SKIP_1) | instid1(VALU_DEP_1)
	v_mad_u32_u24 v3, v108, s20, v109
	s_mov_b32 s20, exec_lo
	v_and_b32_e32 v4, 31, v3
	s_delay_alu instid0(VALU_DEP_1)
	v_cmpx_gt_u32_e32 16, v4
	s_cbranch_execz .LBB105_10
; %bb.7:                                ;   in Loop: Header=BB105_5 Depth=1
	v_dual_mov_b32 v5, v2 :: v_dual_mov_b32 v110, 0
	v_mov_b32_e32 v111, 0
	s_mov_b32 s33, exec_lo
	s_delay_alu instid0(VALU_DEP_2) | instskip(NEXT) | instid1(VALU_DEP_1)
	v_add_nc_u64_e32 v[4:5], v[102:103], v[4:5]
	v_add_nc_u64_e32 v[4:5], s[26:27], v[4:5]
	s_delay_alu instid0(VALU_DEP_1)
	v_cmpx_gt_i64_e64 s[4:5], v[4:5]
	s_cbranch_execz .LBB105_9
; %bb.8:                                ;   in Loop: Header=BB105_5 Depth=1
	v_lshlrev_b64_e32 v[4:5], 2, v[4:5]
	s_delay_alu instid0(VALU_DEP_1)
	v_add_nc_u64_e32 v[6:7], s[12:13], v[4:5]
	v_add_nc_u64_e32 v[4:5], s[14:15], v[4:5]
	global_load_b32 v110, v[6:7], off
	global_load_b32 v111, v[4:5], off
.LBB105_9:                              ;   in Loop: Header=BB105_5 Depth=1
	s_wait_xcnt 0x0
	s_or_b32 exec_lo, exec_lo, s33
.LBB105_10:                             ;   in Loop: Header=BB105_5 Depth=1
	s_delay_alu instid0(SALU_CYCLE_1)
	s_or_b32 exec_lo, exec_lo, s20
	v_add_nc_u64_e32 v[18:19], s[26:27], v[102:103]
	v_dual_mov_b32 v15, v2 :: v_dual_mov_b32 v16, v2
	v_dual_mov_b32 v17, v2 :: v_dual_mov_b32 v3, v2
	;; [unrolled: 1-line block ×7, first 2 shown]
	v_mov_b32_e32 v14, v2
	v_cmp_gt_i64_e32 vcc_lo, s[4:5], v[18:19]
	v_mov_b64_e32 v[34:35], v[16:17]
	v_mov_b64_e32 v[28:29], v[10:11]
	;; [unrolled: 1-line block ×16, first 2 shown]
	s_and_b32 s33, s2, vcc_lo
	s_delay_alu instid0(SALU_CYCLE_1)
	s_and_saveexec_b32 s20, s33
	s_cbranch_execz .LBB105_12
; %bb.11:                               ;   in Loop: Header=BB105_5 Depth=1
	v_add_nc_u64_e32 v[4:5], v[38:39], v[116:117]
	v_add_nc_u64_e32 v[6:7], v[40:41], v[116:117]
	v_dual_mov_b32 v9, v2 :: v_dual_mov_b32 v10, v2
	v_dual_mov_b32 v11, v2 :: v_dual_mov_b32 v12, v2
	;; [unrolled: 1-line block ×3, first 2 shown]
	global_load_u16 v3, v[4:5], off
	global_load_u16 v20, v[6:7], off
	s_wait_xcnt 0x0
	v_dual_mov_b32 v5, v2 :: v_dual_mov_b32 v6, v2
	v_dual_mov_b32 v7, v2 :: v_dual_mov_b32 v8, v2
	;; [unrolled: 1-line block ×12, first 2 shown]
	s_wait_loadcnt 0x0
	v_dual_lshlrev_b32 v4, 16, v3 :: v_dual_lshlrev_b32 v20, 16, v20
.LBB105_12:                             ;   in Loop: Header=BB105_5 Depth=1
	s_or_b32 exec_lo, exec_lo, s20
	v_add_nc_u64_e32 v[106:107], s[28:29], v[102:103]
	s_delay_alu instid0(VALU_DEP_1) | instskip(SKIP_1) | instid1(SALU_CYCLE_1)
	v_cmp_gt_i64_e32 vcc_lo, s[4:5], v[106:107]
	s_and_b32 s33, s2, vcc_lo
	s_and_saveexec_b32 s20, s33
	s_cbranch_execz .LBB105_14
; %bb.13:                               ;   in Loop: Header=BB105_5 Depth=1
	v_add_nc_u64_e32 v[106:107], v[98:99], v[116:117]
	v_add_nc_u64_e32 v[112:113], v[100:101], v[116:117]
	global_load_u16 v3, v[106:107], off
	global_load_u16 v21, v[112:113], off
	s_wait_loadcnt 0x0
	v_dual_lshlrev_b32 v5, 16, v3 :: v_dual_lshlrev_b32 v21, 16, v21
.LBB105_14:                             ;   in Loop: Header=BB105_5 Depth=1
	s_or_b32 exec_lo, exec_lo, s20
	v_add_nc_u64_e32 v[106:107], s[30:31], v[102:103]
	s_delay_alu instid0(VALU_DEP_1) | instskip(SKIP_1) | instid1(SALU_CYCLE_1)
	v_cmp_gt_i64_e32 vcc_lo, s[4:5], v[106:107]
	s_and_b32 s33, s2, vcc_lo
	s_and_saveexec_b32 s20, s33
	s_cbranch_execz .LBB105_16
; %bb.15:                               ;   in Loop: Header=BB105_5 Depth=1
	v_add_nc_u64_e32 v[106:107], v[94:95], v[116:117]
	v_add_nc_u64_e32 v[112:113], v[96:97], v[116:117]
	global_load_u16 v3, v[106:107], off
	global_load_u16 v22, v[112:113], off
	s_wait_loadcnt 0x0
	v_dual_lshlrev_b32 v6, 16, v3 :: v_dual_lshlrev_b32 v22, 16, v22
.LBB105_16:                             ;   in Loop: Header=BB105_5 Depth=1
	s_or_b32 exec_lo, exec_lo, s20
	v_add_nc_u64_e32 v[106:107], s[34:35], v[102:103]
	s_delay_alu instid0(VALU_DEP_1) | instskip(SKIP_1) | instid1(SALU_CYCLE_1)
	v_cmp_gt_i64_e32 vcc_lo, s[4:5], v[106:107]
	s_and_b32 s33, s2, vcc_lo
	s_and_saveexec_b32 s20, s33
	s_cbranch_execz .LBB105_18
; %bb.17:                               ;   in Loop: Header=BB105_5 Depth=1
	v_add_nc_u64_e32 v[106:107], v[90:91], v[116:117]
	v_add_nc_u64_e32 v[112:113], v[92:93], v[116:117]
	global_load_u16 v3, v[106:107], off
	global_load_u16 v23, v[112:113], off
	s_wait_loadcnt 0x1
	v_lshlrev_b32_e32 v7, 16, v3
	s_wait_loadcnt 0x0
	v_lshlrev_b32_e32 v23, 16, v23
.LBB105_18:                             ;   in Loop: Header=BB105_5 Depth=1
	s_or_b32 exec_lo, exec_lo, s20
	v_add_nc_u64_e32 v[106:107], s[36:37], v[102:103]
	s_delay_alu instid0(VALU_DEP_1) | instskip(SKIP_1) | instid1(SALU_CYCLE_1)
	v_cmp_gt_i64_e32 vcc_lo, s[4:5], v[106:107]
	s_and_b32 s33, s2, vcc_lo
	s_and_saveexec_b32 s20, s33
	s_cbranch_execz .LBB105_20
; %bb.19:                               ;   in Loop: Header=BB105_5 Depth=1
	v_add_nc_u64_e32 v[106:107], v[86:87], v[116:117]
	v_add_nc_u64_e32 v[112:113], v[88:89], v[116:117]
	global_load_u16 v3, v[106:107], off
	global_load_u16 v24, v[112:113], off
	s_wait_loadcnt 0x0
	v_dual_lshlrev_b32 v8, 16, v3 :: v_dual_lshlrev_b32 v24, 16, v24
.LBB105_20:                             ;   in Loop: Header=BB105_5 Depth=1
	s_or_b32 exec_lo, exec_lo, s20
	v_add_nc_u64_e32 v[106:107], s[38:39], v[102:103]
	s_delay_alu instid0(VALU_DEP_1) | instskip(SKIP_1) | instid1(SALU_CYCLE_1)
	v_cmp_gt_i64_e32 vcc_lo, s[4:5], v[106:107]
	s_and_b32 s33, s2, vcc_lo
	s_and_saveexec_b32 s20, s33
	s_cbranch_execz .LBB105_22
; %bb.21:                               ;   in Loop: Header=BB105_5 Depth=1
	v_add_nc_u64_e32 v[106:107], v[82:83], v[116:117]
	v_add_nc_u64_e32 v[112:113], v[84:85], v[116:117]
	global_load_u16 v3, v[106:107], off
	global_load_u16 v25, v[112:113], off
	s_wait_loadcnt 0x0
	v_dual_lshlrev_b32 v9, 16, v3 :: v_dual_lshlrev_b32 v25, 16, v25
.LBB105_22:                             ;   in Loop: Header=BB105_5 Depth=1
	s_or_b32 exec_lo, exec_lo, s20
	v_add_nc_u64_e32 v[106:107], s[40:41], v[102:103]
	s_delay_alu instid0(VALU_DEP_1) | instskip(SKIP_1) | instid1(SALU_CYCLE_1)
	v_cmp_gt_i64_e32 vcc_lo, s[4:5], v[106:107]
	s_and_b32 s33, s2, vcc_lo
	s_and_saveexec_b32 s20, s33
	s_cbranch_execz .LBB105_24
; %bb.23:                               ;   in Loop: Header=BB105_5 Depth=1
	v_add_nc_u64_e32 v[106:107], v[78:79], v[116:117]
	v_add_nc_u64_e32 v[112:113], v[80:81], v[116:117]
	global_load_u16 v3, v[106:107], off
	global_load_u16 v26, v[112:113], off
	s_wait_loadcnt 0x0
	v_dual_lshlrev_b32 v10, 16, v3 :: v_dual_lshlrev_b32 v26, 16, v26
.LBB105_24:                             ;   in Loop: Header=BB105_5 Depth=1
	s_or_b32 exec_lo, exec_lo, s20
	v_add_nc_u64_e32 v[106:107], s[42:43], v[102:103]
	s_delay_alu instid0(VALU_DEP_1) | instskip(SKIP_1) | instid1(SALU_CYCLE_1)
	v_cmp_gt_i64_e32 vcc_lo, s[4:5], v[106:107]
	s_and_b32 s33, s2, vcc_lo
	s_and_saveexec_b32 s20, s33
	s_cbranch_execz .LBB105_26
; %bb.25:                               ;   in Loop: Header=BB105_5 Depth=1
	v_add_nc_u64_e32 v[106:107], v[74:75], v[116:117]
	v_add_nc_u64_e32 v[112:113], v[76:77], v[116:117]
	global_load_u16 v3, v[106:107], off
	global_load_u16 v27, v[112:113], off
	s_wait_loadcnt 0x1
	v_lshlrev_b32_e32 v11, 16, v3
	s_wait_loadcnt 0x0
	v_lshlrev_b32_e32 v27, 16, v27
.LBB105_26:                             ;   in Loop: Header=BB105_5 Depth=1
	s_or_b32 exec_lo, exec_lo, s20
	v_add_nc_u64_e32 v[106:107], s[44:45], v[102:103]
	s_delay_alu instid0(VALU_DEP_1) | instskip(SKIP_1) | instid1(SALU_CYCLE_1)
	v_cmp_gt_i64_e32 vcc_lo, s[4:5], v[106:107]
	s_and_b32 s33, s2, vcc_lo
	s_and_saveexec_b32 s20, s33
	s_cbranch_execz .LBB105_28
; %bb.27:                               ;   in Loop: Header=BB105_5 Depth=1
	v_add_nc_u64_e32 v[106:107], v[70:71], v[116:117]
	v_add_nc_u64_e32 v[112:113], v[72:73], v[116:117]
	global_load_u16 v3, v[106:107], off
	global_load_u16 v28, v[112:113], off
	s_wait_loadcnt 0x0
	v_dual_lshlrev_b32 v12, 16, v3 :: v_dual_lshlrev_b32 v28, 16, v28
.LBB105_28:                             ;   in Loop: Header=BB105_5 Depth=1
	;; [unrolled: 62-line block ×3, first 2 shown]
	s_or_b32 exec_lo, exec_lo, s20
	v_add_nc_u64_e32 v[106:107], s[54:55], v[102:103]
	s_delay_alu instid0(VALU_DEP_1) | instskip(SKIP_1) | instid1(SALU_CYCLE_1)
	v_cmp_gt_i64_e32 vcc_lo, s[4:5], v[106:107]
	s_and_b32 s33, s2, vcc_lo
	s_and_saveexec_b32 s20, s33
	s_cbranch_execz .LBB105_38
; %bb.37:                               ;   in Loop: Header=BB105_5 Depth=1
	v_add_nc_u64_e32 v[106:107], v[50:51], v[116:117]
	v_add_nc_u64_e32 v[112:113], v[52:53], v[116:117]
	global_load_u16 v3, v[106:107], off
	global_load_u16 v33, v[112:113], off
	s_wait_loadcnt 0x0
	v_dual_lshlrev_b32 v17, 16, v3 :: v_dual_lshlrev_b32 v33, 16, v33
.LBB105_38:                             ;   in Loop: Header=BB105_5 Depth=1
	s_or_b32 exec_lo, exec_lo, s20
	v_add_nc_u64_e32 v[106:107], s[56:57], v[102:103]
	s_delay_alu instid0(VALU_DEP_1) | instskip(SKIP_1) | instid1(SALU_CYCLE_1)
	v_cmp_gt_i64_e32 vcc_lo, s[4:5], v[106:107]
	s_and_b32 s33, s2, vcc_lo
	s_and_saveexec_b32 s20, s33
	s_cbranch_execz .LBB105_40
; %bb.39:                               ;   in Loop: Header=BB105_5 Depth=1
	v_add_nc_u64_e32 v[106:107], v[46:47], v[116:117]
	v_add_nc_u64_e32 v[112:113], v[48:49], v[116:117]
	global_load_u16 v3, v[106:107], off
	global_load_u16 v34, v[112:113], off
	s_wait_loadcnt 0x0
	v_dual_lshlrev_b32 v18, 16, v3 :: v_dual_lshlrev_b32 v34, 16, v34
.LBB105_40:                             ;   in Loop: Header=BB105_5 Depth=1
	s_or_b32 exec_lo, exec_lo, s20
	v_add_nc_u64_e32 v[106:107], s[58:59], v[102:103]
	s_delay_alu instid0(VALU_DEP_1) | instskip(SKIP_1) | instid1(SALU_CYCLE_1)
	v_cmp_gt_i64_e32 vcc_lo, s[4:5], v[106:107]
	s_and_b32 s33, s2, vcc_lo
	s_and_saveexec_b32 s20, s33
	s_cbranch_execz .LBB105_42
; %bb.41:                               ;   in Loop: Header=BB105_5 Depth=1
	v_add_nc_u64_e32 v[106:107], v[42:43], v[116:117]
	v_add_nc_u64_e32 v[112:113], v[44:45], v[116:117]
	global_load_u16 v3, v[106:107], off
	global_load_u16 v35, v[112:113], off
	s_wait_loadcnt 0x1
	v_lshlrev_b32_e32 v19, 16, v3
	s_wait_loadcnt 0x0
	v_lshlrev_b32_e32 v35, 16, v35
.LBB105_42:                             ;   in Loop: Header=BB105_5 Depth=1
	s_or_b32 exec_lo, exec_lo, s20
	s_wait_loadcnt 0x1
	ds_bpermute_b32 v106, v2, v110
	s_wait_loadcnt 0x0
	ds_bpermute_b32 v3, v2, v111
	s_mov_b32 s20, 0
	v_dual_mov_b32 v112, v6 :: v_dual_mov_b32 v114, v8
	s_wait_dscnt 0x1
	v_sub_f32_e32 v20, v20, v106
	s_delay_alu instid0(VALU_DEP_1) | instskip(SKIP_1) | instid1(VALU_DEP_1)
	v_dual_mov_b32 v106, v4 :: v_dual_mul_f32 v20, v4, v20
	s_wait_dscnt 0x0
	v_mul_f32_e32 v107, v20, v3
	ds_bpermute_b32 v20, v2, v110 offset:4
	ds_bpermute_b32 v3, v2, v111 offset:4
	s_wait_dscnt 0x1
	v_sub_f32_e32 v20, v21, v20
	v_pk_add_f32 v[106:107], v[104:105], v[106:107]
	s_delay_alu instid0(VALU_DEP_2) | instskip(SKIP_1) | instid1(VALU_DEP_1)
	v_mul_f32_e32 v20, v5, v20
	s_wait_dscnt 0x0
	v_mul_f32_e32 v21, v20, v3
	ds_bpermute_b32 v20, v2, v110 offset:8
	ds_bpermute_b32 v3, v2, v111 offset:8
	s_wait_dscnt 0x1
	v_dual_sub_f32 v20, v22, v20 :: v_dual_mov_b32 v22, v7
	s_delay_alu instid0(VALU_DEP_1)
	v_mul_f32_e32 v20, v6, v20
	ds_bpermute_b32 v6, v2, v110 offset:24
	s_wait_dscnt 0x1
	v_mul_f32_e32 v113, v20, v3
	ds_bpermute_b32 v20, v2, v110 offset:12
	ds_bpermute_b32 v3, v2, v111 offset:12
	s_wait_dscnt 0x2
	v_dual_sub_f32 v6, v26, v6 :: v_dual_mov_b32 v26, v15
	s_wait_dscnt 0x1
	s_delay_alu instid0(VALU_DEP_1) | instskip(NEXT) | instid1(VALU_DEP_1)
	v_dual_sub_f32 v20, v23, v20 :: v_dual_mul_f32 v6, v10, v6
	v_mul_f32_e32 v20, v7, v20
	s_wait_dscnt 0x0
	s_delay_alu instid0(VALU_DEP_1) | instskip(SKIP_4) | instid1(VALU_DEP_1)
	v_mul_f32_e32 v23, v20, v3
	ds_bpermute_b32 v20, v2, v110 offset:16
	ds_bpermute_b32 v3, v2, v111 offset:16
	s_wait_dscnt 0x1
	v_dual_sub_f32 v20, v24, v20 :: v_dual_mov_b32 v24, v9
	v_dual_mul_f32 v20, v8, v20 :: v_dual_mov_b32 v8, v11
	s_wait_dscnt 0x0
	s_delay_alu instid0(VALU_DEP_1) | instskip(SKIP_4) | instid1(VALU_DEP_1)
	v_mul_f32_e32 v115, v20, v3
	ds_bpermute_b32 v20, v2, v110 offset:20
	ds_bpermute_b32 v3, v2, v111 offset:20
	s_wait_dscnt 0x1
	v_sub_f32_e32 v20, v25, v20
	v_mul_f32_e32 v20, v9, v20
	s_wait_dscnt 0x0
	s_delay_alu instid0(VALU_DEP_1) | instskip(SKIP_3) | instid1(VALU_DEP_2)
	v_dual_mul_f32 v25, v20, v3 :: v_dual_mov_b32 v20, v5
	ds_bpermute_b32 v3, v2, v111 offset:24
	v_pk_add_f32 v[4:5], v[20:21], v[106:107]
	v_mov_b32_e32 v20, v12
	v_pk_add_f32 v[4:5], v[112:113], v[4:5]
	s_delay_alu instid0(VALU_DEP_1) | instskip(SKIP_1) | instid1(VALU_DEP_2)
	v_pk_add_f32 v[4:5], v[22:23], v[4:5]
	v_mov_b32_e32 v22, v13
	v_pk_add_f32 v[4:5], v[114:115], v[4:5]
	s_wait_dscnt 0x0
	v_mul_f32_e32 v7, v6, v3
	ds_bpermute_b32 v6, v2, v110 offset:28
	ds_bpermute_b32 v3, v2, v111 offset:28
	v_pk_add_f32 v[4:5], v[24:25], v[4:5]
	s_wait_dscnt 0x1
	v_dual_mov_b32 v24, v14 :: v_dual_sub_f32 v6, v27, v6
	s_delay_alu instid0(VALU_DEP_1) | instskip(SKIP_1) | instid1(VALU_DEP_1)
	v_mul_f32_e32 v6, v11, v6
	s_wait_dscnt 0x0
	v_mul_f32_e32 v9, v6, v3
	ds_bpermute_b32 v6, v2, v110 offset:32
	ds_bpermute_b32 v3, v2, v111 offset:32
	s_wait_dscnt 0x1
	v_sub_f32_e32 v6, v28, v6
	v_mov_b32_e32 v28, v16
	s_delay_alu instid0(VALU_DEP_2) | instskip(SKIP_1) | instid1(VALU_DEP_1)
	v_mul_f32_e32 v6, v12, v6
	s_wait_dscnt 0x0
	v_mul_f32_e32 v21, v6, v3
	ds_bpermute_b32 v6, v2, v110 offset:36
	ds_bpermute_b32 v3, v2, v111 offset:36
	s_wait_dscnt 0x1
	v_sub_f32_e32 v6, v29, v6
	s_delay_alu instid0(VALU_DEP_1) | instskip(SKIP_1) | instid1(VALU_DEP_1)
	v_mul_f32_e32 v6, v13, v6
	s_wait_dscnt 0x0
	v_mul_f32_e32 v23, v6, v3
	ds_bpermute_b32 v6, v2, v110 offset:40
	ds_bpermute_b32 v3, v2, v111 offset:40
	s_wait_dscnt 0x1
	v_dual_sub_f32 v6, v30, v6 :: v_dual_mov_b32 v30, v17
	s_delay_alu instid0(VALU_DEP_1) | instskip(SKIP_1) | instid1(VALU_DEP_1)
	v_mul_f32_e32 v6, v14, v6
	s_wait_dscnt 0x0
	v_mul_f32_e32 v25, v6, v3
	ds_bpermute_b32 v6, v2, v110 offset:44
	ds_bpermute_b32 v3, v2, v111 offset:44
	s_wait_dscnt 0x1
	v_sub_f32_e32 v6, v31, v6
	s_delay_alu instid0(VALU_DEP_1) | instskip(SKIP_1) | instid1(VALU_DEP_1)
	v_mul_f32_e32 v6, v15, v6
	s_wait_dscnt 0x0
	v_mul_f32_e32 v27, v6, v3
	ds_bpermute_b32 v6, v2, v110 offset:48
	ds_bpermute_b32 v3, v2, v111 offset:48
	s_wait_dscnt 0x1
	v_sub_f32_e32 v6, v32, v6
	;; [unrolled: 8-line block ×3, first 2 shown]
	s_delay_alu instid0(VALU_DEP_1) | instskip(SKIP_1) | instid1(VALU_DEP_1)
	v_mul_f32_e32 v6, v17, v6
	s_wait_dscnt 0x0
	v_mul_f32_e32 v31, v6, v3
	v_mov_b32_e32 v6, v10
	ds_bpermute_b32 v3, v2, v111 offset:56
	v_pk_add_f32 v[4:5], v[6:7], v[4:5]
	ds_bpermute_b32 v6, v2, v110 offset:56
	v_pk_add_f32 v[4:5], v[8:9], v[4:5]
	s_delay_alu instid0(VALU_DEP_1) | instskip(NEXT) | instid1(VALU_DEP_1)
	v_pk_add_f32 v[4:5], v[20:21], v[4:5]
	v_pk_add_f32 v[4:5], v[22:23], v[4:5]
	s_delay_alu instid0(VALU_DEP_1) | instskip(SKIP_2) | instid1(VALU_DEP_2)
	v_pk_add_f32 v[4:5], v[24:25], v[4:5]
	s_wait_dscnt 0x0
	v_sub_f32_e32 v6, v34, v6
	v_pk_add_f32 v[4:5], v[26:27], v[4:5]
	s_delay_alu instid0(VALU_DEP_2) | instskip(NEXT) | instid1(VALU_DEP_2)
	v_mul_f32_e32 v6, v18, v6
	v_pk_add_f32 v[4:5], v[28:29], v[4:5]
	s_delay_alu instid0(VALU_DEP_2) | instskip(SKIP_3) | instid1(VALU_DEP_1)
	v_mul_f32_e32 v7, v6, v3
	v_mov_b32_e32 v6, v18
	ds_bpermute_b32 v3, v2, v111 offset:60
	v_pk_add_f32 v[4:5], v[30:31], v[4:5]
	v_pk_add_f32 v[106:107], v[6:7], v[4:5]
	ds_bpermute_b32 v4, v2, v110 offset:60
.LBB105_43:                             ;   in Loop: Header=BB105_5 Depth=1
	s_and_b32 vcc_lo, exec_lo, s20
	s_cbranch_vccz .LBB105_4
; %bb.44:                               ;   in Loop: Header=BB105_5 Depth=1
	s_load_b32 s20, s[22:23], 0x0
	v_dual_mov_b32 v110, 0 :: v_dual_mov_b32 v111, 0
	s_wait_kmcnt 0x0
	s_cmp_lt_u32 s16, s20
	s_cselect_b32 s20, 12, 18
	s_delay_alu instid0(SALU_CYCLE_1)
	s_add_nc_u64 s[66:67], s[22:23], s[20:21]
	s_load_u16 s20, s[66:67], 0x0
	s_wait_dscnt 0x1
	s_wait_kmcnt 0x0
	v_mad_u32_u24 v3, v108, s20, v109
	s_mov_b32 s20, exec_lo
	s_wait_dscnt 0x0
	s_delay_alu instid0(VALU_DEP_1) | instskip(NEXT) | instid1(VALU_DEP_1)
	v_and_b32_e32 v4, 31, v3
	v_cmpx_gt_u32_e32 16, v4
	s_cbranch_execz .LBB105_48
; %bb.45:                               ;   in Loop: Header=BB105_5 Depth=1
	v_dual_mov_b32 v5, v2 :: v_dual_mov_b32 v110, 0
	v_mov_b32_e32 v111, 0
	s_mov_b32 s33, exec_lo
	s_delay_alu instid0(VALU_DEP_2) | instskip(NEXT) | instid1(VALU_DEP_1)
	v_add_nc_u64_e32 v[4:5], v[102:103], v[4:5]
	v_add_nc_u64_e32 v[4:5], s[26:27], v[4:5]
	s_delay_alu instid0(VALU_DEP_1)
	v_cmpx_gt_i64_e64 s[4:5], v[4:5]
	s_cbranch_execz .LBB105_47
; %bb.46:                               ;   in Loop: Header=BB105_5 Depth=1
	v_lshlrev_b64_e32 v[4:5], 2, v[4:5]
	s_delay_alu instid0(VALU_DEP_1)
	v_add_nc_u64_e32 v[6:7], s[12:13], v[4:5]
	v_add_nc_u64_e32 v[4:5], s[14:15], v[4:5]
	global_load_b32 v110, v[6:7], off
	global_load_b32 v111, v[4:5], off
.LBB105_47:                             ;   in Loop: Header=BB105_5 Depth=1
	s_wait_xcnt 0x0
	s_or_b32 exec_lo, exec_lo, s33
.LBB105_48:                             ;   in Loop: Header=BB105_5 Depth=1
	s_delay_alu instid0(SALU_CYCLE_1)
	s_or_b32 exec_lo, exec_lo, s20
	v_dual_mov_b32 v15, v2 :: v_dual_mov_b32 v16, v2
	v_dual_mov_b32 v17, v2 :: v_dual_mov_b32 v3, v2
	;; [unrolled: 1-line block ×7, first 2 shown]
	v_mov_b32_e32 v14, v2
	v_mov_b64_e32 v[34:35], v[16:17]
	s_delay_alu instid0(VALU_DEP_4)
	v_mov_b64_e32 v[28:29], v[10:11]
	v_mov_b64_e32 v[26:27], v[8:9]
	;; [unrolled: 1-line block ×15, first 2 shown]
	s_and_saveexec_b32 s20, s2
	s_cbranch_execnz .LBB105_64
; %bb.49:                               ;   in Loop: Header=BB105_5 Depth=1
	s_or_b32 exec_lo, exec_lo, s20
	s_and_saveexec_b32 s20, s2
	s_cbranch_execnz .LBB105_65
.LBB105_50:                             ;   in Loop: Header=BB105_5 Depth=1
	s_or_b32 exec_lo, exec_lo, s20
	s_and_saveexec_b32 s20, s2
	s_cbranch_execnz .LBB105_66
.LBB105_51:                             ;   in Loop: Header=BB105_5 Depth=1
	s_or_b32 exec_lo, exec_lo, s20
	s_and_saveexec_b32 s20, s2
	s_cbranch_execnz .LBB105_67
.LBB105_52:                             ;   in Loop: Header=BB105_5 Depth=1
	s_or_b32 exec_lo, exec_lo, s20
	s_and_saveexec_b32 s20, s2
	s_cbranch_execnz .LBB105_68
.LBB105_53:                             ;   in Loop: Header=BB105_5 Depth=1
	s_or_b32 exec_lo, exec_lo, s20
	s_and_saveexec_b32 s20, s2
	s_cbranch_execnz .LBB105_69
.LBB105_54:                             ;   in Loop: Header=BB105_5 Depth=1
	s_or_b32 exec_lo, exec_lo, s20
	s_and_saveexec_b32 s20, s2
	s_cbranch_execnz .LBB105_70
.LBB105_55:                             ;   in Loop: Header=BB105_5 Depth=1
	s_or_b32 exec_lo, exec_lo, s20
	s_and_saveexec_b32 s20, s2
	s_cbranch_execnz .LBB105_71
.LBB105_56:                             ;   in Loop: Header=BB105_5 Depth=1
	s_or_b32 exec_lo, exec_lo, s20
	s_and_saveexec_b32 s20, s2
	s_cbranch_execnz .LBB105_72
.LBB105_57:                             ;   in Loop: Header=BB105_5 Depth=1
	s_or_b32 exec_lo, exec_lo, s20
	s_and_saveexec_b32 s20, s2
	s_cbranch_execnz .LBB105_73
.LBB105_58:                             ;   in Loop: Header=BB105_5 Depth=1
	s_or_b32 exec_lo, exec_lo, s20
	s_and_saveexec_b32 s20, s2
	s_cbranch_execnz .LBB105_74
.LBB105_59:                             ;   in Loop: Header=BB105_5 Depth=1
	s_or_b32 exec_lo, exec_lo, s20
	s_and_saveexec_b32 s20, s2
	s_cbranch_execnz .LBB105_75
.LBB105_60:                             ;   in Loop: Header=BB105_5 Depth=1
	s_or_b32 exec_lo, exec_lo, s20
	s_and_saveexec_b32 s20, s2
	s_cbranch_execnz .LBB105_76
.LBB105_61:                             ;   in Loop: Header=BB105_5 Depth=1
	s_or_b32 exec_lo, exec_lo, s20
	s_and_saveexec_b32 s20, s2
	s_cbranch_execnz .LBB105_77
.LBB105_62:                             ;   in Loop: Header=BB105_5 Depth=1
	s_or_b32 exec_lo, exec_lo, s20
	s_and_saveexec_b32 s20, s2
	s_cbranch_execnz .LBB105_78
.LBB105_63:                             ;   in Loop: Header=BB105_5 Depth=1
	s_or_b32 exec_lo, exec_lo, s20
	s_and_saveexec_b32 s20, s2
	s_cbranch_execz .LBB105_3
	s_branch .LBB105_79
.LBB105_64:                             ;   in Loop: Header=BB105_5 Depth=1
	v_add_nc_u64_e32 v[4:5], v[38:39], v[116:117]
	v_add_nc_u64_e32 v[6:7], v[40:41], v[116:117]
	v_dual_mov_b32 v9, v2 :: v_dual_mov_b32 v10, v2
	v_dual_mov_b32 v11, v2 :: v_dual_mov_b32 v12, v2
	;; [unrolled: 1-line block ×3, first 2 shown]
	global_load_u16 v3, v[4:5], off
	global_load_u16 v20, v[6:7], off
	s_wait_xcnt 0x0
	v_dual_mov_b32 v5, v2 :: v_dual_mov_b32 v6, v2
	v_dual_mov_b32 v7, v2 :: v_dual_mov_b32 v8, v2
	;; [unrolled: 1-line block ×12, first 2 shown]
	s_wait_loadcnt 0x0
	v_dual_lshlrev_b32 v4, 16, v3 :: v_dual_lshlrev_b32 v20, 16, v20
	s_or_b32 exec_lo, exec_lo, s20
	s_and_saveexec_b32 s20, s2
	s_cbranch_execz .LBB105_50
.LBB105_65:                             ;   in Loop: Header=BB105_5 Depth=1
	v_add_nc_u64_e32 v[102:103], v[98:99], v[116:117]
	v_add_nc_u64_e32 v[106:107], v[100:101], v[116:117]
	global_load_u16 v3, v[102:103], off
	global_load_u16 v21, v[106:107], off
	s_wait_loadcnt 0x0
	v_dual_lshlrev_b32 v5, 16, v3 :: v_dual_lshlrev_b32 v21, 16, v21
	s_or_b32 exec_lo, exec_lo, s20
	s_and_saveexec_b32 s20, s2
	s_cbranch_execz .LBB105_51
.LBB105_66:                             ;   in Loop: Header=BB105_5 Depth=1
	v_add_nc_u64_e32 v[102:103], v[94:95], v[116:117]
	v_add_nc_u64_e32 v[106:107], v[96:97], v[116:117]
	global_load_u16 v3, v[102:103], off
	global_load_u16 v22, v[106:107], off
	s_wait_loadcnt 0x0
	v_dual_lshlrev_b32 v6, 16, v3 :: v_dual_lshlrev_b32 v22, 16, v22
	s_or_b32 exec_lo, exec_lo, s20
	s_and_saveexec_b32 s20, s2
	s_cbranch_execz .LBB105_52
.LBB105_67:                             ;   in Loop: Header=BB105_5 Depth=1
	v_add_nc_u64_e32 v[102:103], v[90:91], v[116:117]
	v_add_nc_u64_e32 v[106:107], v[92:93], v[116:117]
	global_load_u16 v3, v[102:103], off
	global_load_u16 v23, v[106:107], off
	s_wait_loadcnt 0x1
	v_lshlrev_b32_e32 v7, 16, v3
	s_wait_loadcnt 0x0
	v_lshlrev_b32_e32 v23, 16, v23
	s_or_b32 exec_lo, exec_lo, s20
	s_and_saveexec_b32 s20, s2
	s_cbranch_execz .LBB105_53
.LBB105_68:                             ;   in Loop: Header=BB105_5 Depth=1
	v_add_nc_u64_e32 v[102:103], v[86:87], v[116:117]
	v_add_nc_u64_e32 v[106:107], v[88:89], v[116:117]
	global_load_u16 v3, v[102:103], off
	global_load_u16 v24, v[106:107], off
	s_wait_loadcnt 0x0
	v_dual_lshlrev_b32 v8, 16, v3 :: v_dual_lshlrev_b32 v24, 16, v24
	s_or_b32 exec_lo, exec_lo, s20
	s_and_saveexec_b32 s20, s2
	s_cbranch_execz .LBB105_54
.LBB105_69:                             ;   in Loop: Header=BB105_5 Depth=1
	v_add_nc_u64_e32 v[102:103], v[82:83], v[116:117]
	v_add_nc_u64_e32 v[106:107], v[84:85], v[116:117]
	global_load_u16 v3, v[102:103], off
	global_load_u16 v25, v[106:107], off
	s_wait_loadcnt 0x0
	v_dual_lshlrev_b32 v9, 16, v3 :: v_dual_lshlrev_b32 v25, 16, v25
	s_or_b32 exec_lo, exec_lo, s20
	s_and_saveexec_b32 s20, s2
	s_cbranch_execz .LBB105_55
.LBB105_70:                             ;   in Loop: Header=BB105_5 Depth=1
	v_add_nc_u64_e32 v[102:103], v[78:79], v[116:117]
	v_add_nc_u64_e32 v[106:107], v[80:81], v[116:117]
	global_load_u16 v3, v[102:103], off
	global_load_u16 v26, v[106:107], off
	s_wait_loadcnt 0x0
	v_dual_lshlrev_b32 v10, 16, v3 :: v_dual_lshlrev_b32 v26, 16, v26
	s_or_b32 exec_lo, exec_lo, s20
	s_and_saveexec_b32 s20, s2
	s_cbranch_execz .LBB105_56
.LBB105_71:                             ;   in Loop: Header=BB105_5 Depth=1
	v_add_nc_u64_e32 v[102:103], v[74:75], v[116:117]
	v_add_nc_u64_e32 v[106:107], v[76:77], v[116:117]
	global_load_u16 v3, v[102:103], off
	global_load_u16 v27, v[106:107], off
	s_wait_loadcnt 0x1
	v_lshlrev_b32_e32 v11, 16, v3
	s_wait_loadcnt 0x0
	v_lshlrev_b32_e32 v27, 16, v27
	s_or_b32 exec_lo, exec_lo, s20
	s_and_saveexec_b32 s20, s2
	s_cbranch_execz .LBB105_57
.LBB105_72:                             ;   in Loop: Header=BB105_5 Depth=1
	v_add_nc_u64_e32 v[102:103], v[70:71], v[116:117]
	v_add_nc_u64_e32 v[106:107], v[72:73], v[116:117]
	global_load_u16 v3, v[102:103], off
	global_load_u16 v28, v[106:107], off
	s_wait_loadcnt 0x0
	v_dual_lshlrev_b32 v12, 16, v3 :: v_dual_lshlrev_b32 v28, 16, v28
	s_or_b32 exec_lo, exec_lo, s20
	s_and_saveexec_b32 s20, s2
	s_cbranch_execz .LBB105_58
.LBB105_73:                             ;   in Loop: Header=BB105_5 Depth=1
	v_add_nc_u64_e32 v[102:103], v[66:67], v[116:117]
	v_add_nc_u64_e32 v[106:107], v[68:69], v[116:117]
	global_load_u16 v3, v[102:103], off
	global_load_u16 v29, v[106:107], off
	s_wait_loadcnt 0x0
	v_dual_lshlrev_b32 v13, 16, v3 :: v_dual_lshlrev_b32 v29, 16, v29
	s_or_b32 exec_lo, exec_lo, s20
	s_and_saveexec_b32 s20, s2
	s_cbranch_execz .LBB105_59
.LBB105_74:                             ;   in Loop: Header=BB105_5 Depth=1
	v_add_nc_u64_e32 v[102:103], v[62:63], v[116:117]
	v_add_nc_u64_e32 v[106:107], v[64:65], v[116:117]
	global_load_u16 v3, v[102:103], off
	global_load_u16 v30, v[106:107], off
	s_wait_loadcnt 0x0
	v_dual_lshlrev_b32 v14, 16, v3 :: v_dual_lshlrev_b32 v30, 16, v30
	s_or_b32 exec_lo, exec_lo, s20
	s_and_saveexec_b32 s20, s2
	s_cbranch_execz .LBB105_60
.LBB105_75:                             ;   in Loop: Header=BB105_5 Depth=1
	v_add_nc_u64_e32 v[102:103], v[58:59], v[116:117]
	v_add_nc_u64_e32 v[106:107], v[60:61], v[116:117]
	global_load_u16 v3, v[102:103], off
	global_load_u16 v31, v[106:107], off
	s_wait_loadcnt 0x1
	v_lshlrev_b32_e32 v15, 16, v3
	s_wait_loadcnt 0x0
	v_lshlrev_b32_e32 v31, 16, v31
	s_or_b32 exec_lo, exec_lo, s20
	s_and_saveexec_b32 s20, s2
	s_cbranch_execz .LBB105_61
.LBB105_76:                             ;   in Loop: Header=BB105_5 Depth=1
	v_add_nc_u64_e32 v[102:103], v[54:55], v[116:117]
	v_add_nc_u64_e32 v[106:107], v[56:57], v[116:117]
	global_load_u16 v3, v[102:103], off
	global_load_u16 v32, v[106:107], off
	s_wait_loadcnt 0x0
	v_dual_lshlrev_b32 v16, 16, v3 :: v_dual_lshlrev_b32 v32, 16, v32
	s_or_b32 exec_lo, exec_lo, s20
	s_and_saveexec_b32 s20, s2
	s_cbranch_execz .LBB105_62
.LBB105_77:                             ;   in Loop: Header=BB105_5 Depth=1
	v_add_nc_u64_e32 v[102:103], v[50:51], v[116:117]
	v_add_nc_u64_e32 v[106:107], v[52:53], v[116:117]
	global_load_u16 v3, v[102:103], off
	global_load_u16 v33, v[106:107], off
	s_wait_loadcnt 0x0
	v_dual_lshlrev_b32 v17, 16, v3 :: v_dual_lshlrev_b32 v33, 16, v33
	s_or_b32 exec_lo, exec_lo, s20
	s_and_saveexec_b32 s20, s2
	s_cbranch_execz .LBB105_63
.LBB105_78:                             ;   in Loop: Header=BB105_5 Depth=1
	v_add_nc_u64_e32 v[102:103], v[46:47], v[116:117]
	v_add_nc_u64_e32 v[106:107], v[48:49], v[116:117]
	global_load_u16 v3, v[102:103], off
	global_load_u16 v34, v[106:107], off
	s_wait_loadcnt 0x0
	v_dual_lshlrev_b32 v18, 16, v3 :: v_dual_lshlrev_b32 v34, 16, v34
	s_or_b32 exec_lo, exec_lo, s20
	s_and_saveexec_b32 s20, s2
	s_cbranch_execz .LBB105_3
.LBB105_79:                             ;   in Loop: Header=BB105_5 Depth=1
	v_add_nc_u64_e32 v[102:103], v[42:43], v[116:117]
	v_add_nc_u64_e32 v[106:107], v[44:45], v[116:117]
	global_load_u16 v3, v[102:103], off
	global_load_u16 v35, v[106:107], off
	s_wait_loadcnt 0x1
	v_lshlrev_b32_e32 v19, 16, v3
	s_wait_loadcnt 0x0
	v_lshlrev_b32_e32 v35, 16, v35
	s_branch .LBB105_3
.LBB105_80:
                                        ; implicit-def: $vgpr105
	s_branch .LBB105_82
.LBB105_81:
	s_cbranch_execnz .LBB105_130
.LBB105_82:
	v_mov_b32_e32 v105, 0
	s_and_not1_b32 vcc_lo, exec_lo, s17
	s_delay_alu instid0(VALU_DEP_1)
	v_mov_b32_e32 v104, v105
	s_cbranch_vccnz .LBB105_130
; %bb.83:
	v_bfe_u32 v1, v0, 10, 10
	v_mov_b32_e32 v2, 0
	scratch_store_b32 off, v0, off offset:192 ; 4-byte Folded Spill
	s_wait_xcnt 0x0
	v_and_b32_e32 v0, 0x3ff, v0
	s_load_b32 s2, s[0:1], 0x44
	v_dual_mov_b32 v5, v2 :: v_dual_lshlrev_b32 v4, 5, v1
	v_mov_b32_e32 v105, v2
	scratch_store_b32 off, v0, off offset:188 ; 4-byte Folded Spill
	s_mov_b64 s[22:23], 0xffffffffffffff03
	s_mov_b64 s[24:25], 0xffffffffffffff04
	v_lshl_add_u64 v[24:25], s[18:19], 1, v[4:5]
	s_mov_b64 s[26:27], 0xffffffffffffff05
	s_mov_b64 s[28:29], 0xffffffffffffff06
	;; [unrolled: 1-line block ×4, first 2 shown]
	v_add_nc_u64_e32 v[4:5], 2, v[24:25]
	v_add_nc_u64_e32 v[10:11], 4, v[24:25]
	;; [unrolled: 1-line block ×7, first 2 shown]
	v_mad_nc_u64_u32 v[26:27], s6, v4, s[8:9]
	v_mul_lo_u32 v3, s6, v5
	v_mul_lo_u32 v5, s7, v4
	v_mad_nc_u64_u32 v[28:29], s6, v10, s[8:9]
	v_mul_lo_u32 v11, s6, v11
	v_mul_lo_u32 v18, s7, v10
	;; [unrolled: 3-line block ×4, first 2 shown]
	v_mad_nc_u64_u32 v[38:39], s6, v4, s[10:11]
	v_add3_u32 v27, v5, v27, v3
	v_mad_nc_u64_u32 v[34:35], s6, v14, s[8:9]
	v_mul_lo_u32 v15, s6, v15
	v_mul_lo_u32 v21, s7, v14
	v_add3_u32 v29, v18, v29, v11
	scratch_store_b64 off, v[26:27], off    ; 8-byte Folded Spill
	v_add3_u32 v31, v19, v31, v7
	s_wait_xcnt 0x0
	v_mad_nc_u64_u32 v[26:27], s6, v6, s[10:11]
	v_mad_nc_u64_u32 v[36:37], s6, v12, s[8:9]
	v_add3_u32 v33, v20, v33, v9
	v_mul_lo_u32 v13, s6, v13
	v_mul_lo_u32 v22, s7, v12
	v_mad_nc_u64_u32 v[40:41], s6, v10, s[10:11]
	s_clause 0x2
	scratch_store_b64 off, v[28:29], off offset:8
	scratch_store_b64 off, v[30:31], off offset:16
	;; [unrolled: 1-line block ×3, first 2 shown]
	s_wait_xcnt 0x2
	v_mad_nc_u64_u32 v[28:29], s6, v16, s[8:9]
	s_wait_xcnt 0x1
	v_mad_nc_u64_u32 v[30:31], s6, v8, s[10:11]
	v_add3_u32 v39, v5, v39, v3
	s_wait_xcnt 0x0
	v_mad_nc_u64_u32 v[32:33], s6, v14, s[10:11]
	v_mul_lo_u32 v3, s6, v17
	v_mul_lo_u32 v10, s7, v16
	v_add_nc_u64_e32 v[4:5], 16, v[24:25]
	v_add3_u32 v35, v21, v35, v15
	v_add3_u32 v27, v19, v27, v7
	;; [unrolled: 1-line block ×4, first 2 shown]
	v_add_nc_u64_e32 v[6:7], 18, v[24:25]
	s_clause 0x3
	scratch_store_b64 off, v[34:35], off offset:32
	scratch_store_b64 off, v[38:39], off offset:48
	;; [unrolled: 1-line block ×4, first 2 shown]
	s_wait_xcnt 0x3
	v_mad_nc_u64_u32 v[34:35], s6, v12, s[10:11]
	v_add3_u32 v31, v20, v31, v9
	v_add3_u32 v33, v21, v33, v15
	v_mul_lo_u32 v11, s6, v5
	v_mul_lo_u32 v12, s7, v4
	v_mad_nc_u64_u32 v[20:21], s6, v4, s[10:11]
	v_add3_u32 v29, v10, v29, v3
	s_clause 0x2
	scratch_store_b64 off, v[26:27], off offset:64
	scratch_store_b64 off, v[30:31], off offset:80
	scratch_store_b64 off, v[32:33], off offset:88
	s_wait_xcnt 0x2
	v_mad_nc_u64_u32 v[26:27], s6, v4, s[8:9]
	v_add_nc_u64_e32 v[4:5], 20, v[24:25]
	scratch_store_b64 off, v[28:29], off offset:72 ; 8-byte Folded Spill
	s_wait_xcnt 0x0
	v_mad_nc_u64_u32 v[28:29], s6, v6, s[8:9]
	v_mul_lo_u32 v7, s6, v7
	v_add_nc_u64_e32 v[8:9], 22, v[24:25]
	v_mul_lo_u32 v14, s7, v6
	v_mad_nc_u64_u32 v[30:31], s6, v6, s[10:11]
	v_mul_lo_u32 v6, s6, v5
	v_mul_lo_u32 v15, s7, v4
	v_mad_nc_u64_u32 v[32:33], s6, v4, s[8:9]
	v_mad_nc_u64_u32 v[36:37], s6, v4, s[10:11]
	;; [unrolled: 1-line block ×3, first 2 shown]
	v_mul_lo_u32 v9, s6, v9
	v_mul_lo_u32 v16, s7, v8
	v_mad_nc_u64_u32 v[38:39], s6, v8, s[8:9]
	v_add3_u32 v35, v22, v35, v13
	v_mad_nc_u64_u32 v[22:23], s6, v8, s[10:11]
	v_add_nc_u64_e32 v[4:5], 24, v[24:25]
	v_add3_u32 v29, v14, v29, v7
	v_add3_u32 v31, v14, v31, v7
	;; [unrolled: 1-line block ×4, first 2 shown]
	v_add_nc_u64_e32 v[6:7], 26, v[24:25]
	v_add3_u32 v19, v10, v19, v3
	v_mul_lo_u32 v3, s6, v5
	v_mul_lo_u32 v8, s7, v4
	v_mad_nc_u64_u32 v[78:79], s6, v4, s[8:9]
	v_mad_nc_u64_u32 v[82:83], s6, v4, s[10:11]
	v_add3_u32 v39, v16, v39, v9
	v_add3_u32 v23, v16, v23, v9
	v_mul_lo_u32 v9, s6, v7
	v_mul_lo_u32 v10, s7, v6
	v_mad_nc_u64_u32 v[84:85], s6, v6, s[8:9]
	v_mad_nc_u64_u32 v[86:87], s6, v6, s[10:11]
	v_add_nc_u64_e32 v[6:7], 30, v[24:25]
	v_dual_mov_b32 v15, v2 :: v_dual_lshlrev_b32 v14, 4, v1
	v_add3_u32 v79, v8, v79, v3
	v_add3_u32 v83, v8, v83, v3
	scratch_store_b64 off, v[34:35], off offset:96 ; 8-byte Folded Spill
	v_add_nc_u64_e32 v[4:5], 28, v[24:25]
	v_mul_lo_u32 v3, s6, v7
	v_mul_lo_u32 v16, s7, v6
	v_mad_nc_u64_u32 v[94:95], s6, v6, s[8:9]
	v_mad_nc_u64_u32 v[96:97], s6, v6, s[10:11]
	v_add3_u32 v85, v10, v85, v9
	v_add3_u32 v87, v10, v87, v9
	v_add3_u32 v27, v12, v27, v11
	v_add3_u32 v21, v12, v21, v11
	v_mul_lo_u32 v12, s6, v5
	v_mul_lo_u32 v13, s7, v4
	v_mad_nc_u64_u32 v[90:91], s6, v4, s[8:9]
	v_mad_nc_u64_u32 v[92:93], s6, v4, s[10:11]
	s_clause 0x1
	scratch_store_b64 off, v[38:39], off offset:160
	scratch_store_b64 off, v[22:23], off offset:168
	v_add3_u32 v95, v16, v95, v3
	v_add3_u32 v97, v16, v97, v3
	v_add_nc_u32_e32 v16, s3, v0
	s_wait_xcnt 0x2
	v_add_nc_u64_e32 v[34:35], s[18:19], v[14:15]
	s_clause 0x8
	scratch_store_b32 off, v1, off offset:176
	scratch_store_b64 off, v[14:15], off offset:180
	scratch_store_b64 off, v[18:19], off offset:104
	;; [unrolled: 1-line block ×8, first 2 shown]
	v_mul_u64_e32 v[8:9], s[6:7], v[34:35]
	v_add_nc_u64_e32 v[4:5], 15, v[34:35]
	v_add_nc_u64_e32 v[6:7], 14, v[34:35]
	s_wait_xcnt 0x7
	v_add_nc_u64_e32 v[14:15], 11, v[34:35]
	v_add_nc_u64_e32 v[10:11], 13, v[34:35]
	s_wait_xcnt 0x6
	v_add_nc_u64_e32 v[18:19], 10, v[34:35]
	v_add_nc_u64_e32 v[22:23], 8, v[34:35]
	v_add3_u32 v91, v13, v91, v12
	v_mul_u64_e32 v[4:5], s[6:7], v[4:5]
	v_mul_u64_e32 v[6:7], s[6:7], v[6:7]
	;; [unrolled: 1-line block ×3, first 2 shown]
	v_add3_u32 v93, v13, v93, v12
	v_add_nc_u64_e32 v[12:13], 12, v[34:35]
	v_mul_u64_e32 v[10:11], s[6:7], v[10:11]
	v_add_nc_u64_e32 v[24:25], 7, v[34:35]
	v_mul_u64_e32 v[18:19], s[6:7], v[18:19]
	v_mul_u64_e32 v[22:23], s[6:7], v[22:23]
	s_wait_xcnt 0x5
	v_add_nc_u64_e32 v[26:27], 6, v[34:35]
	s_wait_xcnt 0x3
	v_add_nc_u64_e32 v[28:29], 5, v[34:35]
	v_dual_mov_b32 v17, v2 :: v_dual_mov_b32 v104, 0
	v_mul_u64_e32 v[12:13], s[6:7], v[12:13]
	v_add_nc_u64_e32 v[20:21], 9, v[34:35]
	v_mul_u64_e32 v[24:25], s[6:7], v[24:25]
	s_delay_alu instid0(VALU_DEP_4)
	v_lshlrev_b64_e32 v[98:99], 1, v[16:17]
	v_add_nc_u64_e32 v[16:17], 4, v[34:35]
	v_mul_u64_e32 v[26:27], s[6:7], v[26:27]
	v_mul_u64_e32 v[28:29], s[6:7], v[28:29]
	s_wait_xcnt 0x1
	v_add_nc_u64_e32 v[32:33], 3, v[34:35]
	v_add_nc_u64_e32 v[0:1], 2, v[34:35]
	v_mul_u64_e32 v[20:21], s[6:7], v[20:21]
	s_mov_b32 s3, 0
	v_lshlrev_b64_e32 v[30:31], 1, v[8:9]
	v_mul_u64_e32 v[16:17], s[6:7], v[16:17]
	v_add_nc_u64_e32 v[8:9], s[6:7], v[8:9]
	s_wait_kmcnt 0x0
	s_lshl_b32 s20, s2, 8
	s_mov_b32 s21, s3
	s_mov_b64 s[36:37], 0xffffffffffffff09
	s_mul_u64 s[54:55], s[6:7], s[20:21]
	v_add_nc_u64_e32 v[100:101], s[8:9], v[30:31]
	v_add_nc_u64_e32 v[102:103], s[10:11], v[30:31]
	v_mul_u64_e32 v[30:31], s[6:7], v[32:33]
	v_mul_u64_e32 v[32:33], s[6:7], v[0:1]
	v_lshlrev_b64_e32 v[4:5], 1, v[4:5]
	v_lshlrev_b64_e32 v[6:7], 1, v[6:7]
	;; [unrolled: 1-line block ×3, first 2 shown]
	s_mov_b64 s[38:39], 0xffffffffffffff0a
	s_mov_b64 s[40:41], 0xffffffffffffff0b
	;; [unrolled: 1-line block ×4, first 2 shown]
	v_add_nc_u64_e32 v[68:69], s[8:9], v[4:5]
	v_add_nc_u64_e32 v[106:107], s[10:11], v[4:5]
	v_lshlrev_b64_e32 v[4:5], 1, v[14:15]
	v_add_nc_u64_e32 v[108:109], s[8:9], v[6:7]
	v_add_nc_u64_e32 v[110:111], s[10:11], v[6:7]
	v_lshlrev_b64_e32 v[6:7], 1, v[18:19]
	v_lshlrev_b64_e32 v[0:1], 1, v[12:13]
	v_add_nc_u64_e32 v[112:113], s[8:9], v[10:11]
	v_add_nc_u64_e32 v[114:115], s[10:11], v[10:11]
	;; [unrolled: 1-line block ×4, first 2 shown]
	v_lshlrev_b64_e32 v[4:5], 1, v[22:23]
	v_lshlrev_b64_e32 v[10:11], 1, v[24:25]
	v_add_nc_u64_e32 v[124:125], s[8:9], v[6:7]
	v_add_nc_u64_e32 v[126:127], s[10:11], v[6:7]
	v_lshlrev_b64_e32 v[6:7], 1, v[26:27]
	v_add_nc_u64_e32 v[116:117], s[8:9], v[0:1]
	v_add_nc_u64_e32 v[118:119], s[10:11], v[0:1]
	s_wait_xcnt 0x0
	v_add_nc_u64_e32 v[36:37], s[8:9], v[4:5]
	v_add_nc_u64_e32 v[38:39], s[10:11], v[4:5]
	v_lshlrev_b64_e32 v[4:5], 1, v[28:29]
	v_lshlrev_b64_e32 v[0:1], 1, v[20:21]
	v_add_nc_u64_e32 v[40:41], s[8:9], v[10:11]
	v_add_nc_u64_e32 v[42:43], s[10:11], v[10:11]
	v_lshlrev_b64_e32 v[10:11], 1, v[16:17]
	v_add_nc_u64_e32 v[44:45], s[8:9], v[6:7]
	v_add_nc_u64_e32 v[46:47], s[10:11], v[6:7]
	v_lshlrev_b64_e32 v[6:7], 1, v[30:31]
	v_lshlrev_b64_e32 v[12:13], 1, v[32:33]
	v_add_nc_u64_e32 v[48:49], s[8:9], v[4:5]
	v_add_nc_u64_e32 v[50:51], s[10:11], v[4:5]
	v_lshlrev_b64_e32 v[4:5], 1, v[8:9]
	v_add_nc_u64_e32 v[88:89], s[8:9], v[0:1]
	v_add_nc_u64_e32 v[0:1], s[10:11], v[0:1]
	;; [unrolled: 1-line block ×10, first 2 shown]
	s_mov_b64 s[8:9], 0xffffffffffffff01
	s_mov_b64 s[10:11], 0xffffffffffffff02
	;; [unrolled: 1-line block ×5, first 2 shown]
	s_add_nc_u64 s[52:53], s[0:1], 64
	s_lshl_b64 s[54:55], s[54:55], 1
	s_add_nc_u64 s[56:57], s[18:19], 0xff
	s_branch .LBB105_87
.LBB105_84:                             ;   in Loop: Header=BB105_87 Depth=1
	s_wait_xcnt 0x0
	s_or_b32 exec_lo, exec_lo, s17
.LBB105_85:                             ;   in Loop: Header=BB105_87 Depth=1
	s_delay_alu instid0(SALU_CYCLE_1)
	s_or_b32 exec_lo, exec_lo, s2
	v_add_nc_u64_e32 v[4:5], v[102:103], v[98:99]
	v_add_nc_u64_e32 v[6:7], v[100:101], v[98:99]
	s_wait_loadcnt 0x1
	ds_bpermute_b32 v27, v2, v3
	ds_bpermute_b32 v32, v2, v3 offset:12
	global_load_u16 v8, v[4:5], off
	global_load_u16 v17, v[6:7], off
	s_clause 0x2
	scratch_load_b64 v[4:5], off, off offset:48
	scratch_load_b64 v[6:7], off, off offset:56
	scratch_load_b64 v[10:11], off, off
	s_wait_loadcnt 0x2
	v_add_nc_u64_e32 v[4:5], v[4:5], v[98:99]
	s_wait_loadcnt 0x1
	v_add_nc_u64_e32 v[6:7], v[6:7], v[98:99]
	;; [unrolled: 2-line block ×3, first 2 shown]
	global_load_u16 v24, v[4:5], off
	scratch_load_b64 v[4:5], off, off offset:8 ; 8-byte Folded Reload
	global_load_u16 v9, v[6:7], off
	global_load_u16 v12, v[10:11], off
	scratch_load_b64 v[6:7], off, off offset:64 ; 8-byte Folded Reload
	s_wait_loadcnt 0x4
	v_lshlrev_b32_e32 v24, 16, v24
	s_wait_loadcnt 0x3
	v_add_nc_u64_e32 v[4:5], v[4:5], v[98:99]
	global_load_u16 v16, v[4:5], off
	scratch_load_b64 v[4:5], off, off offset:16 ; 8-byte Folded Reload
	s_wait_loadcnt 0x2
	v_add_nc_u64_e32 v[6:7], v[6:7], v[98:99]
	v_lshlrev_b32_e32 v35, 16, v9
	s_wait_loadcnt 0x0
	v_add_nc_u64_e32 v[4:5], v[4:5], v[98:99]
	global_load_u16 v13, v[6:7], off
	global_load_u16 v14, v[4:5], off
	s_clause 0x1
	scratch_load_b64 v[4:5], off, off offset:80
	scratch_load_b64 v[6:7], off, off offset:24
	s_wait_loadcnt 0x2
	v_lshlrev_b32_e32 v14, 16, v14
	s_wait_loadcnt 0x1
	v_add_nc_u64_e32 v[4:5], v[4:5], v[98:99]
	s_wait_loadcnt 0x0
	v_add_nc_u64_e32 v[6:7], v[6:7], v[98:99]
	global_load_u16 v15, v[4:5], off
	scratch_load_b64 v[4:5], off, off offset:88 ; 8-byte Folded Reload
	global_load_u16 v10, v[6:7], off
	scratch_load_b64 v[6:7], off, off offset:32 ; 8-byte Folded Reload
	s_wait_loadcnt 0x2
	v_add_nc_u64_e32 v[4:5], v[4:5], v[98:99]
	s_wait_loadcnt 0x0
	v_add_nc_u64_e32 v[6:7], v[6:7], v[98:99]
	global_load_u16 v11, v[4:5], off
	global_load_u16 v6, v[6:7], off
	s_clause 0x1
	scratch_load_b64 v[4:5], off, off offset:96
	scratch_load_b64 v[20:21], off, off offset:40
	s_wait_loadcnt 0x3
	v_lshlrev_b32_e32 v11, 16, v11
	s_wait_loadcnt 0x1
	v_add_nc_u64_e32 v[4:5], v[4:5], v[98:99]
	s_wait_loadcnt 0x0
	v_add_nc_u64_e32 v[20:21], v[20:21], v[98:99]
	global_load_u16 v34, v[4:5], off
	global_load_u16 v7, v[20:21], off
	s_clause 0x4
	scratch_load_b64 v[30:31], off, off offset:128
	scratch_load_b64 v[4:5], off, off offset:72
	scratch_load_b64 v[20:21], off, off offset:104
	scratch_load_b64 v[22:23], off, off offset:112
	scratch_load_b64 v[28:29], off, off offset:120
	s_wait_loadcnt 0x4
	v_add_nc_u64_e32 v[70:71], v[30:31], v[98:99]
	scratch_load_b64 v[30:31], off, off offset:136 ; 8-byte Folded Reload
	s_wait_loadcnt 0x3
	v_add_nc_u64_e32 v[20:21], v[20:21], v[98:99]
	v_add_nc_u64_e32 v[4:5], v[4:5], v[98:99]
	s_wait_loadcnt 0x1
	v_add_nc_u64_e32 v[28:29], v[28:29], v[98:99]
	v_add_nc_u64_e32 v[22:23], v[22:23], v[98:99]
	global_load_u16 v19, v[70:71], off
	scratch_load_b64 v[70:71], off, off offset:168 ; 8-byte Folded Reload
	global_load_u16 v33, v[20:21], off
	global_load_u16 v26, v[4:5], off
	s_wait_xcnt 0x0
	ds_bpermute_b32 v4, v2, v18
	ds_bpermute_b32 v5, v2, v3 offset:4
	global_load_u16 v25, v[22:23], off
	s_wait_xcnt 0x0
	ds_bpermute_b32 v23, v2, v3 offset:8
	v_dual_lshlrev_b32 v20, 16, v8 :: v_dual_lshlrev_b32 v8, 16, v17
	s_wait_dscnt 0x4
	s_delay_alu instid0(VALU_DEP_1) | instskip(SKIP_3) | instid1(VALU_DEP_1)
	v_dual_sub_f32 v17, v20, v27 :: v_dual_lshlrev_b32 v12, 16, v12
	ds_bpermute_b32 v27, v2, v18 offset:8
	v_mul_f32_e32 v17, v17, v8
	s_wait_dscnt 0x2
	v_dual_mul_f32 v9, v17, v4 :: v_dual_sub_f32 v5, v24, v5
	s_wait_dscnt 0x1
	v_dual_sub_f32 v17, v35, v23 :: v_dual_lshlrev_b32 v4, 16, v16
	ds_bpermute_b32 v35, v2, v3 offset:16
	v_pk_add_f32 v[8:9], v[80:81], v[8:9]
	v_mul_f32_e32 v5, v5, v12
	s_wait_loadcnt 0x5
	v_add_nc_u64_e32 v[104:105], v[30:31], v[98:99]
	scratch_load_b64 v[30:31], off, off offset:144 ; 8-byte Folded Reload
	s_wait_loadcnt 0x4
	v_add_nc_u64_e32 v[70:71], v[70:71], v[98:99]
	global_load_u16 v22, v[104:105], off
	global_load_u16 v24, v[70:71], off
	s_wait_xcnt 0x0
	v_add_nc_u64_e32 v[70:71], v[82:83], v[98:99]
	s_wait_loadcnt 0x2
	v_add_nc_u64_e32 v[72:73], v[30:31], v[98:99]
	scratch_load_b64 v[30:31], off, off offset:152 ; 8-byte Folded Reload
	global_load_u16 v20, v[72:73], off
	s_wait_xcnt 0x0
	v_lshlrev_b32_e32 v72, 16, v13
	s_wait_loadcnt 0x1
	v_add_nc_u64_e32 v[74:75], v[30:31], v[98:99]
	global_load_u16 v30, v[28:29], off
	scratch_load_b64 v[28:29], off, off offset:160 ; 8-byte Folded Reload
	ds_bpermute_b32 v31, v2, v18 offset:4
	global_load_u16 v21, v[74:75], off
	s_wait_xcnt 0x0
	ds_bpermute_b32 v74, v2, v18 offset:36
	s_wait_dscnt 0x1
	v_mul_f32_e32 v13, v5, v31
	ds_bpermute_b32 v31, v2, v3 offset:20
	s_wait_dscnt 0x0
	v_sub_f32_e32 v11, v11, v31
	s_wait_loadcnt 0x1
	v_add_nc_u64_e32 v[28:29], v[28:29], v[98:99]
	global_load_u16 v23, v[28:29], off
	s_wait_xcnt 0x0
	ds_bpermute_b32 v29, v2, v18 offset:12
	v_mul_f32_e32 v28, v17, v4
	v_add_nc_u64_e32 v[16:17], v[78:79], v[98:99]
	s_delay_alu instid0(VALU_DEP_2)
	v_mul_f32_e32 v5, v28, v27
	v_sub_f32_e32 v27, v72, v32
	ds_bpermute_b32 v72, v2, v3 offset:24
	global_load_u16 v28, v[16:17], off
	s_wait_xcnt 0x0
	ds_bpermute_b32 v17, v2, v18 offset:16
	v_pk_add_f32 v[8:9], v[8:9], v[12:13]
	v_dual_mul_f32 v16, v27, v14 :: v_dual_lshlrev_b32 v32, 16, v15
	global_load_u16 v27, v[70:71], off
	s_wait_xcnt 0x0
	v_add_nc_u64_e32 v[70:71], v[84:85], v[98:99]
	v_lshlrev_b32_e32 v12, 16, v33
	ds_bpermute_b32 v33, v2, v18 offset:32
	s_wait_dscnt 0x3
	v_mul_f32_e32 v15, v16, v29
	v_dual_sub_f32 v32, v32, v35 :: v_dual_lshlrev_b32 v16, 16, v10
	ds_bpermute_b32 v35, v2, v18 offset:20
	global_load_u16 v29, v[70:71], off
	s_wait_xcnt 0x0
	v_add_nc_u64_e32 v[70:71], v[86:87], v[98:99]
	v_pk_add_f32 v[8:9], v[8:9], v[4:5]
	v_dual_mul_f32 v10, v32, v16 :: v_dual_lshlrev_b32 v5, 16, v30
	v_lshlrev_b32_e32 v4, 16, v26
	ds_bpermute_b32 v26, v2, v18 offset:48
	s_wait_dscnt 0x3
	v_dual_mul_f32 v17, v10, v17 :: v_dual_lshlrev_b32 v10, 16, v6
	global_load_u16 v32, v[70:71], off
	s_wait_xcnt 0x0
	v_add_nc_u64_e32 v[70:71], v[90:91], v[98:99]
	v_mul_f32_e32 v6, v11, v10
	global_load_u16 v31, v[70:71], off
	s_wait_dscnt 0x1
	v_dual_mul_f32 v11, v6, v35 :: v_dual_lshlrev_b32 v6, 16, v34
	ds_bpermute_b32 v35, v2, v18 offset:24
	s_wait_xcnt 0x0
	ds_bpermute_b32 v71, v2, v3 offset:28
	v_dual_sub_f32 v34, v6, v72 :: v_dual_lshlrev_b32 v6, 16, v7
	v_add_nc_u64_e32 v[72:73], v[94:95], v[98:99]
	s_wait_dscnt 0x0
	s_delay_alu instid0(VALU_DEP_2) | instskip(NEXT) | instid1(VALU_DEP_1)
	v_dual_mul_f32 v7, v34, v6 :: v_dual_sub_f32 v30, v12, v71
	v_mul_f32_e32 v7, v7, v35
	v_add_nc_u64_e32 v[34:35], v[92:93], v[98:99]
	v_pk_add_f32 v[12:13], v[8:9], v[14:15]
	ds_bpermute_b32 v14, v2, v3 offset:36
	v_lshlrev_b32_e32 v8, 16, v25
	ds_bpermute_b32 v25, v2, v3 offset:44
	ds_bpermute_b32 v15, v2, v18 offset:40
	v_pk_add_f32 v[12:13], v[12:13], v[16:17]
	global_load_u16 v70, v[34:35], off
	s_wait_xcnt 0x0
	v_add_nc_u64_e32 v[34:35], v[96:97], v[98:99]
	ds_bpermute_b32 v16, v2, v3 offset:40
	ds_bpermute_b32 v17, v2, v18 offset:44
	v_pk_add_f32 v[10:11], v[12:13], v[10:11]
	ds_bpermute_b32 v13, v2, v3 offset:48
	ds_bpermute_b32 v71, v2, v18 offset:56
	v_lshlrev_b32_e32 v12, 16, v22
	global_load_u16 v34, v[34:35], off
	global_load_u16 v35, v[72:73], off
	s_wait_xcnt 0x0
	ds_bpermute_b32 v72, v2, v3 offset:32
	ds_bpermute_b32 v73, v2, v18 offset:28
	v_pk_add_f32 v[6:7], v[10:11], v[6:7]
	v_lshlrev_b32_e32 v10, 16, v19
	ds_bpermute_b32 v22, v2, v3 offset:56
	s_wait_dscnt 0x9
	v_dual_sub_f32 v11, v12, v14 :: v_dual_lshlrev_b32 v12, 16, v20
	s_wait_loadcnt 0x9
	s_delay_alu instid0(VALU_DEP_1) | instskip(SKIP_1) | instid1(VALU_DEP_1)
	v_dual_lshlrev_b32 v19, 16, v21 :: v_dual_mul_f32 v11, v11, v10
	s_wait_dscnt 0x6
	v_sub_f32_e32 v19, v19, v16
	s_wait_dscnt 0x2
	v_sub_f32_e32 v9, v5, v72
	v_mul_f32_e32 v5, v30, v4
	ds_bpermute_b32 v30, v2, v18 offset:52
	ds_bpermute_b32 v18, v2, v18 offset:60
	s_wait_dscnt 0x3
	v_mul_f32_e32 v5, v5, v73
	v_mul_f32_e32 v9, v9, v8
	s_delay_alu instid0(VALU_DEP_2) | instskip(NEXT) | instid1(VALU_DEP_2)
	v_pk_add_f32 v[4:5], v[6:7], v[4:5]
	v_mul_f32_e32 v9, v9, v33
	ds_bpermute_b32 v33, v2, v3 offset:52
	v_lshlrev_b32_e32 v7, 16, v24
	ds_bpermute_b32 v3, v2, v3 offset:60
	v_pk_add_f32 v[4:5], v[4:5], v[8:9]
	s_wait_loadcnt 0x8
	v_dual_sub_f32 v7, v7, v25 :: v_dual_lshlrev_b32 v6, 16, v23
	s_wait_loadcnt 0x6
	v_dual_lshlrev_b32 v14, 16, v28 :: v_dual_lshlrev_b32 v20, 16, v27
	v_mul_f32_e32 v19, v19, v12
	s_delay_alu instid0(VALU_DEP_2) | instskip(NEXT) | instid1(VALU_DEP_2)
	v_dual_mul_f32 v11, v11, v74 :: v_dual_sub_f32 v9, v20, v13
	v_mul_f32_e32 v13, v19, v15
	s_delay_alu instid0(VALU_DEP_2) | instskip(SKIP_3) | instid1(VALU_DEP_1)
	v_pk_add_f32 v[4:5], v[4:5], v[10:11]
	s_wait_loadcnt 0x4
	v_dual_lshlrev_b32 v16, 16, v29 :: v_dual_lshlrev_b32 v8, 16, v32
	s_wait_dscnt 0x1
	v_dual_mul_f32 v7, v7, v6 :: v_dual_sub_f32 v11, v8, v33
	s_delay_alu instid0(VALU_DEP_1) | instskip(NEXT) | instid1(VALU_DEP_1)
	v_dual_mul_f32 v9, v9, v14 :: v_dual_mul_f32 v7, v7, v17
	v_dual_mul_f32 v11, v11, v16 :: v_dual_mul_f32 v15, v9, v26
	s_delay_alu instid0(VALU_DEP_1) | instskip(SKIP_3) | instid1(VALU_DEP_2)
	v_mul_f32_e32 v17, v11, v30
	s_wait_loadcnt 0x2
	v_lshlrev_b32_e32 v10, 16, v70
	v_pk_add_f32 v[4:5], v[4:5], v[12:13]
	v_dual_lshlrev_b32 v8, 16, v31 :: v_dual_sub_f32 v10, v10, v22
	s_delay_alu instid0(VALU_DEP_2) | instskip(SKIP_2) | instid1(VALU_DEP_3)
	v_pk_add_f32 v[4:5], v[4:5], v[6:7]
	s_wait_loadcnt 0x0
	v_dual_lshlrev_b32 v7, 16, v34 :: v_dual_lshlrev_b32 v6, 16, v35
	v_mul_f32_e32 v9, v10, v8
	s_delay_alu instid0(VALU_DEP_3) | instskip(SKIP_1) | instid1(VALU_DEP_3)
	v_pk_add_f32 v[4:5], v[4:5], v[14:15]
	s_wait_dscnt 0x0
	v_sub_f32_e32 v3, v7, v3
	s_delay_alu instid0(VALU_DEP_3) | instskip(NEXT) | instid1(VALU_DEP_3)
	v_mul_f32_e32 v9, v9, v71
	v_pk_add_f32 v[4:5], v[4:5], v[16:17]
	s_delay_alu instid0(VALU_DEP_3) | instskip(NEXT) | instid1(VALU_DEP_2)
	v_mul_f32_e32 v3, v3, v6
	v_pk_add_f32 v[4:5], v[4:5], v[8:9]
	s_delay_alu instid0(VALU_DEP_2) | instskip(NEXT) | instid1(VALU_DEP_1)
	v_mul_f32_e32 v7, v3, v18
	v_pk_add_f32 v[104:105], v[4:5], v[6:7]
.LBB105_86:                             ;   in Loop: Header=BB105_87 Depth=1
	scratch_load_b64 v[4:5], off, off       ; 8-byte Folded Reload
	s_add_nc_u64 s[18:19], s[18:19], s[20:21]
	v_add_nc_u64_e32 v[100:101], s[54:55], v[100:101]
	v_cmp_ge_i64_e64 s2, s[18:19], s[4:5]
	v_add_nc_u64_e32 v[102:103], s[54:55], v[102:103]
	v_add_nc_u64_e32 v[78:79], s[54:55], v[78:79]
	;; [unrolled: 1-line block ×39, first 2 shown]
	s_and_b32 vcc_lo, exec_lo, s2
	s_add_nc_u64 s[56:57], s[56:57], s[20:21]
	s_wait_loadcnt 0x0
	v_add_nc_u64_e32 v[4:5], s[54:55], v[4:5]
	s_clause 0x1
	scratch_store_b64 off, v[4:5], off
	scratch_load_b64 v[4:5], off, off offset:8
	s_wait_loadcnt 0x0
	v_add_nc_u64_e32 v[4:5], s[54:55], v[4:5]
	s_clause 0x1
	scratch_store_b64 off, v[4:5], off offset:8
	scratch_load_b64 v[4:5], off, off offset:16
	s_wait_loadcnt 0x0
	v_add_nc_u64_e32 v[4:5], s[54:55], v[4:5]
	s_clause 0x1
	scratch_store_b64 off, v[4:5], off offset:16
	;; [unrolled: 5-line block ×20, first 2 shown]
	scratch_load_b64 v[4:5], off, off offset:168
	s_wait_loadcnt 0x0
	v_add_nc_u64_e32 v[4:5], s[54:55], v[4:5]
	scratch_store_b64 off, v[4:5], off offset:168 ; 8-byte Folded Spill
	s_cbranch_vccnz .LBB105_129
.LBB105_87:                             ; =>This Inner Loop Header: Depth=1
	scratch_load_b64 v[4:5], off, off offset:180 ; 8-byte Folded Reload
	v_cmp_ge_i64_e64 s17, s[56:57], s[4:5]
	v_dual_mov_b32 v80, v104 :: v_dual_mov_b32 v81, v105
	s_mov_b32 s2, -1
                                        ; implicit-def: $vgpr105
	s_and_b32 vcc_lo, exec_lo, s17
	s_wait_loadcnt 0x0
	v_add_nc_u64_e32 v[70:71], s[56:57], v[4:5]
	s_cbranch_vccz .LBB105_125
; %bb.88:                               ;   in Loop: Header=BB105_87 Depth=1
	s_load_b32 s2, s[52:53], 0xc
	s_clause 0x1
	scratch_load_b32 v3, off, off offset:176
	scratch_load_b32 v4, off, off offset:188
	v_dual_mov_b32 v104, 0 :: v_dual_mov_b32 v105, 0
	s_wait_kmcnt 0x0
	s_and_b32 s2, s2, 0xffff
	s_wait_loadcnt 0x0
	v_mad_u32_u24 v3, v3, s2, v4
	s_mov_b32 s2, exec_lo
	s_delay_alu instid0(VALU_DEP_1) | instskip(SKIP_1) | instid1(VALU_DEP_1)
	v_and_b32_e32 v4, 31, v3
	s_wait_xcnt 0x0
	v_cmpx_gt_u32_e32 16, v4
	s_cbranch_execz .LBB105_92
; %bb.89:                               ;   in Loop: Header=BB105_87 Depth=1
	v_dual_mov_b32 v5, v2 :: v_dual_mov_b32 v104, 0
	v_mov_b32_e32 v105, 0
	s_mov_b32 s17, exec_lo
	s_delay_alu instid0(VALU_DEP_2) | instskip(NEXT) | instid1(VALU_DEP_1)
	v_add_nc_u64_e32 v[4:5], v[70:71], v[4:5]
	v_add_nc_u64_e32 v[4:5], s[8:9], v[4:5]
	s_delay_alu instid0(VALU_DEP_1)
	v_cmpx_gt_i64_e64 s[4:5], v[4:5]
	s_cbranch_execz .LBB105_91
; %bb.90:                               ;   in Loop: Header=BB105_87 Depth=1
	v_lshlrev_b64_e32 v[4:5], 2, v[4:5]
	s_delay_alu instid0(VALU_DEP_1)
	v_add_nc_u64_e32 v[6:7], s[12:13], v[4:5]
	v_add_nc_u64_e32 v[4:5], s[14:15], v[4:5]
	global_load_b32 v104, v[6:7], off
	global_load_b32 v105, v[4:5], off
.LBB105_91:                             ;   in Loop: Header=BB105_87 Depth=1
	s_wait_xcnt 0x0
	s_or_b32 exec_lo, exec_lo, s17
.LBB105_92:                             ;   in Loop: Header=BB105_87 Depth=1
	s_delay_alu instid0(SALU_CYCLE_1)
	s_or_b32 exec_lo, exec_lo, s2
	v_add_nc_u64_e32 v[18:19], s[8:9], v[70:71]
	v_dual_mov_b32 v15, v2 :: v_dual_mov_b32 v16, v2
	v_dual_mov_b32 v17, v2 :: v_dual_mov_b32 v3, v2
	;; [unrolled: 1-line block ×7, first 2 shown]
	v_mov_b32_e32 v14, v2
	v_mov_b64_e32 v[34:35], v[16:17]
	v_cmp_gt_i64_e32 vcc_lo, s[4:5], v[18:19]
	v_mov_b64_e32 v[28:29], v[10:11]
	v_mov_b64_e32 v[30:31], v[12:13]
	;; [unrolled: 1-line block ×15, first 2 shown]
	s_and_saveexec_b32 s2, vcc_lo
	s_cbranch_execz .LBB105_94
; %bb.93:                               ;   in Loop: Header=BB105_87 Depth=1
	v_add_nc_u64_e32 v[4:5], v[100:101], v[98:99]
	v_add_nc_u64_e32 v[6:7], v[102:103], v[98:99]
	v_dual_mov_b32 v9, v2 :: v_dual_mov_b32 v10, v2
	v_dual_mov_b32 v11, v2 :: v_dual_mov_b32 v12, v2
	;; [unrolled: 1-line block ×3, first 2 shown]
	global_load_u16 v3, v[4:5], off
	global_load_u16 v20, v[6:7], off
	s_wait_xcnt 0x0
	v_dual_mov_b32 v5, v2 :: v_dual_mov_b32 v6, v2
	v_dual_mov_b32 v7, v2 :: v_dual_mov_b32 v8, v2
	;; [unrolled: 1-line block ×12, first 2 shown]
	s_wait_loadcnt 0x0
	v_dual_lshlrev_b32 v4, 16, v3 :: v_dual_lshlrev_b32 v20, 16, v20
.LBB105_94:                             ;   in Loop: Header=BB105_87 Depth=1
	s_or_b32 exec_lo, exec_lo, s2
	v_add_nc_u64_e32 v[72:73], s[10:11], v[70:71]
	s_mov_b32 s2, exec_lo
	s_delay_alu instid0(VALU_DEP_1)
	v_cmpx_gt_i64_e64 s[4:5], v[72:73]
	s_cbranch_execz .LBB105_96
; %bb.95:                               ;   in Loop: Header=BB105_87 Depth=1
	v_add_nc_u64_e32 v[72:73], v[64:65], v[98:99]
	global_load_u16 v3, v[72:73], off
	s_wait_xcnt 0x0
	v_add_nc_u64_e32 v[72:73], v[66:67], v[98:99]
	s_wait_loadcnt 0x0
	v_lshlrev_b32_e32 v5, 16, v3
	global_load_u16 v3, v[72:73], off
	s_wait_loadcnt 0x0
	v_lshlrev_b32_e32 v21, 16, v3
.LBB105_96:                             ;   in Loop: Header=BB105_87 Depth=1
	s_wait_xcnt 0x0
	s_or_b32 exec_lo, exec_lo, s2
	v_add_nc_u64_e32 v[72:73], s[22:23], v[70:71]
	s_mov_b32 s2, exec_lo
	s_delay_alu instid0(VALU_DEP_1)
	v_cmpx_gt_i64_e64 s[4:5], v[72:73]
	s_cbranch_execz .LBB105_98
; %bb.97:                               ;   in Loop: Header=BB105_87 Depth=1
	v_add_nc_u64_e32 v[72:73], v[60:61], v[98:99]
	global_load_u16 v3, v[72:73], off
	s_wait_xcnt 0x0
	v_add_nc_u64_e32 v[72:73], v[62:63], v[98:99]
	s_wait_loadcnt 0x0
	v_lshlrev_b32_e32 v6, 16, v3
	global_load_u16 v3, v[72:73], off
	s_wait_loadcnt 0x0
	v_lshlrev_b32_e32 v22, 16, v3
.LBB105_98:                             ;   in Loop: Header=BB105_87 Depth=1
	s_wait_xcnt 0x0
	s_or_b32 exec_lo, exec_lo, s2
	v_add_nc_u64_e32 v[72:73], s[24:25], v[70:71]
	s_mov_b32 s2, exec_lo
	s_delay_alu instid0(VALU_DEP_1)
	v_cmpx_gt_i64_e64 s[4:5], v[72:73]
	s_cbranch_execz .LBB105_100
; %bb.99:                               ;   in Loop: Header=BB105_87 Depth=1
	v_add_nc_u64_e32 v[72:73], v[56:57], v[98:99]
	global_load_u16 v3, v[72:73], off
	s_wait_xcnt 0x0
	v_add_nc_u64_e32 v[72:73], v[58:59], v[98:99]
	s_wait_loadcnt 0x0
	v_lshlrev_b32_e32 v7, 16, v3
	global_load_u16 v3, v[72:73], off
	s_wait_loadcnt 0x0
	v_lshlrev_b32_e32 v23, 16, v3
.LBB105_100:                            ;   in Loop: Header=BB105_87 Depth=1
	s_wait_xcnt 0x0
	s_or_b32 exec_lo, exec_lo, s2
	v_add_nc_u64_e32 v[72:73], s[26:27], v[70:71]
	s_mov_b32 s2, exec_lo
	s_delay_alu instid0(VALU_DEP_1)
	v_cmpx_gt_i64_e64 s[4:5], v[72:73]
	s_cbranch_execz .LBB105_102
; %bb.101:                              ;   in Loop: Header=BB105_87 Depth=1
	v_add_nc_u64_e32 v[72:73], v[52:53], v[98:99]
	global_load_u16 v3, v[72:73], off
	s_wait_xcnt 0x0
	v_add_nc_u64_e32 v[72:73], v[54:55], v[98:99]
	s_wait_loadcnt 0x0
	v_lshlrev_b32_e32 v8, 16, v3
	global_load_u16 v3, v[72:73], off
	s_wait_loadcnt 0x0
	v_lshlrev_b32_e32 v24, 16, v3
.LBB105_102:                            ;   in Loop: Header=BB105_87 Depth=1
	s_wait_xcnt 0x0
	s_or_b32 exec_lo, exec_lo, s2
	v_add_nc_u64_e32 v[72:73], s[28:29], v[70:71]
	s_mov_b32 s2, exec_lo
	s_delay_alu instid0(VALU_DEP_1)
	v_cmpx_gt_i64_e64 s[4:5], v[72:73]
	s_cbranch_execz .LBB105_104
; %bb.103:                              ;   in Loop: Header=BB105_87 Depth=1
	v_add_nc_u64_e32 v[72:73], v[48:49], v[98:99]
	global_load_u16 v3, v[72:73], off
	s_wait_xcnt 0x0
	v_add_nc_u64_e32 v[72:73], v[50:51], v[98:99]
	s_wait_loadcnt 0x0
	v_lshlrev_b32_e32 v9, 16, v3
	global_load_u16 v3, v[72:73], off
	s_wait_loadcnt 0x0
	v_lshlrev_b32_e32 v25, 16, v3
.LBB105_104:                            ;   in Loop: Header=BB105_87 Depth=1
	;; [unrolled: 18-line block ×12, first 2 shown]
	s_wait_xcnt 0x0
	s_or_b32 exec_lo, exec_lo, s2
	s_wait_loadcnt 0x1
	ds_bpermute_b32 v72, v2, v104
	s_wait_loadcnt 0x0
	ds_bpermute_b32 v3, v2, v105
	s_mov_b32 s2, 0
	v_dual_mov_b32 v74, v6 :: v_dual_mov_b32 v76, v8
	s_wait_dscnt 0x1
	v_sub_f32_e32 v20, v20, v72
	s_delay_alu instid0(VALU_DEP_1) | instskip(SKIP_1) | instid1(VALU_DEP_1)
	v_dual_mov_b32 v72, v4 :: v_dual_mul_f32 v20, v4, v20
	s_wait_dscnt 0x0
	v_mul_f32_e32 v73, v20, v3
	ds_bpermute_b32 v20, v2, v104 offset:4
	ds_bpermute_b32 v3, v2, v105 offset:4
	s_wait_dscnt 0x1
	v_sub_f32_e32 v20, v21, v20
	v_pk_add_f32 v[72:73], v[80:81], v[72:73]
	s_delay_alu instid0(VALU_DEP_2) | instskip(SKIP_1) | instid1(VALU_DEP_1)
	v_mul_f32_e32 v20, v5, v20
	s_wait_dscnt 0x0
	v_mul_f32_e32 v21, v20, v3
	ds_bpermute_b32 v20, v2, v104 offset:8
	ds_bpermute_b32 v3, v2, v105 offset:8
	s_wait_dscnt 0x1
	v_dual_sub_f32 v20, v22, v20 :: v_dual_mov_b32 v22, v7
	s_delay_alu instid0(VALU_DEP_1)
	v_mul_f32_e32 v20, v6, v20
	ds_bpermute_b32 v6, v2, v104 offset:24
	s_wait_dscnt 0x1
	v_mul_f32_e32 v75, v20, v3
	ds_bpermute_b32 v20, v2, v104 offset:12
	ds_bpermute_b32 v3, v2, v105 offset:12
	s_wait_dscnt 0x2
	v_dual_sub_f32 v6, v26, v6 :: v_dual_mov_b32 v26, v15
	s_wait_dscnt 0x1
	s_delay_alu instid0(VALU_DEP_1) | instskip(NEXT) | instid1(VALU_DEP_1)
	v_dual_sub_f32 v20, v23, v20 :: v_dual_mul_f32 v6, v10, v6
	v_mul_f32_e32 v20, v7, v20
	s_wait_dscnt 0x0
	s_delay_alu instid0(VALU_DEP_1) | instskip(SKIP_4) | instid1(VALU_DEP_1)
	v_mul_f32_e32 v23, v20, v3
	ds_bpermute_b32 v20, v2, v104 offset:16
	ds_bpermute_b32 v3, v2, v105 offset:16
	s_wait_dscnt 0x1
	v_dual_sub_f32 v20, v24, v20 :: v_dual_mov_b32 v24, v9
	v_dual_mul_f32 v20, v8, v20 :: v_dual_mov_b32 v8, v11
	s_wait_dscnt 0x0
	s_delay_alu instid0(VALU_DEP_1) | instskip(SKIP_4) | instid1(VALU_DEP_1)
	v_mul_f32_e32 v77, v20, v3
	ds_bpermute_b32 v20, v2, v104 offset:20
	ds_bpermute_b32 v3, v2, v105 offset:20
	s_wait_dscnt 0x1
	v_sub_f32_e32 v20, v25, v20
	v_mul_f32_e32 v20, v9, v20
	s_wait_dscnt 0x0
	s_delay_alu instid0(VALU_DEP_1) | instskip(SKIP_3) | instid1(VALU_DEP_2)
	v_dual_mul_f32 v25, v20, v3 :: v_dual_mov_b32 v20, v5
	ds_bpermute_b32 v3, v2, v105 offset:24
	v_pk_add_f32 v[4:5], v[20:21], v[72:73]
	v_mov_b32_e32 v20, v12
	v_pk_add_f32 v[4:5], v[74:75], v[4:5]
	s_delay_alu instid0(VALU_DEP_1) | instskip(SKIP_1) | instid1(VALU_DEP_2)
	v_pk_add_f32 v[4:5], v[22:23], v[4:5]
	v_mov_b32_e32 v22, v13
	v_pk_add_f32 v[4:5], v[76:77], v[4:5]
	s_wait_dscnt 0x0
	v_mul_f32_e32 v7, v6, v3
	ds_bpermute_b32 v6, v2, v104 offset:28
	ds_bpermute_b32 v3, v2, v105 offset:28
	v_pk_add_f32 v[4:5], v[24:25], v[4:5]
	s_wait_dscnt 0x1
	v_dual_mov_b32 v24, v14 :: v_dual_sub_f32 v6, v27, v6
	s_delay_alu instid0(VALU_DEP_1) | instskip(SKIP_1) | instid1(VALU_DEP_1)
	v_mul_f32_e32 v6, v11, v6
	s_wait_dscnt 0x0
	v_mul_f32_e32 v9, v6, v3
	ds_bpermute_b32 v6, v2, v104 offset:32
	ds_bpermute_b32 v3, v2, v105 offset:32
	s_wait_dscnt 0x1
	v_sub_f32_e32 v6, v28, v6
	v_mov_b32_e32 v28, v16
	s_delay_alu instid0(VALU_DEP_2) | instskip(SKIP_1) | instid1(VALU_DEP_1)
	v_mul_f32_e32 v6, v12, v6
	s_wait_dscnt 0x0
	v_mul_f32_e32 v21, v6, v3
	ds_bpermute_b32 v6, v2, v104 offset:36
	ds_bpermute_b32 v3, v2, v105 offset:36
	s_wait_dscnt 0x1
	v_sub_f32_e32 v6, v29, v6
	s_delay_alu instid0(VALU_DEP_1) | instskip(SKIP_1) | instid1(VALU_DEP_1)
	v_mul_f32_e32 v6, v13, v6
	s_wait_dscnt 0x0
	v_mul_f32_e32 v23, v6, v3
	ds_bpermute_b32 v6, v2, v104 offset:40
	ds_bpermute_b32 v3, v2, v105 offset:40
	s_wait_dscnt 0x1
	v_dual_sub_f32 v6, v30, v6 :: v_dual_mov_b32 v30, v17
	s_delay_alu instid0(VALU_DEP_1) | instskip(SKIP_1) | instid1(VALU_DEP_1)
	v_mul_f32_e32 v6, v14, v6
	s_wait_dscnt 0x0
	v_mul_f32_e32 v25, v6, v3
	ds_bpermute_b32 v6, v2, v104 offset:44
	ds_bpermute_b32 v3, v2, v105 offset:44
	s_wait_dscnt 0x1
	v_sub_f32_e32 v6, v31, v6
	s_delay_alu instid0(VALU_DEP_1) | instskip(SKIP_1) | instid1(VALU_DEP_1)
	v_mul_f32_e32 v6, v15, v6
	s_wait_dscnt 0x0
	v_mul_f32_e32 v27, v6, v3
	ds_bpermute_b32 v6, v2, v104 offset:48
	ds_bpermute_b32 v3, v2, v105 offset:48
	s_wait_dscnt 0x1
	v_dual_sub_f32 v6, v32, v6 :: v_dual_mov_b32 v32, v18
	s_delay_alu instid0(VALU_DEP_1) | instskip(SKIP_1) | instid1(VALU_DEP_1)
	v_mul_f32_e32 v6, v16, v6
	s_wait_dscnt 0x0
	v_mul_f32_e32 v29, v6, v3
	ds_bpermute_b32 v6, v2, v104 offset:52
	ds_bpermute_b32 v3, v2, v105 offset:52
	s_wait_dscnt 0x1
	v_sub_f32_e32 v6, v33, v6
	s_delay_alu instid0(VALU_DEP_1) | instskip(SKIP_1) | instid1(VALU_DEP_1)
	v_mul_f32_e32 v6, v17, v6
	s_wait_dscnt 0x0
	v_mul_f32_e32 v31, v6, v3
	ds_bpermute_b32 v6, v2, v104 offset:56
	ds_bpermute_b32 v3, v2, v105 offset:56
	s_wait_dscnt 0x1
	v_sub_f32_e32 v6, v34, v6
	s_delay_alu instid0(VALU_DEP_1) | instskip(SKIP_1) | instid1(VALU_DEP_1)
	v_mul_f32_e32 v6, v18, v6
	s_wait_dscnt 0x0
	v_mul_f32_e32 v33, v6, v3
	v_mov_b32_e32 v6, v10
	ds_bpermute_b32 v3, v2, v105 offset:60
	v_pk_add_f32 v[4:5], v[6:7], v[4:5]
	ds_bpermute_b32 v6, v2, v104 offset:60
	v_pk_add_f32 v[4:5], v[8:9], v[4:5]
	s_delay_alu instid0(VALU_DEP_1) | instskip(NEXT) | instid1(VALU_DEP_1)
	v_pk_add_f32 v[4:5], v[20:21], v[4:5]
	v_pk_add_f32 v[4:5], v[22:23], v[4:5]
	s_delay_alu instid0(VALU_DEP_1) | instskip(SKIP_2) | instid1(VALU_DEP_2)
	v_pk_add_f32 v[4:5], v[24:25], v[4:5]
	s_wait_dscnt 0x0
	v_sub_f32_e32 v6, v35, v6
	v_pk_add_f32 v[4:5], v[26:27], v[4:5]
	s_delay_alu instid0(VALU_DEP_2) | instskip(NEXT) | instid1(VALU_DEP_2)
	v_mul_f32_e32 v6, v19, v6
	v_pk_add_f32 v[4:5], v[28:29], v[4:5]
	s_delay_alu instid0(VALU_DEP_2) | instskip(NEXT) | instid1(VALU_DEP_2)
	v_dual_mul_f32 v7, v6, v3 :: v_dual_mov_b32 v6, v19
	v_pk_add_f32 v[4:5], v[30:31], v[4:5]
	s_delay_alu instid0(VALU_DEP_1) | instskip(NEXT) | instid1(VALU_DEP_1)
	v_pk_add_f32 v[4:5], v[32:33], v[4:5]
	v_pk_add_f32 v[104:105], v[6:7], v[4:5]
.LBB105_125:                            ;   in Loop: Header=BB105_87 Depth=1
	s_and_b32 vcc_lo, exec_lo, s2
	s_cbranch_vccz .LBB105_86
; %bb.126:                              ;   in Loop: Header=BB105_87 Depth=1
	s_load_b32 s2, s[52:53], 0x0
	v_mov_b32_e32 v18, 0
	s_wait_kmcnt 0x0
	s_cmp_lt_u32 s16, s2
	s_cselect_b32 s2, 12, 18
	s_delay_alu instid0(SALU_CYCLE_1)
	s_add_nc_u64 s[58:59], s[52:53], s[2:3]
	s_load_u16 s2, s[58:59], 0x0
	s_clause 0x1
	scratch_load_b32 v3, off, off offset:176
	scratch_load_b32 v4, off, off offset:188
	s_wait_loadcnt 0x0
	s_wait_kmcnt 0x0
	v_mad_u32_u24 v3, v3, s2, v4
	s_mov_b32 s2, exec_lo
	s_delay_alu instid0(VALU_DEP_1) | instskip(SKIP_1) | instid1(VALU_DEP_1)
	v_dual_mov_b32 v3, 0 :: v_dual_bitop2_b32 v4, 31, v3 bitop3:0x40
	s_wait_xcnt 0x0
	v_cmpx_gt_u32_e32 16, v4
	s_cbranch_execz .LBB105_85
; %bb.127:                              ;   in Loop: Header=BB105_87 Depth=1
	v_dual_mov_b32 v5, v2 :: v_dual_mov_b32 v3, 0
	v_mov_b32_e32 v18, 0
	s_mov_b32 s17, exec_lo
	s_delay_alu instid0(VALU_DEP_2) | instskip(NEXT) | instid1(VALU_DEP_1)
	v_add_nc_u64_e32 v[4:5], v[70:71], v[4:5]
	v_add_nc_u64_e32 v[4:5], s[8:9], v[4:5]
	s_delay_alu instid0(VALU_DEP_1)
	v_cmpx_gt_i64_e64 s[4:5], v[4:5]
	s_cbranch_execz .LBB105_84
; %bb.128:                              ;   in Loop: Header=BB105_87 Depth=1
	v_lshlrev_b64_e32 v[4:5], 2, v[4:5]
	s_delay_alu instid0(VALU_DEP_1)
	v_add_nc_u64_e32 v[6:7], s[12:13], v[4:5]
	v_add_nc_u64_e32 v[4:5], s[14:15], v[4:5]
	global_load_b32 v3, v[6:7], off
	global_load_b32 v18, v[4:5], off
	s_branch .LBB105_84
.LBB105_129:
	scratch_load_b32 v0, off, off offset:192 ; 4-byte Folded Reload
.LBB105_130:
	s_wait_loadcnt 0x0
	v_and_b32_e32 v1, 0x3ff, v0
	v_bfe_u32 v0, v0, 10, 10
	s_mov_b32 s2, exec_lo
	s_delay_alu instid0(VALU_DEP_1) | instskip(NEXT) | instid1(VALU_DEP_1)
	v_mad_u32_u24 v2, 0x41, v0, v1
	v_lshl_add_u32 v3, v2, 2, 0
	v_sub_nc_u32_e32 v6, v2, v0
	ds_store_b32 v3, v105
	ds_store_b32 v3, v104 offset:4160
	s_wait_storecnt_dscnt 0x0
	s_barrier_signal -1
	s_barrier_wait -1
	s_wait_xcnt 0x0
	v_cmpx_gt_u32_e32 0x800, v6
	s_cbranch_execz .LBB105_146
; %bb.131:
	s_load_b128 s[8:11], s[0:1], 0x30
	v_dual_lshrrev_b32 v0, 5, v6 :: v_dual_bitop2_b32 v2, 31, v1 bitop3:0x40
	s_wait_xcnt 0x0
	s_delay_alu instid0(VALU_DEP_1)
	v_cmp_gt_u32_e64 s0, 16, v2
	v_mul_u32_u24_e32 v7, 0x41, v2
                                        ; implicit-def: $vgpr2
	s_and_saveexec_b32 s1, s0
	s_cbranch_execz .LBB105_133
; %bb.132:
	s_delay_alu instid0(VALU_DEP_1) | instskip(NEXT) | instid1(VALU_DEP_1)
	v_add_nc_u32_e32 v2, v0, v7
	v_lshl_add_u32 v2, v2, 2, 0
	ds_load_b32 v3, v2
	ds_load_b32 v2, v2 offset:4160
.LBB105_133:
	s_or_b32 exec_lo, exec_lo, s1
	v_mbcnt_lo_u32_b32 v11, -1, 0
	s_mov_b32 s17, 0
	v_cmp_eq_u32_e64 s1, 0, v1
	s_lshl_b64 s[2:3], s[16:17], 6
	s_wait_kmcnt 0x0
	s_cmp_lg_u64 s[8:9], 0
	v_xor_b32_e32 v9, 4, v11
	v_dual_mov_b32 v1, 0 :: v_dual_bitop2_b32 v4, 8, v11 bitop3:0x14
	s_cselect_b32 s5, -1, 0
	s_cmp_lg_u64 s[10:11], 0
	v_xor_b32_e32 v10, 2, v11
	s_delay_alu instid0(VALU_DEP_2)
	v_cmp_gt_i32_e32 vcc_lo, 32, v4
	s_cselect_b32 s4, -1, 0
	v_dual_cndmask_b32 v4, v11, v4, vcc_lo :: v_dual_bitop2_b32 v12, 1, v11 bitop3:0x14
	v_cmp_gt_i32_e32 vcc_lo, 32, v9
	v_cndmask_b32_e32 v9, v11, v9, vcc_lo
	v_cmp_gt_i32_e32 vcc_lo, 32, v10
	s_delay_alu instid0(VALU_DEP_2)
	v_dual_lshlrev_b32 v9, 2, v9 :: v_dual_lshlrev_b32 v8, 2, v4
	v_cndmask_b32_e32 v10, v11, v10, vcc_lo
	v_cmp_gt_i32_e32 vcc_lo, 32, v12
	s_wait_dscnt 0x1
	ds_bpermute_b32 v5, v8, v3
	s_wait_dscnt 0x1
	ds_bpermute_b32 v4, v8, v2
	v_dual_cndmask_b32 v11, v11, v12 :: v_dual_lshlrev_b32 v10, 2, v10
	s_wait_dscnt 0x0
	v_pk_add_f32 v[2:3], v[2:3], v[4:5]
	ds_bpermute_b32 v5, v9, v3
	ds_bpermute_b32 v4, v9, v2
	s_wait_dscnt 0x0
	v_pk_add_f32 v[2:3], v[2:3], v[4:5]
	ds_bpermute_b32 v5, v10, v3
	ds_bpermute_b32 v4, v10, v2
	s_wait_dscnt 0x0
	v_pk_add_f32 v[2:3], v[2:3], v[4:5]
	v_dual_mov_b32 v5, s3 :: v_dual_lshlrev_b32 v11, 2, v11
	v_or_b32_e32 v4, s2, v0
	ds_bpermute_b32 v13, v11, v3
	ds_bpermute_b32 v12, v11, v2
	v_cmp_gt_i64_e32 vcc_lo, s[6:7], v[4:5]
	s_and_b32 s13, s1, vcc_lo
	s_wait_dscnt 0x0
	v_pk_add_f32 v[2:3], v[2:3], v[12:13]
	s_and_saveexec_b32 s12, s13
	s_cbranch_execz .LBB105_138
; %bb.134:
	s_and_not1_b32 vcc_lo, exec_lo, s5
	s_cbranch_vccnz .LBB105_136
; %bb.135:
	v_bfe_u32 v12, v3, 16, 1
	v_cmp_o_f32_e32 vcc_lo, v3, v3
	s_delay_alu instid0(VALU_DEP_2) | instskip(NEXT) | instid1(VALU_DEP_1)
	v_add3_u32 v12, v3, v12, 0x7fff
	v_lshrrev_b32_e32 v12, 16, v12
	s_delay_alu instid0(VALU_DEP_1)
	v_cndmask_b32_e32 v14, 0x7fc0, v12, vcc_lo
	v_lshl_add_u64 v[12:13], v[4:5], 1, s[8:9]
	global_store_b16 v[12:13], v14, off
.LBB105_136:
	s_and_not1_b32 vcc_lo, exec_lo, s4
	s_cbranch_vccnz .LBB105_138
; %bb.137:
	s_wait_xcnt 0x0
	v_bfe_u32 v12, v2, 16, 1
	v_cmp_o_f32_e32 vcc_lo, v2, v2
	v_lshl_add_u64 v[4:5], v[4:5], 1, s[10:11]
	s_delay_alu instid0(VALU_DEP_3) | instskip(NEXT) | instid1(VALU_DEP_1)
	v_add3_u32 v12, v2, v12, 0x7fff
	v_lshrrev_b32_e32 v12, 16, v12
	s_delay_alu instid0(VALU_DEP_1)
	v_cndmask_b32_e32 v12, 0x7fc0, v12, vcc_lo
	global_store_b16 v[4:5], v12, off
.LBB105_138:
	s_wait_xcnt 0x0
	s_or_b32 exec_lo, exec_lo, s12
	v_cmp_gt_u32_e32 vcc_lo, 0x400, v6
	s_and_b32 exec_lo, exec_lo, vcc_lo
	s_cbranch_execz .LBB105_146
; %bb.139:
	s_and_saveexec_b32 s12, s0
	s_cbranch_execz .LBB105_141
; %bb.140:
	v_add_nc_u32_e32 v2, v0, v7
	s_delay_alu instid0(VALU_DEP_1)
	v_lshl_add_u32 v2, v2, 2, 0
	ds_load_b32 v3, v2 offset:128
	ds_load_b32 v2, v2 offset:4288
.LBB105_141:
	s_or_b32 exec_lo, exec_lo, s12
	s_wait_dscnt 0x1
	ds_bpermute_b32 v4, v8, v3
	s_wait_dscnt 0x1
	ds_bpermute_b32 v5, v8, v2
	v_dual_mov_b32 v7, s3 :: v_dual_add_nc_u32 v6, 32, v0
	s_delay_alu instid0(VALU_DEP_1) | instskip(NEXT) | instid1(VALU_DEP_1)
	v_or_b32_e32 v6, s2, v6
	v_cmp_gt_i64_e32 vcc_lo, s[6:7], v[6:7]
	s_and_b32 s0, s1, vcc_lo
	s_wait_dscnt 0x0
	v_dual_add_f32 v3, v3, v4 :: v_dual_add_f32 v2, v2, v5
	ds_bpermute_b32 v4, v9, v3
	ds_bpermute_b32 v5, v9, v2
	s_wait_dscnt 0x0
	v_dual_add_f32 v3, v3, v4 :: v_dual_add_f32 v2, v2, v5
	ds_bpermute_b32 v4, v10, v3
	ds_bpermute_b32 v5, v10, v2
	s_wait_dscnt 0x0
	v_dual_add_f32 v4, v3, v4 :: v_dual_add_f32 v2, v2, v5
	ds_bpermute_b32 v5, v11, v4
	ds_bpermute_b32 v3, v11, v2
	s_and_b32 exec_lo, exec_lo, s0
	s_cbranch_execz .LBB105_146
; %bb.142:
	v_add_nc_u64_e32 v[0:1], s[2:3], v[0:1]
	s_and_not1_b32 vcc_lo, exec_lo, s5
	s_cbranch_vccnz .LBB105_144
; %bb.143:
	s_wait_dscnt 0x1
	v_add_f32_e32 v4, v4, v5
	s_delay_alu instid0(VALU_DEP_1) | instskip(NEXT) | instid1(VALU_DEP_1)
	v_bfe_u32 v5, v4, 16, 1
	v_add3_u32 v5, v4, v5, 0x7fff
	s_delay_alu instid0(VALU_DEP_1) | instskip(SKIP_1) | instid1(VALU_DEP_2)
	v_lshrrev_b32_e32 v5, 16, v5
	v_cmp_o_f32_e32 vcc_lo, v4, v4
	v_cndmask_b32_e32 v6, 0x7fc0, v5, vcc_lo
	v_lshl_add_u64 v[4:5], v[0:1], 1, s[8:9]
	global_store_b16 v[4:5], v6, off offset:64
.LBB105_144:
	s_and_not1_b32 vcc_lo, exec_lo, s4
	s_cbranch_vccnz .LBB105_146
; %bb.145:
	s_wait_dscnt 0x0
	v_add_f32_e32 v2, v2, v3
	v_lshl_add_u64 v[0:1], v[0:1], 1, s[10:11]
	s_delay_alu instid0(VALU_DEP_2) | instskip(NEXT) | instid1(VALU_DEP_1)
	v_bfe_u32 v3, v2, 16, 1
	v_add3_u32 v3, v2, v3, 0x7fff
	s_delay_alu instid0(VALU_DEP_1) | instskip(SKIP_1) | instid1(VALU_DEP_2)
	v_lshrrev_b32_e32 v3, 16, v3
	v_cmp_o_f32_e32 vcc_lo, v2, v2
	v_cndmask_b32_e32 v2, 0x7fc0, v3, vcc_lo
	global_store_b16 v[0:1], v2, off offset:64
.LBB105_146:
	s_sendmsg sendmsg(MSG_DEALLOC_VGPRS)
	s_endpgm
	.section	.rodata,"a",@progbits
	.p2align	6, 0x0
	.amdhsa_kernel _ZN2at6native12_GLOBAL__N_135GammaBetaBackwardCUDAKernelTemplateIN3c108BFloat16EfLj64ELj16ELj256ELb0ELb0ELb0EEEvllPKT_S7_PKT0_SA_PS5_SB_
		.amdhsa_group_segment_fixed_size 0
		.amdhsa_private_segment_fixed_size 200
		.amdhsa_kernarg_size 320
		.amdhsa_user_sgpr_count 2
		.amdhsa_user_sgpr_dispatch_ptr 0
		.amdhsa_user_sgpr_queue_ptr 0
		.amdhsa_user_sgpr_kernarg_segment_ptr 1
		.amdhsa_user_sgpr_dispatch_id 0
		.amdhsa_user_sgpr_kernarg_preload_length 0
		.amdhsa_user_sgpr_kernarg_preload_offset 0
		.amdhsa_user_sgpr_private_segment_size 0
		.amdhsa_wavefront_size32 1
		.amdhsa_uses_dynamic_stack 0
		.amdhsa_enable_private_segment 1
		.amdhsa_system_sgpr_workgroup_id_x 1
		.amdhsa_system_sgpr_workgroup_id_y 1
		.amdhsa_system_sgpr_workgroup_id_z 0
		.amdhsa_system_sgpr_workgroup_info 0
		.amdhsa_system_vgpr_workitem_id 1
		.amdhsa_next_free_vgpr 128
		.amdhsa_next_free_sgpr 68
		.amdhsa_named_barrier_count 0
		.amdhsa_reserve_vcc 1
		.amdhsa_float_round_mode_32 0
		.amdhsa_float_round_mode_16_64 0
		.amdhsa_float_denorm_mode_32 3
		.amdhsa_float_denorm_mode_16_64 3
		.amdhsa_fp16_overflow 0
		.amdhsa_memory_ordered 1
		.amdhsa_forward_progress 1
		.amdhsa_inst_pref_size 113
		.amdhsa_round_robin_scheduling 0
		.amdhsa_exception_fp_ieee_invalid_op 0
		.amdhsa_exception_fp_denorm_src 0
		.amdhsa_exception_fp_ieee_div_zero 0
		.amdhsa_exception_fp_ieee_overflow 0
		.amdhsa_exception_fp_ieee_underflow 0
		.amdhsa_exception_fp_ieee_inexact 0
		.amdhsa_exception_int_div_zero 0
	.end_amdhsa_kernel
	.section	.text._ZN2at6native12_GLOBAL__N_135GammaBetaBackwardCUDAKernelTemplateIN3c108BFloat16EfLj64ELj16ELj256ELb0ELb0ELb0EEEvllPKT_S7_PKT0_SA_PS5_SB_,"axG",@progbits,_ZN2at6native12_GLOBAL__N_135GammaBetaBackwardCUDAKernelTemplateIN3c108BFloat16EfLj64ELj16ELj256ELb0ELb0ELb0EEEvllPKT_S7_PKT0_SA_PS5_SB_,comdat
.Lfunc_end105:
	.size	_ZN2at6native12_GLOBAL__N_135GammaBetaBackwardCUDAKernelTemplateIN3c108BFloat16EfLj64ELj16ELj256ELb0ELb0ELb0EEEvllPKT_S7_PKT0_SA_PS5_SB_, .Lfunc_end105-_ZN2at6native12_GLOBAL__N_135GammaBetaBackwardCUDAKernelTemplateIN3c108BFloat16EfLj64ELj16ELj256ELb0ELb0ELb0EEEvllPKT_S7_PKT0_SA_PS5_SB_
                                        ; -- End function
	.set _ZN2at6native12_GLOBAL__N_135GammaBetaBackwardCUDAKernelTemplateIN3c108BFloat16EfLj64ELj16ELj256ELb0ELb0ELb0EEEvllPKT_S7_PKT0_SA_PS5_SB_.num_vgpr, 128
	.set _ZN2at6native12_GLOBAL__N_135GammaBetaBackwardCUDAKernelTemplateIN3c108BFloat16EfLj64ELj16ELj256ELb0ELb0ELb0EEEvllPKT_S7_PKT0_SA_PS5_SB_.num_agpr, 0
	.set _ZN2at6native12_GLOBAL__N_135GammaBetaBackwardCUDAKernelTemplateIN3c108BFloat16EfLj64ELj16ELj256ELb0ELb0ELb0EEEvllPKT_S7_PKT0_SA_PS5_SB_.numbered_sgpr, 68
	.set _ZN2at6native12_GLOBAL__N_135GammaBetaBackwardCUDAKernelTemplateIN3c108BFloat16EfLj64ELj16ELj256ELb0ELb0ELb0EEEvllPKT_S7_PKT0_SA_PS5_SB_.num_named_barrier, 0
	.set _ZN2at6native12_GLOBAL__N_135GammaBetaBackwardCUDAKernelTemplateIN3c108BFloat16EfLj64ELj16ELj256ELb0ELb0ELb0EEEvllPKT_S7_PKT0_SA_PS5_SB_.private_seg_size, 200
	.set _ZN2at6native12_GLOBAL__N_135GammaBetaBackwardCUDAKernelTemplateIN3c108BFloat16EfLj64ELj16ELj256ELb0ELb0ELb0EEEvllPKT_S7_PKT0_SA_PS5_SB_.uses_vcc, 1
	.set _ZN2at6native12_GLOBAL__N_135GammaBetaBackwardCUDAKernelTemplateIN3c108BFloat16EfLj64ELj16ELj256ELb0ELb0ELb0EEEvllPKT_S7_PKT0_SA_PS5_SB_.uses_flat_scratch, 1
	.set _ZN2at6native12_GLOBAL__N_135GammaBetaBackwardCUDAKernelTemplateIN3c108BFloat16EfLj64ELj16ELj256ELb0ELb0ELb0EEEvllPKT_S7_PKT0_SA_PS5_SB_.has_dyn_sized_stack, 0
	.set _ZN2at6native12_GLOBAL__N_135GammaBetaBackwardCUDAKernelTemplateIN3c108BFloat16EfLj64ELj16ELj256ELb0ELb0ELb0EEEvllPKT_S7_PKT0_SA_PS5_SB_.has_recursion, 0
	.set _ZN2at6native12_GLOBAL__N_135GammaBetaBackwardCUDAKernelTemplateIN3c108BFloat16EfLj64ELj16ELj256ELb0ELb0ELb0EEEvllPKT_S7_PKT0_SA_PS5_SB_.has_indirect_call, 0
	.section	.AMDGPU.csdata,"",@progbits
; Kernel info:
; codeLenInByte = 14408
; TotalNumSgprs: 70
; NumVgprs: 128
; ScratchSize: 200
; MemoryBound: 0
; FloatMode: 240
; IeeeMode: 1
; LDSByteSize: 0 bytes/workgroup (compile time only)
; SGPRBlocks: 0
; VGPRBlocks: 7
; NumSGPRsForWavesPerEU: 70
; NumVGPRsForWavesPerEU: 128
; NamedBarCnt: 0
; Occupancy: 8
; WaveLimiterHint : 0
; COMPUTE_PGM_RSRC2:SCRATCH_EN: 1
; COMPUTE_PGM_RSRC2:USER_SGPR: 2
; COMPUTE_PGM_RSRC2:TRAP_HANDLER: 0
; COMPUTE_PGM_RSRC2:TGID_X_EN: 1
; COMPUTE_PGM_RSRC2:TGID_Y_EN: 1
; COMPUTE_PGM_RSRC2:TGID_Z_EN: 0
; COMPUTE_PGM_RSRC2:TIDIG_COMP_CNT: 1
	.section	.text._ZN2at6native12_GLOBAL__N_135GammaBetaBackwardCUDAKernelTemplateIN3c108BFloat16EfLj32ELj1ELj32ELb1ELb1ELb0EEEvllPKT_S7_PKT0_SA_PS5_SB_,"axG",@progbits,_ZN2at6native12_GLOBAL__N_135GammaBetaBackwardCUDAKernelTemplateIN3c108BFloat16EfLj32ELj1ELj32ELb1ELb1ELb0EEEvllPKT_S7_PKT0_SA_PS5_SB_,comdat
	.globl	_ZN2at6native12_GLOBAL__N_135GammaBetaBackwardCUDAKernelTemplateIN3c108BFloat16EfLj32ELj1ELj32ELb1ELb1ELb0EEEvllPKT_S7_PKT0_SA_PS5_SB_ ; -- Begin function _ZN2at6native12_GLOBAL__N_135GammaBetaBackwardCUDAKernelTemplateIN3c108BFloat16EfLj32ELj1ELj32ELb1ELb1ELb0EEEvllPKT_S7_PKT0_SA_PS5_SB_
	.p2align	8
	.type	_ZN2at6native12_GLOBAL__N_135GammaBetaBackwardCUDAKernelTemplateIN3c108BFloat16EfLj32ELj1ELj32ELb1ELb1ELb0EEEvllPKT_S7_PKT0_SA_PS5_SB_,@function
_ZN2at6native12_GLOBAL__N_135GammaBetaBackwardCUDAKernelTemplateIN3c108BFloat16EfLj32ELj1ELj32ELb1ELb1ELb0EEEvllPKT_S7_PKT0_SA_PS5_SB_: ; @_ZN2at6native12_GLOBAL__N_135GammaBetaBackwardCUDAKernelTemplateIN3c108BFloat16EfLj32ELj1ELj32ELb1ELb1ELb0EEEvllPKT_S7_PKT0_SA_PS5_SB_
; %bb.0:
	s_load_b128 s[12:15], s[0:1], 0x0
	s_bfe_u32 s3, ttmp6, 0x4000c
	s_bfe_u32 s4, ttmp6, 0x40010
	s_add_co_i32 s3, s3, 1
	s_add_co_i32 s4, s4, 1
	s_and_b32 s2, ttmp6, 15
	s_bfe_u32 s5, ttmp6, 0x40004
	s_mul_i32 s3, ttmp9, s3
	s_mul_i32 s4, ttmp7, s4
	s_getreg_b32 s6, hwreg(HW_REG_IB_STS2, 6, 4)
	s_add_co_i32 s2, s2, s3
	s_add_co_i32 s5, s5, s4
	s_cmp_eq_u32 s6, 0
	s_mov_b32 s3, 0
	s_cselect_b32 s17, ttmp7, s5
	s_cselect_b32 s16, ttmp9, s2
	s_lshl_b32 s2, s17, 5
	v_bfe_u32 v1, v0, 10, 10
	s_add_nc_u64 s[18:19], s[0:1], 64
	s_wait_kmcnt 0x0
	v_cmp_gt_i64_e64 s4, s[12:13], s[2:3]
	s_and_b32 vcc_lo, exec_lo, s4
	s_cbranch_vccnz .LBB106_2
; %bb.1:
	v_bfe_u32 v2, v0, 10, 10
	s_add_nc_u64 s[4:5], s[0:1], 64
	s_mov_b32 s6, s3
	s_branch .LBB106_3
.LBB106_2:
	s_mov_b32 s6, -1
                                        ; implicit-def: $sgpr4_sgpr5
                                        ; implicit-def: $vgpr2
.LBB106_3:
	v_mov_b32_e32 v11, 0
	v_and_b32_e32 v0, 0x3ff, v0
	s_and_not1_b32 vcc_lo, exec_lo, s6
	s_delay_alu instid0(VALU_DEP_2)
	v_mov_b32_e32 v10, v11
	s_cbranch_vccnz .LBB106_9
; %bb.4:
	v_dual_mov_b32 v3, 0 :: v_dual_lshlrev_b32 v2, 5, v1
	s_clause 0x2
	s_load_b32 s20, s[0:1], 0x4c
	s_load_b32 s22, s[0:1], 0x44
	s_load_b256 s[4:11], s[0:1], 0x10
	v_lshl_add_u32 v4, s16, 5, v0
	s_mov_b32 s21, 0
	v_dual_mov_b32 v12, 4 :: v_dual_mov_b32 v13, 8
	v_add_nc_u64_e32 v[6:7], s[2:3], v[2:3]
	v_dual_mov_b32 v11, v3 :: v_dual_mov_b32 v5, v3
	v_dual_mov_b32 v2, 12 :: v_dual_mov_b32 v14, 16
	;; [unrolled: 1-line block ×3, first 2 shown]
	s_delay_alu instid0(VALU_DEP_4) | instskip(NEXT) | instid1(VALU_DEP_4)
	v_mul_u64_e32 v[8:9], s[14:15], v[6:7]
	v_lshlrev_b64_e32 v[42:43], 1, v[4:5]
	v_dual_mov_b32 v17, 28 :: v_dual_mov_b32 v18, 32
	v_dual_mov_b32 v19, 36 :: v_dual_mov_b32 v20, 40
	s_wait_kmcnt 0x0
	s_and_b32 s20, s20, 0xffff
	v_dual_mov_b32 v21, 44 :: v_dual_mov_b32 v22, 48
	v_mad_u32_u24 v10, v1, s20, v0
	s_lshl_b32 s20, s22, 5
	v_dual_mov_b32 v25, 60 :: v_dual_mov_b32 v23, 52
	s_delay_alu instid0(VALU_DEP_2) | instskip(SKIP_3) | instid1(VALU_DEP_4)
	v_dual_mov_b32 v24, 56 :: v_dual_bitop2_b32 v10, 31, v10 bitop3:0x40
	v_dual_mov_b32 v26, 64 :: v_dual_mov_b32 v27, 0x44
	v_mov_b32_e32 v28, 0x48
	v_mov_b32_e32 v29, 0x4c
	v_add_nc_u64_e32 v[4:5], v[6:7], v[10:11]
	v_mov_b32_e32 v30, 0x50
	v_mov_b32_e32 v31, 0x54
	;; [unrolled: 1-line block ×12, first 2 shown]
	v_lshl_add_u64 v[6:7], v[8:9], 1, v[42:43]
	v_lshlrev_b64_e32 v[8:9], 2, v[4:5]
	v_mov_b32_e32 v10, 0
	s_mul_u64 s[22:23], s[14:15], s[20:21]
	s_lshl_b64 s[24:25], s[20:21], 2
	s_lshl_b64 s[22:23], s[22:23], 1
	;; [unrolled: 1-line block ×3, first 2 shown]
	s_branch .LBB106_6
.LBB106_5:                              ;   in Loop: Header=BB106_6 Depth=1
	s_wait_xcnt 0x0
	s_or_b32 exec_lo, exec_lo, s28
	v_add_nc_u64_e32 v[44:45], s[6:7], v[6:7]
	v_add_nc_u64_e32 v[46:47], s[4:5], v[6:7]
	s_wait_loadcnt 0x1
	ds_bpermute_b32 v58, v3, v43
	s_wait_loadcnt 0x0
	ds_bpermute_b32 v59, v3, v42
	s_add_nc_u64 s[2:3], s[2:3], s[20:21]
	v_add_nc_u64_e32 v[6:7], s[22:23], v[6:7]
	v_cmp_lt_i64_e64 s28, s[2:3], s[12:13]
	global_load_u16 v48, v[44:45], off
	global_load_u16 v49, v[46:47], off
	s_wait_xcnt 0x1
	v_add_nc_u64_e32 v[44:45], s[26:27], v[44:45]
	s_wait_xcnt 0x0
	v_add_nc_u64_e32 v[46:47], s[26:27], v[46:47]
	v_add_nc_u64_e32 v[8:9], s[24:25], v[8:9]
	;; [unrolled: 1-line block ×3, first 2 shown]
	global_load_u16 v50, v[44:45], off
	global_load_u16 v51, v[46:47], off
	s_wait_xcnt 0x1
	v_add_nc_u64_e32 v[44:45], s[26:27], v[44:45]
	s_wait_xcnt 0x0
	v_add_nc_u64_e32 v[46:47], s[26:27], v[46:47]
	s_and_b32 vcc_lo, exec_lo, s28
	global_load_u16 v52, v[44:45], off
	global_load_u16 v53, v[46:47], off
	s_wait_xcnt 0x1
	v_add_nc_u64_e32 v[44:45], s[26:27], v[44:45]
	s_wait_xcnt 0x0
	v_add_nc_u64_e32 v[46:47], s[26:27], v[46:47]
	global_load_u16 v54, v[44:45], off
	global_load_u16 v55, v[46:47], off
	s_wait_xcnt 0x1
	v_add_nc_u64_e32 v[44:45], s[26:27], v[44:45]
	s_wait_xcnt 0x0
	v_add_nc_u64_e32 v[46:47], s[26:27], v[46:47]
	;; [unrolled: 6-line block ×3, first 2 shown]
	global_load_u16 v61, v[46:47], off
	s_wait_xcnt 0x0
	v_add_nc_u64_e32 v[46:47], s[26:27], v[46:47]
	s_wait_loadcnt 0x9
	v_dual_lshlrev_b32 v60, 16, v48 :: v_dual_lshlrev_b32 v48, 16, v49
	s_wait_dscnt 0x1
	s_delay_alu instid0(VALU_DEP_1)
	v_sub_f32_e32 v49, v60, v58
	global_load_u16 v60, v[44:45], off
	ds_bpermute_b32 v58, v12, v43
	s_wait_xcnt 0x0
	v_add_nc_u64_e32 v[44:45], s[26:27], v[44:45]
	v_mul_f32_e32 v49, v49, v48
	s_wait_dscnt 0x1
	s_delay_alu instid0(VALU_DEP_1)
	v_mul_f32_e32 v49, v49, v59
	ds_bpermute_b32 v59, v12, v42
	s_wait_loadcnt 0x5
	v_lshlrev_b32_e32 v54, 16, v54
	v_pk_add_f32 v[10:11], v[10:11], v[48:49]
	v_dual_lshlrev_b32 v49, 16, v50 :: v_dual_lshlrev_b32 v48, 16, v51
	global_load_u16 v51, v[44:45], off
	ds_bpermute_b32 v50, v13, v43
	s_wait_xcnt 0x0
	v_add_nc_u64_e32 v[44:45], s[26:27], v[44:45]
	s_wait_dscnt 0x2
	v_sub_f32_e32 v49, v49, v58
	ds_bpermute_b32 v58, v13, v42
	s_wait_loadcnt 0x4
	v_lshlrev_b32_e32 v56, 16, v56
	v_mul_f32_e32 v49, v49, v48
	s_wait_dscnt 0x2
	s_delay_alu instid0(VALU_DEP_1)
	v_mul_f32_e32 v49, v49, v59
	global_load_u16 v59, v[46:47], off
	s_wait_xcnt 0x0
	v_add_nc_u64_e32 v[46:47], s[26:27], v[46:47]
	v_pk_add_f32 v[10:11], v[10:11], v[48:49]
	v_dual_lshlrev_b32 v49, 16, v52 :: v_dual_lshlrev_b32 v48, 16, v53
	global_load_u16 v52, v[44:45], off
	global_load_u16 v53, v[46:47], off
	s_wait_xcnt 0x1
	v_add_nc_u64_e32 v[44:45], s[26:27], v[44:45]
	s_wait_xcnt 0x0
	v_add_nc_u64_e32 v[46:47], s[26:27], v[46:47]
	s_wait_dscnt 0x1
	v_sub_f32_e32 v49, v49, v50
	ds_bpermute_b32 v50, v2, v43
	v_mul_f32_e32 v49, v49, v48
	s_wait_dscnt 0x1
	s_delay_alu instid0(VALU_DEP_1)
	v_mul_f32_e32 v49, v49, v58
	s_wait_dscnt 0x0
	v_sub_f32_e32 v50, v54, v50
	global_load_u16 v54, v[44:45], off
	s_wait_xcnt 0x0
	v_add_nc_u64_e32 v[44:45], s[26:27], v[44:45]
	s_wait_loadcnt 0x5
	v_lshlrev_b32_e32 v58, 16, v60
	v_pk_add_f32 v[10:11], v[10:11], v[48:49]
	ds_bpermute_b32 v49, v2, v42
	v_lshlrev_b32_e32 v48, 16, v55
	global_load_u16 v55, v[46:47], off
	s_wait_xcnt 0x0
	v_add_nc_u64_e32 v[46:47], s[26:27], v[46:47]
	v_mul_f32_e32 v50, v50, v48
	s_wait_dscnt 0x0
	s_delay_alu instid0(VALU_DEP_1)
	v_mul_f32_e32 v49, v50, v49
	ds_bpermute_b32 v50, v14, v43
	v_pk_add_f32 v[10:11], v[10:11], v[48:49]
	ds_bpermute_b32 v49, v14, v42
	v_lshlrev_b32_e32 v48, 16, v57
	ds_bpermute_b32 v57, v15, v43
	s_wait_dscnt 0x2
	v_sub_f32_e32 v50, v56, v50
	global_load_u16 v56, v[44:45], off
	s_wait_xcnt 0x0
	v_add_nc_u64_e32 v[44:45], s[26:27], v[44:45]
	v_mul_f32_e32 v50, v50, v48
	s_wait_dscnt 0x0
	v_sub_f32_e32 v57, v58, v57
	ds_bpermute_b32 v58, v16, v43
	global_load_u16 v60, v[44:45], off
	v_mul_f32_e32 v49, v50, v49
	global_load_u16 v50, v[46:47], off
	s_wait_xcnt 0x0
	v_add_nc_u64_e32 v[46:47], s[26:27], v[46:47]
	v_add_nc_u64_e32 v[44:45], s[26:27], v[44:45]
	v_pk_add_f32 v[10:11], v[10:11], v[48:49]
	ds_bpermute_b32 v49, v15, v42
	v_lshlrev_b32_e32 v48, 16, v61
	global_load_u16 v61, v[46:47], off
	s_wait_xcnt 0x0
	v_add_nc_u64_e32 v[46:47], s[26:27], v[46:47]
	v_mul_f32_e32 v57, v57, v48
	s_wait_dscnt 0x0
	s_delay_alu instid0(VALU_DEP_1)
	v_mul_f32_e32 v49, v57, v49
	ds_bpermute_b32 v57, v16, v42
	v_pk_add_f32 v[10:11], v[10:11], v[48:49]
	s_wait_loadcnt 0x9
	v_lshlrev_b32_e32 v49, 16, v51
	s_wait_loadcnt 0x8
	v_lshlrev_b32_e32 v48, 16, v59
	global_load_u16 v59, v[46:47], off
	ds_bpermute_b32 v51, v17, v43
	s_wait_xcnt 0x0
	v_add_nc_u64_e32 v[46:47], s[26:27], v[46:47]
	v_sub_f32_e32 v49, v49, v58
	ds_bpermute_b32 v58, v17, v42
	v_mul_f32_e32 v49, v49, v48
	s_wait_dscnt 0x2
	s_delay_alu instid0(VALU_DEP_1)
	v_mul_f32_e32 v49, v49, v57
	global_load_u16 v57, v[44:45], off
	s_wait_xcnt 0x0
	v_add_nc_u64_e32 v[44:45], s[26:27], v[44:45]
	v_pk_add_f32 v[10:11], v[10:11], v[48:49]
	s_wait_loadcnt 0x8
	v_dual_lshlrev_b32 v49, 16, v52 :: v_dual_lshlrev_b32 v48, 16, v53
	ds_bpermute_b32 v53, v18, v42
	global_load_u16 v52, v[44:45], off
	s_wait_xcnt 0x0
	v_add_nc_u64_e32 v[44:45], s[26:27], v[44:45]
	s_wait_dscnt 0x2
	v_sub_f32_e32 v49, v49, v51
	ds_bpermute_b32 v51, v18, v43
	v_mul_f32_e32 v49, v49, v48
	s_wait_dscnt 0x2
	s_delay_alu instid0(VALU_DEP_1)
	v_mul_f32_e32 v49, v49, v58
	global_load_u16 v58, v[46:47], off
	s_wait_xcnt 0x0
	v_add_nc_u64_e32 v[46:47], s[26:27], v[46:47]
	v_pk_add_f32 v[10:11], v[10:11], v[48:49]
	s_wait_loadcnt 0x9
	v_lshlrev_b32_e32 v49, 16, v54
	s_wait_dscnt 0x0
	s_delay_alu instid0(VALU_DEP_1)
	v_sub_f32_e32 v49, v49, v51
	ds_bpermute_b32 v51, v19, v43
	s_wait_loadcnt 0x7
	v_dual_lshlrev_b32 v48, 16, v55 :: v_dual_lshlrev_b32 v55, 16, v56
	s_wait_loadcnt 0x6
	v_lshlrev_b32_e32 v56, 16, v60
	s_delay_alu instid0(VALU_DEP_2) | instskip(NEXT) | instid1(VALU_DEP_1)
	v_mul_f32_e32 v49, v49, v48
	v_mul_f32_e32 v49, v49, v53
	global_load_u16 v53, v[44:45], off
	global_load_u16 v54, v[46:47], off
	s_wait_xcnt 0x1
	v_add_nc_u64_e32 v[44:45], s[26:27], v[44:45]
	s_wait_xcnt 0x0
	v_add_nc_u64_e32 v[46:47], s[26:27], v[46:47]
	v_pk_add_f32 v[10:11], v[10:11], v[48:49]
	s_wait_loadcnt_dscnt 0x700
	v_dual_lshlrev_b32 v48, 16, v50 :: v_dual_sub_f32 v50, v55, v51
	ds_bpermute_b32 v49, v19, v42
	global_load_u16 v51, v[44:45], off
	ds_bpermute_b32 v55, v20, v43
	s_wait_xcnt 0x0
	v_add_nc_u64_e32 v[44:45], s[26:27], v[44:45]
	v_mul_f32_e32 v50, v50, v48
	global_load_u16 v60, v[44:45], off
	s_wait_xcnt 0x0
	v_add_nc_u64_e32 v[44:45], s[26:27], v[44:45]
	s_wait_dscnt 0x1
	v_mul_f32_e32 v49, v50, v49
	global_load_u16 v50, v[46:47], off
	s_wait_dscnt 0x0
	v_sub_f32_e32 v55, v56, v55
	ds_bpermute_b32 v56, v21, v43
	s_wait_xcnt 0x0
	v_add_nc_u64_e32 v[46:47], s[26:27], v[46:47]
	v_pk_add_f32 v[10:11], v[10:11], v[48:49]
	ds_bpermute_b32 v49, v20, v42
	s_wait_loadcnt 0x9
	v_lshlrev_b32_e32 v48, 16, v61
	global_load_u16 v61, v[46:47], off
	v_mul_f32_e32 v55, v55, v48
	s_wait_xcnt 0x0
	v_add_nc_u64_e32 v[46:47], s[26:27], v[46:47]
	s_wait_dscnt 0x0
	s_delay_alu instid0(VALU_DEP_2)
	v_mul_f32_e32 v49, v55, v49
	ds_bpermute_b32 v55, v21, v42
	v_pk_add_f32 v[10:11], v[10:11], v[48:49]
	s_wait_loadcnt 0x8
	v_dual_lshlrev_b32 v48, 16, v59 :: v_dual_lshlrev_b32 v57, 16, v57
	global_load_u16 v59, v[46:47], off
	s_wait_xcnt 0x0
	v_add_nc_u64_e32 v[46:47], s[26:27], v[46:47]
	v_sub_f32_e32 v49, v57, v56
	global_load_u16 v57, v[44:45], off
	ds_bpermute_b32 v56, v22, v43
	s_wait_xcnt 0x0
	v_add_nc_u64_e32 v[44:45], s[26:27], v[44:45]
	s_wait_loadcnt 0x5
	v_dual_lshlrev_b32 v51, 16, v51 :: v_dual_mul_f32 v49, v49, v48
	s_wait_dscnt 0x1
	s_delay_alu instid0(VALU_DEP_1)
	v_mul_f32_e32 v49, v49, v55
	ds_bpermute_b32 v55, v22, v42
	v_pk_add_f32 v[10:11], v[10:11], v[48:49]
	v_dual_lshlrev_b32 v49, 16, v52 :: v_dual_lshlrev_b32 v48, 16, v58
	ds_bpermute_b32 v52, v23, v43
	global_load_u16 v58, v[46:47], off
	s_wait_xcnt 0x0
	v_add_nc_u64_e32 v[46:47], s[26:27], v[46:47]
	s_wait_dscnt 0x2
	v_sub_f32_e32 v49, v49, v56
	global_load_u16 v56, v[44:45], off
	s_wait_xcnt 0x0
	v_add_nc_u64_e32 v[44:45], s[26:27], v[44:45]
	v_mul_f32_e32 v49, v49, v48
	s_wait_dscnt 0x1
	s_delay_alu instid0(VALU_DEP_1)
	v_mul_f32_e32 v49, v49, v55
	ds_bpermute_b32 v55, v23, v42
	v_pk_add_f32 v[10:11], v[10:11], v[48:49]
	v_dual_lshlrev_b32 v49, 16, v53 :: v_dual_lshlrev_b32 v48, 16, v54
	global_load_u16 v53, v[44:45], off
	global_load_u16 v54, v[46:47], off
	s_wait_xcnt 0x1
	v_add_nc_u64_e32 v[44:45], s[26:27], v[44:45]
	s_wait_xcnt 0x0
	v_add_nc_u64_e32 v[46:47], s[26:27], v[46:47]
	s_wait_dscnt 0x1
	v_sub_f32_e32 v49, v49, v52
	ds_bpermute_b32 v52, v24, v43
	s_wait_loadcnt 0x4
	v_dual_lshlrev_b32 v57, 16, v57 :: v_dual_mul_f32 v49, v49, v48
	s_wait_dscnt 0x1
	s_delay_alu instid0(VALU_DEP_1)
	v_mul_f32_e32 v49, v49, v55
	global_load_u16 v55, v[46:47], off
	s_wait_xcnt 0x0
	v_add_nc_u64_e32 v[46:47], s[26:27], v[46:47]
	v_pk_add_f32 v[10:11], v[10:11], v[48:49]
	s_wait_dscnt 0x0
	v_dual_lshlrev_b32 v48, 16, v50 :: v_dual_sub_f32 v50, v51, v52
	global_load_u16 v52, v[44:45], off
	ds_bpermute_b32 v49, v24, v42
	v_lshlrev_b32_e32 v51, 16, v60
	ds_bpermute_b32 v60, v26, v42
	v_mul_f32_e32 v50, v50, v48
	s_wait_xcnt 0x0
	v_add_nc_u64_e32 v[44:45], s[26:27], v[44:45]
	s_wait_dscnt 0x1
	s_delay_alu instid0(VALU_DEP_2)
	v_mul_f32_e32 v49, v50, v49
	ds_bpermute_b32 v50, v25, v43
	v_pk_add_f32 v[10:11], v[10:11], v[48:49]
	ds_bpermute_b32 v49, v25, v42
	s_wait_dscnt 0x1
	v_dual_lshlrev_b32 v48, 16, v61 :: v_dual_sub_f32 v50, v51, v50
	ds_bpermute_b32 v51, v26, v43
	v_mul_f32_e32 v50, v50, v48
	s_wait_dscnt 0x1
	s_delay_alu instid0(VALU_DEP_1)
	v_dual_mul_f32 v49, v50, v49 :: v_dual_lshlrev_b32 v50, 16, v59
	global_load_u16 v59, v[44:45], off
	s_wait_xcnt 0x0
	v_add_nc_u64_e32 v[44:45], s[26:27], v[44:45]
	s_wait_dscnt 0x0
	v_sub_f32_e32 v51, v57, v51
	ds_bpermute_b32 v57, v27, v43
	v_pk_add_f32 v[10:11], v[10:11], v[48:49]
	ds_bpermute_b32 v49, v27, v42
	v_mul_f32_e32 v48, v51, v50
	s_delay_alu instid0(VALU_DEP_1)
	v_mul_f32_e32 v51, v48, v60
	global_load_u16 v60, v[46:47], off
	s_wait_xcnt 0x0
	v_add_nc_u64_e32 v[46:47], s[26:27], v[46:47]
	s_wait_loadcnt 0x7
	v_lshlrev_b32_e32 v48, 16, v58
	global_load_u16 v58, v[44:45], off
	s_wait_xcnt 0x0
	v_add_nc_u64_e32 v[44:45], s[26:27], v[44:45]
	s_wait_loadcnt 0x7
	v_lshlrev_b32_e32 v56, 16, v56
	v_pk_add_f32 v[10:11], v[10:11], v[50:51]
	ds_bpermute_b32 v51, v28, v42
	s_wait_dscnt 0x2
	v_sub_f32_e32 v56, v56, v57
	ds_bpermute_b32 v57, v28, v43
	v_mul_f32_e32 v50, v56, v48
	global_load_u16 v56, v[46:47], off
	s_wait_xcnt 0x0
	v_add_nc_u64_e32 v[46:47], s[26:27], v[46:47]
	s_wait_loadcnt 0x7
	v_lshlrev_b32_e32 v53, 16, v53
	s_wait_loadcnt_dscnt 0x602
	v_dual_mul_f32 v49, v50, v49 :: v_dual_lshlrev_b32 v50, 16, v54
	ds_bpermute_b32 v54, v29, v43
	v_pk_add_f32 v[10:11], v[10:11], v[48:49]
	ds_bpermute_b32 v49, v29, v42
	s_wait_dscnt 0x2
	v_sub_f32_e32 v53, v53, v57
	global_load_u16 v57, v[44:45], off
	s_wait_xcnt 0x0
	v_add_nc_u64_e32 v[44:45], s[26:27], v[44:45]
	v_mul_f32_e32 v48, v53, v50
	global_load_u16 v53, v[46:47], off
	s_wait_xcnt 0x0
	v_add_nc_u64_e32 v[46:47], s[26:27], v[46:47]
	global_load_u16 v61, v[44:45], off
	s_wait_xcnt 0x0
	v_add_nc_u64_e32 v[44:45], s[26:27], v[44:45]
	v_mul_f32_e32 v51, v48, v51
	global_load_u16 v62, v[46:47], off
	s_wait_xcnt 0x0
	v_add_nc_u64_e32 v[46:47], s[26:27], v[46:47]
	v_pk_add_f32 v[10:11], v[10:11], v[50:51]
	ds_bpermute_b32 v51, v31, v43
	s_wait_loadcnt 0x8
	v_lshlrev_b32_e32 v50, 16, v52
	global_load_u16 v52, v[44:45], off
	v_lshlrev_b32_e32 v48, 16, v55
	ds_bpermute_b32 v55, v31, v42
	s_wait_xcnt 0x0
	v_add_nc_u64_e32 v[44:45], s[26:27], v[44:45]
	s_wait_dscnt 0x3
	v_sub_f32_e32 v50, v50, v54
	global_load_u16 v54, v[46:47], off
	s_wait_xcnt 0x0
	v_add_nc_u64_e32 v[46:47], s[26:27], v[46:47]
	v_mul_f32_e32 v50, v50, v48
	s_wait_dscnt 0x2
	s_delay_alu instid0(VALU_DEP_1)
	v_mul_f32_e32 v49, v50, v49
	ds_bpermute_b32 v50, v30, v43
	v_pk_add_f32 v[10:11], v[10:11], v[48:49]
	ds_bpermute_b32 v49, v30, v42
	s_wait_loadcnt 0x9
	v_lshlrev_b32_e32 v48, 16, v59
	ds_bpermute_b32 v59, v33, v42
	s_wait_loadcnt_dscnt 0x802
	v_dual_sub_f32 v50, v48, v50 :: v_dual_lshlrev_b32 v48, 16, v60
	global_load_u16 v60, v[46:47], off
	s_wait_xcnt 0x0
	v_add_nc_u64_e32 v[46:47], s[26:27], v[46:47]
	v_mul_f32_e32 v50, v50, v48
	s_wait_dscnt 0x1
	s_delay_alu instid0(VALU_DEP_1) | instskip(NEXT) | instid1(VALU_DEP_1)
	v_mul_f32_e32 v49, v50, v49
	v_pk_add_f32 v[10:11], v[10:11], v[48:49]
	ds_bpermute_b32 v49, v33, v43
	s_wait_loadcnt 0x8
	v_lshlrev_b32_e32 v50, 16, v58
	ds_bpermute_b32 v58, v32, v43
	s_wait_loadcnt 0x6
	v_dual_lshlrev_b32 v57, 16, v57 :: v_dual_sub_f32 v51, v50, v51
	v_lshlrev_b32_e32 v50, 16, v56
	ds_bpermute_b32 v56, v32, v42
	s_wait_loadcnt 0x5
	v_lshlrev_b32_e32 v48, 16, v53
	ds_bpermute_b32 v53, v34, v43
	v_mul_f32_e32 v51, v51, v50
	s_delay_alu instid0(VALU_DEP_1)
	v_mul_f32_e32 v51, v51, v55
	global_load_u16 v55, v[44:45], off
	s_wait_xcnt 0x0
	v_add_nc_u64_e32 v[44:45], s[26:27], v[44:45]
	v_pk_add_f32 v[10:11], v[10:11], v[50:51]
	s_wait_loadcnt_dscnt 0x502
	v_dual_sub_f32 v50, v57, v58 :: v_dual_lshlrev_b32 v51, 16, v61
	global_load_u16 v58, v[46:47], off
	v_dual_mul_f32 v57, v50, v48 :: v_dual_sub_f32 v51, v51, v49
	s_wait_loadcnt_dscnt 0x501
	s_delay_alu instid0(VALU_DEP_1)
	v_dual_mul_f32 v49, v57, v56 :: v_dual_lshlrev_b32 v50, 16, v62
	global_load_u16 v57, v[44:45], off
	s_wait_xcnt 0x0
	v_add_nc_u64_e32 v[44:45], s[26:27], v[44:45]
	s_wait_loadcnt 0x5
	v_dual_mul_f32 v51, v51, v50 :: v_dual_lshlrev_b32 v52, 16, v52
	ds_bpermute_b32 v56, v34, v42
	v_pk_add_f32 v[10:11], v[10:11], v[48:49]
	v_add_nc_u64_e32 v[48:49], s[26:27], v[46:47]
	s_wait_dscnt 0x1
	v_dual_mul_f32 v51, v51, v59 :: v_dual_sub_f32 v53, v52, v53
	s_wait_loadcnt 0x4
	v_lshlrev_b32_e32 v52, 16, v54
	global_load_u16 v54, v[44:45], off
	v_add_nc_u64_e32 v[46:47], s[26:27], v[44:45]
	v_pk_add_f32 v[10:11], v[10:11], v[50:51]
	s_wait_xcnt 0x0
	v_add_nc_u64_e32 v[44:45], s[26:27], v[48:49]
	global_load_u16 v59, v[48:49], off
	v_mul_f32_e32 v53, v53, v52
	global_load_u16 v61, v[46:47], off
	s_wait_xcnt 0x0
	v_add_nc_u64_e32 v[46:47], s[26:27], v[46:47]
	v_add_nc_u64_e32 v[48:49], s[26:27], v[44:45]
	s_wait_dscnt 0x0
	v_mul_f32_e32 v53, v53, v56
	s_delay_alu instid0(VALU_DEP_3)
	v_add_nc_u64_e32 v[50:51], s[26:27], v[46:47]
	global_load_u16 v56, v[44:45], off
	global_load_u16 v62, v[48:49], off
	;; [unrolled: 1-line block ×3, first 2 shown]
                                        ; kill: killed $vgpr46_vgpr47
                                        ; kill: killed $vgpr44_vgpr45
	global_load_u16 v64, v[50:51], off
	s_wait_xcnt 0x1
	v_add_nc_u64_e32 v[46:47], s[26:27], v[48:49]
	v_pk_add_f32 v[10:11], v[10:11], v[52:53]
	ds_bpermute_b32 v52, v37, v43
	ds_bpermute_b32 v53, v37, v42
	v_add_nc_u64_e32 v[44:45], s[26:27], v[50:51]
	global_load_u16 v48, v[44:45], off
	global_load_u16 v49, v[46:47], off
	s_wait_xcnt 0x1
	v_add_nc_u64_e32 v[44:45], s[26:27], v[46:47]
	s_wait_xcnt 0x0
	ds_bpermute_b32 v47, v36, v43
	ds_bpermute_b32 v51, v36, v42
	global_load_u16 v50, v[44:45], off
	s_wait_xcnt 0x0
	ds_bpermute_b32 v44, v35, v43
	ds_bpermute_b32 v45, v35, v42
	s_wait_loadcnt 0xc
	v_lshlrev_b32_e32 v46, 16, v55
	ds_bpermute_b32 v55, v38, v42
	s_wait_dscnt 0x2
	v_sub_f32_e32 v46, v46, v44
	s_wait_loadcnt 0x9
	v_dual_lshlrev_b32 v44, 16, v60 :: v_dual_lshlrev_b32 v54, 16, v54
	s_delay_alu instid0(VALU_DEP_1) | instskip(NEXT) | instid1(VALU_DEP_2)
	v_mul_f32_e32 v46, v46, v44
	v_sub_f32_e32 v52, v54, v52
	s_wait_dscnt 0x1
	s_delay_alu instid0(VALU_DEP_2)
	v_mul_f32_e32 v45, v46, v45
	v_lshlrev_b32_e32 v46, 16, v57
	ds_bpermute_b32 v54, v40, v43
	ds_bpermute_b32 v57, v39, v42
	v_pk_add_f32 v[10:11], v[10:11], v[44:45]
	v_dual_sub_f32 v47, v46, v47 :: v_dual_lshlrev_b32 v46, 16, v58
	ds_bpermute_b32 v45, v38, v43
	ds_bpermute_b32 v58, v41, v42
	v_mul_f32_e32 v44, v47, v46
	s_delay_alu instid0(VALU_DEP_1)
	v_mul_f32_e32 v47, v44, v51
	ds_bpermute_b32 v51, v39, v43
	v_pk_add_f32 v[10:11], v[10:11], v[46:47]
	s_wait_loadcnt 0x7
	v_dual_lshlrev_b32 v46, 16, v61 :: v_dual_lshlrev_b32 v44, 16, v59
	s_wait_loadcnt 0x2
	v_lshlrev_b32_e32 v48, 16, v48
	s_delay_alu instid0(VALU_DEP_2)
	v_mul_f32_e32 v47, v52, v44
	ds_bpermute_b32 v52, v41, v43
	s_wait_dscnt 0x3
	v_dual_sub_f32 v43, v46, v45 :: v_dual_lshlrev_b32 v46, 16, v56
	v_dual_mul_f32 v45, v47, v53 :: v_dual_lshlrev_b32 v56, 16, v63
	ds_bpermute_b32 v53, v40, v42
	v_lshlrev_b32_e32 v42, 16, v62
	s_wait_dscnt 0x2
	v_dual_mul_f32 v43, v43, v46 :: v_dual_sub_f32 v51, v56, v51
	v_lshlrev_b32_e32 v56, 16, v64
	v_pk_add_f32 v[10:11], v[10:11], v[44:45]
	s_wait_loadcnt 0x1
	s_delay_alu instid0(VALU_DEP_3) | instskip(SKIP_2) | instid1(VALU_DEP_3)
	v_dual_mul_f32 v47, v43, v55 :: v_dual_lshlrev_b32 v44, 16, v49
	v_mul_f32_e32 v43, v51, v42
	v_sub_f32_e32 v45, v56, v54
	v_pk_add_f32 v[10:11], v[10:11], v[46:47]
	s_wait_loadcnt 0x0
	s_delay_alu instid0(VALU_DEP_3) | instskip(NEXT) | instid1(VALU_DEP_3)
	v_dual_mul_f32 v43, v43, v57 :: v_dual_lshlrev_b32 v46, 16, v50
	v_mul_f32_e32 v45, v45, v44
	s_wait_dscnt 0x1
	v_sub_f32_e32 v47, v48, v52
	s_delay_alu instid0(VALU_DEP_3) | instskip(SKIP_1) | instid1(VALU_DEP_2)
	v_pk_add_f32 v[10:11], v[10:11], v[42:43]
	s_wait_dscnt 0x0
	v_dual_mul_f32 v45, v45, v53 :: v_dual_mul_f32 v42, v47, v46
	s_delay_alu instid0(VALU_DEP_1) | instskip(NEXT) | instid1(VALU_DEP_2)
	v_pk_add_f32 v[10:11], v[10:11], v[44:45]
	v_mul_f32_e32 v47, v42, v58
	s_delay_alu instid0(VALU_DEP_1)
	v_pk_add_f32 v[10:11], v[10:11], v[46:47]
	s_cbranch_vccz .LBB106_8
.LBB106_6:                              ; =>This Inner Loop Header: Depth=1
	v_dual_mov_b32 v42, 0 :: v_dual_mov_b32 v43, 0
	s_mov_b32 s28, exec_lo
	v_cmpx_gt_i64_e64 s[12:13], v[4:5]
	s_cbranch_execz .LBB106_5
; %bb.7:                                ;   in Loop: Header=BB106_6 Depth=1
	v_add_nc_u64_e32 v[44:45], s[8:9], v[8:9]
	v_add_nc_u64_e32 v[46:47], s[10:11], v[8:9]
	global_load_b32 v43, v[44:45], off
	global_load_b32 v42, v[46:47], off
	s_branch .LBB106_5
.LBB106_8:
	v_mov_b32_e32 v2, v1
	s_mov_b64 s[4:5], s[18:19]
.LBB106_9:
	s_load_b128 s[0:3], s[0:1], 0x30
	s_nop 0
	s_load_u16 s4, s[4:5], 0xe
	v_mov_b32_e32 v1, 0
	s_delay_alu instid0(VALU_DEP_1) | instskip(SKIP_1) | instid1(VALU_DEP_1)
	v_mov_b32_e32 v3, v1
	s_wait_kmcnt 0x0
	v_mad_nc_u64_u32 v[2:3], s4, s17, v[2:3]
	s_mov_b32 s17, 0
	s_delay_alu instid0(SALU_CYCLE_1) | instskip(SKIP_2) | instid1(VALU_DEP_2)
	s_lshl_b64 s[4:5], s[16:17], 5
	s_cmp_eq_u64 s[0:1], 0
	v_add_nc_u64_e32 v[0:1], s[4:5], v[0:1]
	v_mul_u64_e32 v[2:3], s[14:15], v[2:3]
	s_cbranch_scc1 .LBB106_11
; %bb.10:
	v_bfe_u32 v4, v11, 16, 1
	v_cmp_o_f32_e32 vcc_lo, v11, v11
	s_delay_alu instid0(VALU_DEP_2) | instskip(NEXT) | instid1(VALU_DEP_1)
	v_add3_u32 v4, v11, v4, 0x7fff
	v_lshrrev_b32_e32 v6, 16, v4
	v_lshl_add_u64 v[4:5], v[2:3], 1, s[0:1]
	s_delay_alu instid0(VALU_DEP_2) | instskip(NEXT) | instid1(VALU_DEP_2)
	v_cndmask_b32_e32 v6, 0x7fc0, v6, vcc_lo
	v_lshl_add_u64 v[4:5], v[0:1], 1, v[4:5]
	global_store_b16 v[4:5], v6, off
.LBB106_11:
	s_cmp_eq_u64 s[2:3], 0
	s_cbranch_scc1 .LBB106_13
; %bb.12:
	s_wait_xcnt 0x0
	v_bfe_u32 v4, v10, 16, 1
	s_delay_alu instid0(VALU_DEP_2) | instskip(SKIP_1) | instid1(VALU_DEP_3)
	v_lshl_add_u64 v[2:3], v[2:3], 1, s[2:3]
	v_cmp_o_f32_e32 vcc_lo, v10, v10
	v_add3_u32 v4, v10, v4, 0x7fff
	s_delay_alu instid0(VALU_DEP_3) | instskip(NEXT) | instid1(VALU_DEP_2)
	v_lshl_add_u64 v[0:1], v[0:1], 1, v[2:3]
	v_lshrrev_b32_e32 v4, 16, v4
	s_delay_alu instid0(VALU_DEP_1)
	v_cndmask_b32_e32 v4, 0x7fc0, v4, vcc_lo
	global_store_b16 v[0:1], v4, off
.LBB106_13:
	s_sendmsg sendmsg(MSG_DEALLOC_VGPRS)
	s_endpgm
	.section	.rodata,"a",@progbits
	.p2align	6, 0x0
	.amdhsa_kernel _ZN2at6native12_GLOBAL__N_135GammaBetaBackwardCUDAKernelTemplateIN3c108BFloat16EfLj32ELj1ELj32ELb1ELb1ELb0EEEvllPKT_S7_PKT0_SA_PS5_SB_
		.amdhsa_group_segment_fixed_size 0
		.amdhsa_private_segment_fixed_size 0
		.amdhsa_kernarg_size 320
		.amdhsa_user_sgpr_count 2
		.amdhsa_user_sgpr_dispatch_ptr 0
		.amdhsa_user_sgpr_queue_ptr 0
		.amdhsa_user_sgpr_kernarg_segment_ptr 1
		.amdhsa_user_sgpr_dispatch_id 0
		.amdhsa_user_sgpr_kernarg_preload_length 0
		.amdhsa_user_sgpr_kernarg_preload_offset 0
		.amdhsa_user_sgpr_private_segment_size 0
		.amdhsa_wavefront_size32 1
		.amdhsa_uses_dynamic_stack 0
		.amdhsa_enable_private_segment 0
		.amdhsa_system_sgpr_workgroup_id_x 1
		.amdhsa_system_sgpr_workgroup_id_y 1
		.amdhsa_system_sgpr_workgroup_id_z 0
		.amdhsa_system_sgpr_workgroup_info 0
		.amdhsa_system_vgpr_workitem_id 1
		.amdhsa_next_free_vgpr 65
		.amdhsa_next_free_sgpr 29
		.amdhsa_named_barrier_count 0
		.amdhsa_reserve_vcc 1
		.amdhsa_float_round_mode_32 0
		.amdhsa_float_round_mode_16_64 0
		.amdhsa_float_denorm_mode_32 3
		.amdhsa_float_denorm_mode_16_64 3
		.amdhsa_fp16_overflow 0
		.amdhsa_memory_ordered 1
		.amdhsa_forward_progress 1
		.amdhsa_inst_pref_size 32
		.amdhsa_round_robin_scheduling 0
		.amdhsa_exception_fp_ieee_invalid_op 0
		.amdhsa_exception_fp_denorm_src 0
		.amdhsa_exception_fp_ieee_div_zero 0
		.amdhsa_exception_fp_ieee_overflow 0
		.amdhsa_exception_fp_ieee_underflow 0
		.amdhsa_exception_fp_ieee_inexact 0
		.amdhsa_exception_int_div_zero 0
	.end_amdhsa_kernel
	.section	.text._ZN2at6native12_GLOBAL__N_135GammaBetaBackwardCUDAKernelTemplateIN3c108BFloat16EfLj32ELj1ELj32ELb1ELb1ELb0EEEvllPKT_S7_PKT0_SA_PS5_SB_,"axG",@progbits,_ZN2at6native12_GLOBAL__N_135GammaBetaBackwardCUDAKernelTemplateIN3c108BFloat16EfLj32ELj1ELj32ELb1ELb1ELb0EEEvllPKT_S7_PKT0_SA_PS5_SB_,comdat
.Lfunc_end106:
	.size	_ZN2at6native12_GLOBAL__N_135GammaBetaBackwardCUDAKernelTemplateIN3c108BFloat16EfLj32ELj1ELj32ELb1ELb1ELb0EEEvllPKT_S7_PKT0_SA_PS5_SB_, .Lfunc_end106-_ZN2at6native12_GLOBAL__N_135GammaBetaBackwardCUDAKernelTemplateIN3c108BFloat16EfLj32ELj1ELj32ELb1ELb1ELb0EEEvllPKT_S7_PKT0_SA_PS5_SB_
                                        ; -- End function
	.set _ZN2at6native12_GLOBAL__N_135GammaBetaBackwardCUDAKernelTemplateIN3c108BFloat16EfLj32ELj1ELj32ELb1ELb1ELb0EEEvllPKT_S7_PKT0_SA_PS5_SB_.num_vgpr, 65
	.set _ZN2at6native12_GLOBAL__N_135GammaBetaBackwardCUDAKernelTemplateIN3c108BFloat16EfLj32ELj1ELj32ELb1ELb1ELb0EEEvllPKT_S7_PKT0_SA_PS5_SB_.num_agpr, 0
	.set _ZN2at6native12_GLOBAL__N_135GammaBetaBackwardCUDAKernelTemplateIN3c108BFloat16EfLj32ELj1ELj32ELb1ELb1ELb0EEEvllPKT_S7_PKT0_SA_PS5_SB_.numbered_sgpr, 29
	.set _ZN2at6native12_GLOBAL__N_135GammaBetaBackwardCUDAKernelTemplateIN3c108BFloat16EfLj32ELj1ELj32ELb1ELb1ELb0EEEvllPKT_S7_PKT0_SA_PS5_SB_.num_named_barrier, 0
	.set _ZN2at6native12_GLOBAL__N_135GammaBetaBackwardCUDAKernelTemplateIN3c108BFloat16EfLj32ELj1ELj32ELb1ELb1ELb0EEEvllPKT_S7_PKT0_SA_PS5_SB_.private_seg_size, 0
	.set _ZN2at6native12_GLOBAL__N_135GammaBetaBackwardCUDAKernelTemplateIN3c108BFloat16EfLj32ELj1ELj32ELb1ELb1ELb0EEEvllPKT_S7_PKT0_SA_PS5_SB_.uses_vcc, 1
	.set _ZN2at6native12_GLOBAL__N_135GammaBetaBackwardCUDAKernelTemplateIN3c108BFloat16EfLj32ELj1ELj32ELb1ELb1ELb0EEEvllPKT_S7_PKT0_SA_PS5_SB_.uses_flat_scratch, 0
	.set _ZN2at6native12_GLOBAL__N_135GammaBetaBackwardCUDAKernelTemplateIN3c108BFloat16EfLj32ELj1ELj32ELb1ELb1ELb0EEEvllPKT_S7_PKT0_SA_PS5_SB_.has_dyn_sized_stack, 0
	.set _ZN2at6native12_GLOBAL__N_135GammaBetaBackwardCUDAKernelTemplateIN3c108BFloat16EfLj32ELj1ELj32ELb1ELb1ELb0EEEvllPKT_S7_PKT0_SA_PS5_SB_.has_recursion, 0
	.set _ZN2at6native12_GLOBAL__N_135GammaBetaBackwardCUDAKernelTemplateIN3c108BFloat16EfLj32ELj1ELj32ELb1ELb1ELb0EEEvllPKT_S7_PKT0_SA_PS5_SB_.has_indirect_call, 0
	.section	.AMDGPU.csdata,"",@progbits
; Kernel info:
; codeLenInByte = 4040
; TotalNumSgprs: 31
; NumVgprs: 65
; ScratchSize: 0
; MemoryBound: 0
; FloatMode: 240
; IeeeMode: 1
; LDSByteSize: 0 bytes/workgroup (compile time only)
; SGPRBlocks: 0
; VGPRBlocks: 4
; NumSGPRsForWavesPerEU: 31
; NumVGPRsForWavesPerEU: 65
; NamedBarCnt: 0
; Occupancy: 12
; WaveLimiterHint : 0
; COMPUTE_PGM_RSRC2:SCRATCH_EN: 0
; COMPUTE_PGM_RSRC2:USER_SGPR: 2
; COMPUTE_PGM_RSRC2:TRAP_HANDLER: 0
; COMPUTE_PGM_RSRC2:TGID_X_EN: 1
; COMPUTE_PGM_RSRC2:TGID_Y_EN: 1
; COMPUTE_PGM_RSRC2:TGID_Z_EN: 0
; COMPUTE_PGM_RSRC2:TIDIG_COMP_CNT: 1
	.section	.text._ZN2at6native12_GLOBAL__N_135GammaBetaBackwardCUDAKernelTemplateIN3c108BFloat16EfLj32ELj1ELj32ELb1ELb0ELb0EEEvllPKT_S7_PKT0_SA_PS5_SB_,"axG",@progbits,_ZN2at6native12_GLOBAL__N_135GammaBetaBackwardCUDAKernelTemplateIN3c108BFloat16EfLj32ELj1ELj32ELb1ELb0ELb0EEEvllPKT_S7_PKT0_SA_PS5_SB_,comdat
	.globl	_ZN2at6native12_GLOBAL__N_135GammaBetaBackwardCUDAKernelTemplateIN3c108BFloat16EfLj32ELj1ELj32ELb1ELb0ELb0EEEvllPKT_S7_PKT0_SA_PS5_SB_ ; -- Begin function _ZN2at6native12_GLOBAL__N_135GammaBetaBackwardCUDAKernelTemplateIN3c108BFloat16EfLj32ELj1ELj32ELb1ELb0ELb0EEEvllPKT_S7_PKT0_SA_PS5_SB_
	.p2align	8
	.type	_ZN2at6native12_GLOBAL__N_135GammaBetaBackwardCUDAKernelTemplateIN3c108BFloat16EfLj32ELj1ELj32ELb1ELb0ELb0EEEvllPKT_S7_PKT0_SA_PS5_SB_,@function
_ZN2at6native12_GLOBAL__N_135GammaBetaBackwardCUDAKernelTemplateIN3c108BFloat16EfLj32ELj1ELj32ELb1ELb0ELb0EEEvllPKT_S7_PKT0_SA_PS5_SB_: ; @_ZN2at6native12_GLOBAL__N_135GammaBetaBackwardCUDAKernelTemplateIN3c108BFloat16EfLj32ELj1ELj32ELb1ELb0ELb0EEEvllPKT_S7_PKT0_SA_PS5_SB_
; %bb.0:
	s_load_b256 s[4:11], s[0:1], 0x0
	s_bfe_u32 s3, ttmp6, 0x4000c
	s_bfe_u32 s12, ttmp6, 0x40010
	s_add_co_i32 s3, s3, 1
	s_add_co_i32 s12, s12, 1
	s_and_b32 s2, ttmp6, 15
	s_bfe_u32 s13, ttmp6, 0x40004
	s_mul_i32 s3, ttmp9, s3
	s_mul_i32 s12, ttmp7, s12
	s_getreg_b32 s14, hwreg(HW_REG_IB_STS2, 6, 4)
	s_add_co_i32 s2, s2, s3
	s_add_co_i32 s3, s13, s12
	s_cmp_eq_u32 s14, 0
	s_mov_b32 s19, 0
	s_cselect_b32 s16, ttmp9, s2
	s_cselect_b32 s33, ttmp7, s3
	s_lshl_b32 s3, s16, 5
	s_load_b128 s[12:15], s[0:1], 0x20
	s_or_b32 s18, s3, 31
	s_wait_kmcnt 0x0
	v_cmp_le_i64_e64 s2, s[6:7], s[18:19]
	s_lshl_b32 s18, s33, 5
	s_delay_alu instid0(SALU_CYCLE_1) | instskip(SKIP_2) | instid1(VALU_DEP_1)
	v_cmp_gt_i64_e64 s17, s[4:5], s[18:19]
	s_and_b32 vcc_lo, exec_lo, s2
	v_cndmask_b32_e64 v1, 0, 1, s17
	v_cmp_ne_u32_e64 s2, 1, v1
	s_cbranch_vccz .LBB107_140
; %bb.1:
	s_and_b32 vcc_lo, exec_lo, s2
	s_cbranch_vccnz .LBB107_141
; %bb.2:
	v_bfe_u32 v1, v0, 10, 10
	v_mov_b32_e32 v2, 0
	v_and_b32_e32 v172, 0x3ff, v0
	s_load_b32 s20, s[0:1], 0x44
	s_mov_b32 s21, 0
	s_delay_alu instid0(VALU_DEP_2) | instskip(NEXT) | instid1(VALU_DEP_2)
	v_dual_mov_b32 v37, v2 :: v_dual_lshlrev_b32 v36, 5, v1
	v_dual_mov_b32 v7, v2 :: v_dual_add_nc_u32 v6, s3, v172
	s_mov_b32 s25, s21
	s_set_vgpr_msb 64                       ;  msbs: dst=1 src0=0 src1=0 src2=0
	v_dual_mov_b32 v36 /*v292*/, 0 :: v_dual_mov_b32 v37 /*v293*/, v2
	s_set_vgpr_msb 0                        ;  msbs: dst=0 src0=0 src1=0 src2=0
	v_add_nc_u64_e32 v[4:5], s[18:19], v[36:37]
	v_cmp_gt_i64_e64 s2, s[6:7], v[6:7]
	v_lshlrev_b64_e32 v[38:39], 1, v[6:7]
	s_add_nc_u64 s[22:23], s[0:1], 64
	s_mov_b64 s[28:29], 31
	s_mov_b64 s[30:31], s[18:19]
	v_add_nc_u64_e32 v[10:11], 31, v[4:5]
	v_add_nc_u64_e32 v[12:13], 30, v[4:5]
	;; [unrolled: 1-line block ×7, first 2 shown]
	v_mul_u64_e32 v[10:11], s[6:7], v[10:11]
	v_mul_u64_e32 v[12:13], s[6:7], v[12:13]
	;; [unrolled: 1-line block ×6, first 2 shown]
	v_add_nc_u64_e32 v[28:29], 21, v[4:5]
	v_mul_u64_e32 v[6:7], s[6:7], v[6:7]
	v_add_nc_u64_e32 v[18:19], 27, v[4:5]
	v_add_nc_u64_e32 v[22:23], 25, v[4:5]
	;; [unrolled: 1-line block ×5, first 2 shown]
	v_mul_u64_e32 v[28:29], s[6:7], v[28:29]
	v_add_nc_u64_e32 v[20:21], 26, v[4:5]
	v_mul_u64_e32 v[18:19], s[6:7], v[18:19]
	v_mul_u64_e32 v[22:23], s[6:7], v[22:23]
	;; [unrolled: 1-line block ×7, first 2 shown]
	s_wait_kmcnt 0x0
	s_lshl_b32 s24, s20, 5
	s_delay_alu instid0(SALU_CYCLE_1) | instskip(NEXT) | instid1(SALU_CYCLE_1)
	s_mul_u64 s[26:27], s[6:7], s[24:25]
	s_lshl_b64 s[26:27], s[26:27], 1
	v_lshlrev_b64_e32 v[10:11], 1, v[10:11]
	v_lshlrev_b64_e32 v[12:13], 1, v[12:13]
	;; [unrolled: 1-line block ×5, first 2 shown]
	v_add_nc_u64_e32 v[44:45], s[8:9], v[10:11]
	v_add_nc_u64_e32 v[46:47], s[10:11], v[10:11]
	;; [unrolled: 1-line block ×9, first 2 shown]
	v_lshlrev_b64_e32 v[12:13], 1, v[24:25]
	v_mul_u64_e32 v[10:11], s[6:7], v[10:11]
	v_add_nc_u64_e32 v[14:15], 16, v[4:5]
	v_lshlrev_b64_e32 v[16:17], 1, v[26:27]
	v_add_nc_u64_e32 v[72:73], s[8:9], v[6:7]
	v_add_nc_u64_e32 v[74:75], s[10:11], v[6:7]
	v_lshlrev_b64_e32 v[6:7], 1, v[28:29]
	v_add_nc_u64_e32 v[76:77], s[8:9], v[12:13]
	v_add_nc_u64_e32 v[78:79], s[10:11], v[12:13]
	v_mul_u64_e32 v[12:13], s[6:7], v[14:15]
	v_add_nc_u64_e32 v[80:81], s[8:9], v[16:17]
	v_add_nc_u64_e32 v[82:83], s[10:11], v[16:17]
	;; [unrolled: 1-line block ×3, first 2 shown]
	v_lshlrev_b64_e32 v[18:19], 1, v[18:19]
	v_lshlrev_b64_e32 v[22:23], 1, v[22:23]
	v_add_nc_u64_e32 v[84:85], s[8:9], v[6:7]
	v_add_nc_u64_e32 v[86:87], s[10:11], v[6:7]
	v_lshlrev_b64_e32 v[6:7], 1, v[32:33]
	v_add_nc_u64_e32 v[14:15], 15, v[4:5]
	v_mul_u64_e32 v[16:17], s[6:7], v[16:17]
	v_add_nc_u64_e32 v[60:61], s[8:9], v[18:19]
	v_add_nc_u64_e32 v[62:63], s[10:11], v[18:19]
	;; [unrolled: 1-line block ×4, first 2 shown]
	v_lshlrev_b64_e32 v[18:19], 1, v[30:31]
	v_lshlrev_b64_e32 v[22:23], 1, v[34:35]
	v_add_nc_u64_e32 v[92:93], s[8:9], v[6:7]
	v_add_nc_u64_e32 v[24:25], 11, v[4:5]
	;; [unrolled: 1-line block ×5, first 2 shown]
	v_lshlrev_b64_e32 v[20:21], 1, v[20:21]
	v_mul_u64_e32 v[14:15], s[6:7], v[14:15]
	v_add_nc_u64_e32 v[88:89], s[8:9], v[18:19]
	v_add_nc_u64_e32 v[90:91], s[10:11], v[18:19]
	;; [unrolled: 1-line block ×4, first 2 shown]
	v_mul_u64_e32 v[24:25], s[6:7], v[24:25]
	v_lshlrev_b64_e32 v[10:11], 1, v[10:11]
	v_add_nc_u64_e32 v[28:29], 8, v[4:5]
	v_mul_u64_e32 v[6:7], s[6:7], v[6:7]
	v_add_nc_u64_e32 v[98:99], s[10:11], v[22:23]
	v_mul_u64_e32 v[22:23], s[6:7], v[26:27]
	v_add_nc_u64_e32 v[26:27], 6, v[4:5]
	v_add_nc_u64_e32 v[64:65], s[8:9], v[20:21]
	;; [unrolled: 1-line block ×4, first 2 shown]
	v_mul_u64_e32 v[18:19], s[6:7], v[18:19]
	v_add_nc_u64_e32 v[30:31], 7, v[4:5]
	v_lshlrev_b64_e32 v[12:13], 1, v[12:13]
	v_mul_u64_e32 v[28:29], s[6:7], v[28:29]
	v_add_nc_u64_e32 v[100:101], s[8:9], v[10:11]
	v_add_nc_u64_e32 v[32:33], 5, v[4:5]
	;; [unrolled: 1-line block ×3, first 2 shown]
	v_mul_u64_e32 v[10:11], s[6:7], v[26:27]
	v_add_nc_u64_e32 v[26:27], 4, v[4:5]
	v_add_nc_u64_e32 v[34:35], 3, v[4:5]
	;; [unrolled: 1-line block ×3, first 2 shown]
	v_mul_u64_e32 v[20:21], s[6:7], v[20:21]
	v_mul_u64_e32 v[30:31], s[6:7], v[30:31]
	v_add_nc_u64_e32 v[104:105], s[8:9], v[12:13]
	v_mul_u64_e32 v[32:33], s[6:7], v[32:33]
	v_add_nc_u64_e32 v[106:107], s[10:11], v[12:13]
	v_lshlrev_b64_e32 v[12:13], 1, v[16:17]
	v_mul_u64_e32 v[16:17], s[6:7], v[26:27]
	v_mul_u64_e32 v[26:27], s[6:7], v[34:35]
	;; [unrolled: 1-line block ×3, first 2 shown]
	v_lshlrev_b64_e32 v[14:15], 1, v[14:15]
	v_lshlrev_b64_e32 v[42:43], 1, v[8:9]
	v_add_nc_u64_e32 v[8:9], s[6:7], v[8:9]
	v_add_nc_u64_e32 v[112:113], s[8:9], v[12:13]
	;; [unrolled: 1-line block ×3, first 2 shown]
	v_lshlrev_b64_e32 v[12:13], 1, v[24:25]
	v_lshlrev_b64_e32 v[6:7], 1, v[6:7]
	v_add_nc_u64_e32 v[108:109], s[8:9], v[14:15]
	v_add_nc_u64_e32 v[110:111], s[10:11], v[14:15]
	v_lshlrev_b64_e32 v[8:9], 1, v[8:9]
	v_add_nc_u64_e32 v[40:41], s[8:9], v[42:43]
	v_add_nc_u64_e32 v[42:43], s[10:11], v[42:43]
	;; [unrolled: 3-line block ×4, first 2 shown]
	v_add_nc_u64_e32 v[164:165], s[8:9], v[8:9]
	v_lshlrev_b64_e32 v[6:7], 1, v[10:11]
	v_add_nc_u64_e32 v[120:121], s[8:9], v[14:15]
	v_add_nc_u64_e32 v[122:123], s[10:11], v[14:15]
	v_lshlrev_b64_e32 v[14:15], 1, v[22:23]
	v_lshlrev_b64_e32 v[20:21], 1, v[20:21]
	;; [unrolled: 1-line block ×3, first 2 shown]
	v_add_nc_u64_e32 v[136:137], s[8:9], v[12:13]
	v_add_nc_u64_e32 v[138:139], s[10:11], v[12:13]
	v_lshlrev_b64_e32 v[10:11], 1, v[32:33]
	v_add_nc_u64_e32 v[144:145], s[8:9], v[6:7]
	v_lshlrev_b64_e32 v[12:13], 1, v[16:17]
	v_add_nc_u64_e32 v[146:147], s[10:11], v[6:7]
	v_lshlrev_b64_e32 v[6:7], 1, v[26:27]
	v_lshlrev_b64_e32 v[4:5], 1, v[4:5]
	v_add_nc_u64_e32 v[116:117], s[8:9], v[20:21]
	v_add_nc_u64_e32 v[118:119], s[10:11], v[20:21]
	;; [unrolled: 1-line block ×15, first 2 shown]
	s_branch .LBB107_5
.LBB107_3:                              ;   in Loop: Header=BB107_5 Depth=1
	s_or_b32 exec_lo, exec_lo, s20
	s_wait_loadcnt 0x1
	ds_bpermute_b32 v202, v2, v168
	ds_bpermute_b32 v204, v2, v168 offset:4
	s_wait_loadcnt 0x0
	ds_bpermute_b32 v203, v2, v169
	ds_bpermute_b32 v207, v2, v168 offset:8
	ds_bpermute_b32 v205, v2, v169 offset:4
	;; [unrolled: 1-line block ×17, first 2 shown]
	s_wait_dscnt 0x13
	v_dual_sub_f32 v202, v170, v202 :: v_dual_mov_b32 v170, v4
	s_wait_dscnt 0x12
	v_sub_f32_e32 v171, v171, v204
	s_wait_dscnt 0x10
	v_sub_f32_e32 v3, v3, v207
	ds_bpermute_b32 v220, v2, v169 offset:36
	v_dual_mul_f32 v204, v4, v202 :: v_dual_mov_b32 v4, v5
	v_dual_mov_b32 v202, v6 :: v_dual_mul_f32 v5, v5, v171
	s_wait_dscnt 0xf
	s_delay_alu instid0(VALU_DEP_2) | instskip(SKIP_1) | instid1(VALU_DEP_3)
	v_dual_sub_f32 v174, v174, v209 :: v_dual_mul_f32 v171, v204, v203
	v_dual_mov_b32 v204, v7 :: v_dual_mul_f32 v3, v6, v3
	v_dual_mov_b32 v6, v8 :: v_dual_mul_f32 v5, v5, v205
	s_set_vgpr_msb 1                        ;  msbs: dst=0 src0=1 src1=0 src2=0
	s_delay_alu instid0(VALU_DEP_3)
	v_pk_add_f32 v[170:171], v[36:37] /*v[292:293]*/, v[170:171]
	s_wait_dscnt 0xd
	s_set_vgpr_msb 0                        ;  msbs: dst=0 src0=0 src1=0 src2=0
	v_dual_sub_f32 v173, v173, v211 :: v_dual_mul_f32 v7, v7, v174
	s_wait_dscnt 0xb
	v_dual_mul_f32 v203, v3, v206 :: v_dual_sub_f32 v3, v176, v213
	v_pk_add_f32 v[4:5], v[4:5], v[170:171]
	s_delay_alu instid0(VALU_DEP_3) | instskip(SKIP_1) | instid1(VALU_DEP_3)
	v_dual_mov_b32 v170, v9 :: v_dual_mul_f32 v171, v8, v173
	v_dual_mov_b32 v8, v10 :: v_dual_mul_f32 v205, v7, v208
	v_pk_add_f32 v[4:5], v[202:203], v[4:5]
	s_wait_dscnt 0x9
	v_sub_f32_e32 v173, v175, v215
	v_dual_mul_f32 v3, v9, v3 :: v_dual_mul_f32 v7, v171, v210
	ds_bpermute_b32 v222, v2, v169 offset:40
	v_pk_add_f32 v[4:5], v[204:205], v[4:5]
	s_wait_dscnt 0x8
	v_sub_f32_e32 v9, v179, v217
	ds_bpermute_b32 v174, v2, v168 offset:44
	s_wait_dscnt 0x6
	v_dual_mul_f32 v171, v3, v212 :: v_dual_sub_f32 v3, v178, v219
	v_pk_add_f32 v[4:5], v[6:7], v[4:5]
	v_sub_f32_e32 v6, v181, v221
	v_mul_f32_e32 v10, v10, v173
	v_mul_f32_e32 v7, v11, v9
	ds_bpermute_b32 v173, v2, v169 offset:48
	v_pk_add_f32 v[4:5], v[170:171], v[4:5]
	v_mul_f32_e32 v170, v13, v6
	s_wait_dscnt 0x5
	v_dual_mul_f32 v9, v10, v214 :: v_dual_sub_f32 v10, v180, v223
	v_dual_mul_f32 v3, v12, v3 :: v_dual_mul_f32 v7, v7, v216
	s_wait_dscnt 0x3
	v_dual_mov_b32 v6, v11 :: v_dual_mul_f32 v11, v170, v220
	s_delay_alu instid0(VALU_DEP_3)
	v_pk_add_f32 v[4:5], v[8:9], v[4:5]
	ds_bpermute_b32 v171, v2, v168 offset:48
	v_dual_mul_f32 v9, v3, v218 :: v_dual_mov_b32 v8, v12
	v_dual_mul_f32 v3, v14, v10 :: v_dual_mov_b32 v10, v13
	v_pk_add_f32 v[4:5], v[6:7], v[4:5]
	ds_bpermute_b32 v12, v2, v168 offset:52
	ds_bpermute_b32 v170, v2, v168 offset:56
	;; [unrolled: 1-line block ×3, first 2 shown]
	s_wait_dscnt 0x6
	v_dual_mul_f32 v7, v3, v222 :: v_dual_mov_b32 v6, v14
	v_pk_add_f32 v[4:5], v[8:9], v[4:5]
	ds_bpermute_b32 v3, v2, v168 offset:60
	s_wait_dscnt 0x6
	v_sub_f32_e32 v8, v183, v174
	ds_bpermute_b32 v14, v2, v168 offset:64
	v_pk_add_f32 v[4:5], v[10:11], v[4:5]
	ds_bpermute_b32 v10, v2, v169 offset:52
	ds_bpermute_b32 v11, v2, v169 offset:56
	s_wait_dscnt 0x7
	v_dual_sub_f32 v9, v182, v171 :: v_dual_mul_f32 v8, v15, v8
	v_pk_add_f32 v[4:5], v[6:7], v[4:5]
	v_mov_b32_e32 v6, v15
	ds_bpermute_b32 v15, v2, v169 offset:64
	s_wait_dscnt 0x7
	v_dual_mul_f32 v9, v16, v9 :: v_dual_sub_f32 v12, v185, v12
	s_wait_dscnt 0x6
	v_sub_f32_e32 v170, v184, v170
	s_wait_dscnt 0x5
	v_mul_f32_e32 v7, v8, v13
	ds_bpermute_b32 v171, v2, v168 offset:68
	v_mul_f32_e32 v9, v9, v173
	v_dual_mul_f32 v12, v17, v12 :: v_dual_mul_f32 v13, v18, v170
	ds_bpermute_b32 v170, v2, v169 offset:60
	s_wait_dscnt 0x6
	v_dual_sub_f32 v3, v187, v3 :: v_dual_mov_b32 v8, v16
	v_pk_add_f32 v[4:5], v[6:7], v[4:5]
	ds_bpermute_b32 v173, v2, v168 offset:72
	s_wait_dscnt 0x4
	v_dual_mul_f32 v7, v12, v10 :: v_dual_mul_f32 v11, v13, v11
	v_dual_sub_f32 v10, v186, v14 :: v_dual_mul_f32 v3, v19, v3
	v_mov_b32_e32 v6, v17
	v_pk_add_f32 v[4:5], v[8:9], v[4:5]
	ds_bpermute_b32 v12, v2, v168 offset:76
	ds_bpermute_b32 v13, v2, v169 offset:68
	v_dual_mul_f32 v8, v20, v10 :: v_dual_mov_b32 v10, v18
	v_pk_add_f32 v[4:5], v[6:7], v[4:5]
	ds_bpermute_b32 v14, v2, v169 offset:72
	ds_bpermute_b32 v16, v2, v168 offset:80
	s_wait_dscnt 0x7
	v_dual_mul_f32 v9, v8, v15 :: v_dual_mov_b32 v6, v19
	v_pk_add_f32 v[4:5], v[10:11], v[4:5]
	ds_bpermute_b32 v11, v2, v169 offset:76
	s_wait_dscnt 0x6
	v_dual_mul_f32 v7, v3, v170 :: v_dual_sub_f32 v3, v189, v171
	ds_bpermute_b32 v15, v2, v168 offset:84
	s_wait_dscnt 0x6
	v_sub_f32_e32 v10, v188, v173
	ds_bpermute_b32 v17, v2, v169 offset:80
	v_pk_add_f32 v[4:5], v[6:7], v[4:5]
	v_dual_mul_f32 v3, v21, v3 :: v_dual_mov_b32 v8, v20
	s_wait_dscnt 0x6
	v_dual_mul_f32 v10, v22, v10 :: v_dual_sub_f32 v12, v192, v12
	s_wait_dscnt 0x5
	s_delay_alu instid0(VALU_DEP_2) | instskip(SKIP_1) | instid1(VALU_DEP_3)
	v_dual_mov_b32 v6, v21 :: v_dual_mul_f32 v7, v3, v13
	v_pk_add_f32 v[4:5], v[8:9], v[4:5]
	v_dual_mov_b32 v8, v22 :: v_dual_mul_f32 v3, v23, v12
	s_wait_dscnt 0x4
	v_mul_f32_e32 v9, v10, v14
	s_wait_dscnt 0x3
	v_sub_f32_e32 v10, v190, v16
	ds_bpermute_b32 v12, v2, v169 offset:84
	v_pk_add_f32 v[4:5], v[6:7], v[4:5]
	ds_bpermute_b32 v13, v2, v168 offset:88
	ds_bpermute_b32 v14, v2, v168 offset:92
	s_wait_dscnt 0x5
	v_mul_f32_e32 v7, v3, v11
	ds_bpermute_b32 v11, v2, v168 offset:96
	s_wait_dscnt 0x5
	v_dual_mul_f32 v3, v24, v10 :: v_dual_sub_f32 v10, v193, v15
	v_pk_add_f32 v[4:5], v[8:9], v[4:5]
	v_mov_b32_e32 v6, v23
	ds_bpermute_b32 v15, v2, v169 offset:92
	s_wait_dscnt 0x5
	v_dual_mul_f32 v9, v3, v17 :: v_dual_mov_b32 v8, v24
	v_mul_f32_e32 v3, v25, v10
	ds_bpermute_b32 v10, v2, v169 offset:88
	ds_bpermute_b32 v16, v2, v168 offset:100
	v_pk_add_f32 v[4:5], v[6:7], v[4:5]
	ds_bpermute_b32 v17, v2, v168 offset:108
	v_mov_b32_e32 v6, v25
	ds_bpermute_b32 v18, v2, v168 offset:116
	s_wait_dscnt 0x8
	v_mul_f32_e32 v7, v3, v12
	v_pk_add_f32 v[4:5], v[8:9], v[4:5]
	s_wait_dscnt 0x7
	v_sub_f32_e32 v3, v191, v13
	ds_bpermute_b32 v12, v2, v169 offset:96
	ds_bpermute_b32 v13, v2, v168 offset:104
	s_wait_dscnt 0x7
	v_dual_sub_f32 v11, v194, v11 :: v_dual_sub_f32 v8, v195, v14
	v_mul_f32_e32 v3, v26, v3
	ds_bpermute_b32 v14, v2, v169 offset:100
	v_pk_add_f32 v[4:5], v[6:7], v[4:5]
	v_dual_mov_b32 v6, v26 :: v_dual_mul_f32 v8, v27, v8
	s_wait_dscnt 0x6
	v_dual_mul_f32 v7, v3, v10 :: v_dual_mul_f32 v3, v28, v11
	s_wait_dscnt 0x5
	s_delay_alu instid0(VALU_DEP_2)
	v_dual_mul_f32 v9, v8, v15 :: v_dual_sub_f32 v10, v197, v16
	ds_bpermute_b32 v11, v2, v168 offset:112
	ds_bpermute_b32 v15, v2, v169 offset:104
	;; [unrolled: 1-line block ×3, first 2 shown]
	v_pk_add_f32 v[4:5], v[6:7], v[4:5]
	v_dual_mov_b32 v8, v27 :: v_dual_mul_f32 v10, v29, v10
	s_wait_dscnt 0x4
	v_dual_mul_f32 v7, v3, v12 :: v_dual_sub_f32 v3, v196, v13
	v_mov_b32_e32 v6, v28
	s_delay_alu instid0(VALU_DEP_3)
	v_pk_add_f32 v[4:5], v[8:9], v[4:5]
	s_wait_dscnt 0x3
	v_mul_f32_e32 v9, v10, v14
	ds_bpermute_b32 v10, v2, v169 offset:112
	v_dual_sub_f32 v12, v199, v17 :: v_dual_mul_f32 v3, v30, v3
	ds_bpermute_b32 v13, v2, v168 offset:120
	v_pk_add_f32 v[4:5], v[6:7], v[4:5]
	v_dual_mov_b32 v8, v29 :: v_dual_mul_f32 v12, v31, v12
	ds_bpermute_b32 v14, v2, v169 offset:116
	v_mov_b32_e32 v6, v30
	s_wait_dscnt 0x5
	v_sub_f32_e32 v11, v198, v11
	s_wait_dscnt 0x4
	v_mul_f32_e32 v7, v3, v15
	v_pk_add_f32 v[4:5], v[8:9], v[4:5]
	s_wait_dscnt 0x3
	v_mul_f32_e32 v9, v12, v16
	ds_bpermute_b32 v12, v2, v169 offset:120
	v_dual_mul_f32 v3, v32, v11 :: v_dual_sub_f32 v11, v201, v18
	v_pk_add_f32 v[4:5], v[6:7], v[4:5]
	v_dual_mov_b32 v8, v31 :: v_dual_mov_b32 v6, v32
	s_wait_dscnt 0x3
	s_delay_alu instid0(VALU_DEP_3) | instskip(NEXT) | instid1(VALU_DEP_2)
	v_dual_mul_f32 v7, v3, v10 :: v_dual_mul_f32 v10, v33, v11
	v_pk_add_f32 v[8:9], v[8:9], v[4:5]
	s_wait_dscnt 0x2
	v_sub_f32_e32 v5, v200, v13
	ds_bpermute_b32 v3, v2, v169 offset:124
	ds_bpermute_b32 v4, v2, v168 offset:124
	s_wait_dscnt 0x3
	v_mul_f32_e32 v11, v10, v14
	v_pk_add_f32 v[6:7], v[6:7], v[8:9]
	v_dual_mov_b32 v10, v33 :: v_dual_mul_f32 v5, v34, v5
	v_mov_b32_e32 v8, v34
	s_delay_alu instid0(VALU_DEP_2) | instskip(SKIP_1) | instid1(VALU_DEP_3)
	v_pk_add_f32 v[6:7], v[10:11], v[6:7]
	s_wait_dscnt 0x2
	v_mul_f32_e32 v9, v5, v12
	s_delay_alu instid0(VALU_DEP_1)
	v_pk_add_f32 v[170:171], v[8:9], v[6:7]
.LBB107_4:                              ;   in Loop: Header=BB107_5 Depth=1
	s_wait_dscnt 0x0
	v_dual_sub_f32 v5, v177, v4 :: v_dual_mov_b32 v4, v35
	s_add_nc_u64 s[30:31], s[30:31], s[24:25]
	v_add_nc_u64_e32 v[40:41], s[26:27], v[40:41]
	v_cmp_lt_i64_e64 s20, s[30:31], s[4:5]
	s_delay_alu instid0(VALU_DEP_3)
	v_mul_f32_e32 v5, v35, v5
	v_add_nc_u64_e32 v[42:43], s[26:27], v[42:43]
	v_add_nc_u64_e32 v[44:45], s[26:27], v[44:45]
	;; [unrolled: 1-line block ×4, first 2 shown]
	v_mul_f32_e32 v5, v5, v3
	v_add_nc_u64_e32 v[50:51], s[26:27], v[50:51]
	v_add_nc_u64_e32 v[52:53], s[26:27], v[52:53]
	;; [unrolled: 1-line block ×60, first 2 shown]
	s_set_vgpr_msb 64                       ;  msbs: dst=1 src0=0 src1=0 src2=0
	v_pk_add_f32 v[36:37] /*v[292:293]*/, v[170:171], v[4:5]
	s_and_b32 vcc_lo, exec_lo, s20
	s_add_nc_u64 s[28:29], s[28:29], s[24:25]
	s_set_vgpr_msb 0                        ;  msbs: dst=0 src0=0 src1=0 src2=0
	s_cbranch_vccz .LBB107_142
.LBB107_5:                              ; =>This Inner Loop Header: Depth=1
	s_add_nc_u64 s[34:35], s[18:19], s[28:29]
	v_add_nc_u64_e32 v[168:169], s[18:19], v[36:37]
	v_cmp_ge_i64_e64 s20, s[34:35], s[4:5]
                                        ; implicit-def: $vgpr4_vgpr5_vgpr6_vgpr7_vgpr8_vgpr9_vgpr10_vgpr11_vgpr12_vgpr13_vgpr14_vgpr15_vgpr16_vgpr17_vgpr18_vgpr19_vgpr20_vgpr21_vgpr22_vgpr23_vgpr24_vgpr25_vgpr26_vgpr27_vgpr28_vgpr29_vgpr30_vgpr31_vgpr32_vgpr33_vgpr34_vgpr35
                                        ; implicit-def: $vgpr170_vgpr171
                                        ; implicit-def: $vgpr3
                                        ; implicit-def: $vgpr177
                                        ; implicit-def: $vgpr4
	s_and_b32 vcc_lo, exec_lo, s20
	s_mov_b32 s20, -1
	s_cbranch_vccz .LBB107_73
; %bb.6:                                ;   in Loop: Header=BB107_5 Depth=1
	s_load_b32 s20, s[22:23], 0xc
	v_dual_mov_b32 v173, 0 :: v_dual_mov_b32 v171, 0
	v_mov_b32_e32 v170, 0
	s_wait_kmcnt 0x0
	s_and_b32 s20, s20, 0xffff
	s_delay_alu instid0(SALU_CYCLE_1) | instskip(SKIP_2) | instid1(VALU_DEP_2)
	v_mad_u32_u24 v3, v1, s20, v172
	v_mov_b32_e32 v5, v2
	s_mov_b32 s20, exec_lo
	v_and_b32_e32 v4, 31, v3
	s_delay_alu instid0(VALU_DEP_1) | instskip(NEXT) | instid1(VALU_DEP_1)
	v_add_nc_u64_e32 v[4:5], v[168:169], v[4:5]
	v_cmpx_gt_i64_e64 s[4:5], v[4:5]
	s_cbranch_execz .LBB107_8
; %bb.7:                                ;   in Loop: Header=BB107_5 Depth=1
	v_lshlrev_b64_e32 v[4:5], 2, v[4:5]
	s_delay_alu instid0(VALU_DEP_1)
	v_add_nc_u64_e32 v[6:7], s[12:13], v[4:5]
	v_add_nc_u64_e32 v[4:5], s[14:15], v[4:5]
	global_load_b32 v170, v[6:7], off
	global_load_b32 v171, v[4:5], off
.LBB107_8:                              ;   in Loop: Header=BB107_5 Depth=1
	s_wait_xcnt 0x0
	s_or_b32 exec_lo, exec_lo, s20
	v_dual_mov_b32 v31, v2 :: v_dual_mov_b32 v32, v2
	v_dual_mov_b32 v33, v2 :: v_dual_mov_b32 v3, v2
	;; [unrolled: 1-line block ×15, first 2 shown]
	v_mov_b32_e32 v30, v2
	v_cmp_gt_i64_e32 vcc_lo, s[4:5], v[168:169]
	v_mov_b64_e32 v[34:35], v[32:33]
	s_delay_alu instid0(VALU_DEP_3)
	v_mov_b64_e32 v[32:33], v[30:31]
	v_mov_b64_e32 v[30:31], v[28:29]
	;; [unrolled: 1-line block ×15, first 2 shown]
	s_and_b32 s34, s2, vcc_lo
	s_delay_alu instid0(SALU_CYCLE_1)
	s_and_saveexec_b32 s20, s34
	s_cbranch_execz .LBB107_10
; %bb.9:                                ;   in Loop: Header=BB107_5 Depth=1
	v_add_nc_u64_e32 v[4:5], v[40:41], v[38:39]
	v_add_nc_u64_e32 v[6:7], v[42:43], v[38:39]
	v_dual_mov_b32 v9, v2 :: v_dual_mov_b32 v10, v2
	v_dual_mov_b32 v11, v2 :: v_dual_mov_b32 v12, v2
	;; [unrolled: 1-line block ×3, first 2 shown]
	global_load_u16 v3, v[4:5], off
	global_load_u16 v173, v[6:7], off
	s_wait_xcnt 0x0
	v_dual_mov_b32 v5, v2 :: v_dual_mov_b32 v6, v2
	v_dual_mov_b32 v7, v2 :: v_dual_mov_b32 v8, v2
	;; [unrolled: 1-line block ×12, first 2 shown]
	s_wait_loadcnt 0x1
	v_dual_mov_b32 v35, v2 :: v_dual_lshlrev_b32 v4, 16, v3
	s_wait_loadcnt 0x0
	v_lshlrev_b32_e32 v173, 16, v173
.LBB107_10:                             ;   in Loop: Header=BB107_5 Depth=1
	s_or_b32 exec_lo, exec_lo, s20
	v_add_nc_u64_e32 v[174:175], 1, v[168:169]
	v_mov_b32_e32 v3, 0
	s_delay_alu instid0(VALU_DEP_2) | instskip(SKIP_2) | instid1(SALU_CYCLE_1)
	v_cmp_gt_i64_e32 vcc_lo, s[4:5], v[174:175]
	v_mov_b32_e32 v174, 0
	s_and_b32 s34, s2, vcc_lo
	s_and_saveexec_b32 s20, s34
	s_cbranch_execz .LBB107_12
; %bb.11:                               ;   in Loop: Header=BB107_5 Depth=1
	v_add_nc_u64_e32 v[174:175], v[164:165], v[38:39]
	v_add_nc_u64_e32 v[176:177], v[166:167], v[38:39]
	global_load_u16 v5, v[174:175], off
	global_load_u16 v178, v[176:177], off
	s_wait_loadcnt 0x0
	v_dual_lshlrev_b32 v5, 16, v5 :: v_dual_lshlrev_b32 v174, 16, v178
.LBB107_12:                             ;   in Loop: Header=BB107_5 Depth=1
	s_or_b32 exec_lo, exec_lo, s20
	v_add_nc_u64_e32 v[176:177], 2, v[168:169]
	s_delay_alu instid0(VALU_DEP_1) | instskip(SKIP_1) | instid1(SALU_CYCLE_1)
	v_cmp_gt_i64_e32 vcc_lo, s[4:5], v[176:177]
	s_and_b32 s34, s2, vcc_lo
	s_and_saveexec_b32 s20, s34
	s_cbranch_execz .LBB107_14
; %bb.13:                               ;   in Loop: Header=BB107_5 Depth=1
	v_add_nc_u64_e32 v[176:177], v[160:161], v[38:39]
	v_add_nc_u64_e32 v[178:179], v[162:163], v[38:39]
	global_load_u16 v3, v[176:177], off
	global_load_u16 v175, v[178:179], off
	s_wait_loadcnt 0x1
	v_lshlrev_b32_e32 v6, 16, v3
	s_wait_loadcnt 0x0
	v_lshlrev_b32_e32 v3, 16, v175
.LBB107_14:                             ;   in Loop: Header=BB107_5 Depth=1
	s_or_b32 exec_lo, exec_lo, s20
	v_add_nc_u64_e32 v[176:177], 3, v[168:169]
	v_mov_b32_e32 v175, 0
	s_delay_alu instid0(VALU_DEP_2) | instskip(SKIP_2) | instid1(SALU_CYCLE_1)
	v_cmp_gt_i64_e32 vcc_lo, s[4:5], v[176:177]
	v_mov_b32_e32 v176, 0
	s_and_b32 s34, s2, vcc_lo
	s_and_saveexec_b32 s20, s34
	s_cbranch_execz .LBB107_16
; %bb.15:                               ;   in Loop: Header=BB107_5 Depth=1
	v_add_nc_u64_e32 v[176:177], v[156:157], v[38:39]
	v_add_nc_u64_e32 v[178:179], v[158:159], v[38:39]
	global_load_u16 v7, v[176:177], off
	global_load_u16 v180, v[178:179], off
	s_wait_loadcnt 0x0
	v_dual_lshlrev_b32 v7, 16, v7 :: v_dual_lshlrev_b32 v176, 16, v180
.LBB107_16:                             ;   in Loop: Header=BB107_5 Depth=1
	s_or_b32 exec_lo, exec_lo, s20
	v_add_nc_u64_e32 v[178:179], 4, v[168:169]
	s_delay_alu instid0(VALU_DEP_1) | instskip(SKIP_1) | instid1(SALU_CYCLE_1)
	v_cmp_gt_i64_e32 vcc_lo, s[4:5], v[178:179]
	s_and_b32 s34, s2, vcc_lo
	s_and_saveexec_b32 s20, s34
	s_cbranch_execz .LBB107_18
; %bb.17:                               ;   in Loop: Header=BB107_5 Depth=1
	v_add_nc_u64_e32 v[178:179], v[152:153], v[38:39]
	v_add_nc_u64_e32 v[180:181], v[154:155], v[38:39]
	global_load_u16 v8, v[178:179], off
	global_load_u16 v175, v[180:181], off
	s_wait_loadcnt 0x0
	v_dual_lshlrev_b32 v8, 16, v8 :: v_dual_lshlrev_b32 v175, 16, v175
.LBB107_18:                             ;   in Loop: Header=BB107_5 Depth=1
	s_or_b32 exec_lo, exec_lo, s20
	v_add_nc_u64_e32 v[178:179], 5, v[168:169]
	s_delay_alu instid0(VALU_DEP_1) | instskip(SKIP_2) | instid1(SALU_CYCLE_1)
	v_cmp_gt_i64_e32 vcc_lo, s[4:5], v[178:179]
	v_dual_mov_b32 v178, 0 :: v_dual_mov_b32 v179, 0
	s_and_b32 s34, s2, vcc_lo
	s_and_saveexec_b32 s20, s34
	s_cbranch_execz .LBB107_20
; %bb.19:                               ;   in Loop: Header=BB107_5 Depth=1
	v_add_nc_u64_e32 v[180:181], v[148:149], v[38:39]
	v_add_nc_u64_e32 v[182:183], v[150:151], v[38:39]
	global_load_u16 v9, v[180:181], off
	global_load_u16 v177, v[182:183], off
	s_wait_loadcnt 0x1
	v_lshlrev_b32_e32 v9, 16, v9
	s_wait_loadcnt 0x0
	v_lshlrev_b32_e32 v179, 16, v177
.LBB107_20:                             ;   in Loop: Header=BB107_5 Depth=1
	s_or_b32 exec_lo, exec_lo, s20
	v_add_nc_u64_e32 v[180:181], 6, v[168:169]
	s_delay_alu instid0(VALU_DEP_1) | instskip(SKIP_1) | instid1(SALU_CYCLE_1)
	v_cmp_gt_i64_e32 vcc_lo, s[4:5], v[180:181]
	s_and_b32 s34, s2, vcc_lo
	s_and_saveexec_b32 s20, s34
	s_cbranch_execz .LBB107_22
; %bb.21:                               ;   in Loop: Header=BB107_5 Depth=1
	v_add_nc_u64_e32 v[180:181], v[144:145], v[38:39]
	v_add_nc_u64_e32 v[182:183], v[146:147], v[38:39]
	global_load_u16 v10, v[180:181], off
	global_load_u16 v177, v[182:183], off
	s_wait_loadcnt 0x0
	v_dual_lshlrev_b32 v10, 16, v10 :: v_dual_lshlrev_b32 v178, 16, v177
.LBB107_22:                             ;   in Loop: Header=BB107_5 Depth=1
	s_or_b32 exec_lo, exec_lo, s20
	v_add_nc_u64_e32 v[180:181], 7, v[168:169]
	s_delay_alu instid0(VALU_DEP_1) | instskip(SKIP_2) | instid1(SALU_CYCLE_1)
	v_cmp_gt_i64_e32 vcc_lo, s[4:5], v[180:181]
	v_dual_mov_b32 v180, 0 :: v_dual_mov_b32 v181, 0
	s_and_b32 s34, s2, vcc_lo
	s_and_saveexec_b32 s20, s34
	s_cbranch_execz .LBB107_24
; %bb.23:                               ;   in Loop: Header=BB107_5 Depth=1
	v_add_nc_u64_e32 v[182:183], v[140:141], v[38:39]
	v_add_nc_u64_e32 v[184:185], v[142:143], v[38:39]
	global_load_u16 v11, v[182:183], off
	global_load_u16 v177, v[184:185], off
	s_wait_loadcnt 0x0
	v_dual_lshlrev_b32 v11, 16, v11 :: v_dual_lshlrev_b32 v181, 16, v177
.LBB107_24:                             ;   in Loop: Header=BB107_5 Depth=1
	s_or_b32 exec_lo, exec_lo, s20
	v_add_nc_u64_e32 v[182:183], 8, v[168:169]
	s_delay_alu instid0(VALU_DEP_1) | instskip(SKIP_1) | instid1(SALU_CYCLE_1)
	v_cmp_gt_i64_e32 vcc_lo, s[4:5], v[182:183]
	s_and_b32 s34, s2, vcc_lo
	s_and_saveexec_b32 s20, s34
	s_cbranch_execz .LBB107_26
; %bb.25:                               ;   in Loop: Header=BB107_5 Depth=1
	v_add_nc_u64_e32 v[182:183], v[136:137], v[38:39]
	v_add_nc_u64_e32 v[184:185], v[138:139], v[38:39]
	global_load_u16 v12, v[182:183], off
	global_load_u16 v177, v[184:185], off
	s_wait_loadcnt 0x0
	v_dual_lshlrev_b32 v12, 16, v12 :: v_dual_lshlrev_b32 v180, 16, v177
.LBB107_26:                             ;   in Loop: Header=BB107_5 Depth=1
	s_or_b32 exec_lo, exec_lo, s20
	v_add_nc_u64_e32 v[182:183], 9, v[168:169]
	s_delay_alu instid0(VALU_DEP_1) | instskip(SKIP_2) | instid1(SALU_CYCLE_1)
	v_cmp_gt_i64_e32 vcc_lo, s[4:5], v[182:183]
	v_dual_mov_b32 v182, 0 :: v_dual_mov_b32 v183, 0
	s_and_b32 s34, s2, vcc_lo
	s_and_saveexec_b32 s20, s34
	s_cbranch_execz .LBB107_28
; %bb.27:                               ;   in Loop: Header=BB107_5 Depth=1
	v_add_nc_u64_e32 v[184:185], v[132:133], v[38:39]
	v_add_nc_u64_e32 v[186:187], v[134:135], v[38:39]
	global_load_u16 v13, v[184:185], off
	global_load_u16 v177, v[186:187], off
	s_wait_loadcnt 0x1
	v_lshlrev_b32_e32 v13, 16, v13
	s_wait_loadcnt 0x0
	v_lshlrev_b32_e32 v183, 16, v177
.LBB107_28:                             ;   in Loop: Header=BB107_5 Depth=1
	s_or_b32 exec_lo, exec_lo, s20
	v_add_nc_u64_e32 v[184:185], 10, v[168:169]
	s_delay_alu instid0(VALU_DEP_1) | instskip(SKIP_1) | instid1(SALU_CYCLE_1)
	v_cmp_gt_i64_e32 vcc_lo, s[4:5], v[184:185]
	s_and_b32 s34, s2, vcc_lo
	s_and_saveexec_b32 s20, s34
	s_cbranch_execz .LBB107_30
; %bb.29:                               ;   in Loop: Header=BB107_5 Depth=1
	v_add_nc_u64_e32 v[184:185], v[128:129], v[38:39]
	v_add_nc_u64_e32 v[186:187], v[130:131], v[38:39]
	global_load_u16 v14, v[184:185], off
	global_load_u16 v177, v[186:187], off
	s_wait_loadcnt 0x0
	v_dual_lshlrev_b32 v14, 16, v14 :: v_dual_lshlrev_b32 v182, 16, v177
.LBB107_30:                             ;   in Loop: Header=BB107_5 Depth=1
	s_or_b32 exec_lo, exec_lo, s20
	v_add_nc_u64_e32 v[184:185], 11, v[168:169]
	s_delay_alu instid0(VALU_DEP_1) | instskip(SKIP_2) | instid1(SALU_CYCLE_1)
	v_cmp_gt_i64_e32 vcc_lo, s[4:5], v[184:185]
	v_dual_mov_b32 v184, 0 :: v_dual_mov_b32 v185, 0
	;; [unrolled: 64-line block ×6, first 2 shown]
	s_and_b32 s34, s2, vcc_lo
	s_and_saveexec_b32 s20, s34
	s_cbranch_execz .LBB107_64
; %bb.63:                               ;   in Loop: Header=BB107_5 Depth=1
	v_add_nc_u64_e32 v[202:203], v[60:61], v[38:39]
	v_add_nc_u64_e32 v[204:205], v[62:63], v[38:39]
	global_load_u16 v31, v[202:203], off
	global_load_u16 v177, v[204:205], off
	s_wait_loadcnt 0x0
	v_dual_lshlrev_b32 v31, 16, v31 :: v_dual_lshlrev_b32 v201, 16, v177
.LBB107_64:                             ;   in Loop: Header=BB107_5 Depth=1
	s_or_b32 exec_lo, exec_lo, s20
	v_add_nc_u64_e32 v[202:203], 28, v[168:169]
	s_delay_alu instid0(VALU_DEP_1) | instskip(SKIP_1) | instid1(SALU_CYCLE_1)
	v_cmp_gt_i64_e32 vcc_lo, s[4:5], v[202:203]
	s_and_b32 s34, s2, vcc_lo
	s_and_saveexec_b32 s20, s34
	s_cbranch_execz .LBB107_66
; %bb.65:                               ;   in Loop: Header=BB107_5 Depth=1
	v_add_nc_u64_e32 v[202:203], v[56:57], v[38:39]
	v_add_nc_u64_e32 v[204:205], v[58:59], v[38:39]
	global_load_u16 v32, v[202:203], off
	global_load_u16 v177, v[204:205], off
	s_wait_loadcnt 0x0
	v_dual_lshlrev_b32 v32, 16, v32 :: v_dual_lshlrev_b32 v200, 16, v177
.LBB107_66:                             ;   in Loop: Header=BB107_5 Depth=1
	s_or_b32 exec_lo, exec_lo, s20
	v_add_nc_u64_e32 v[202:203], 29, v[168:169]
	s_delay_alu instid0(VALU_DEP_1) | instskip(SKIP_2) | instid1(SALU_CYCLE_1)
	v_cmp_gt_i64_e32 vcc_lo, s[4:5], v[202:203]
	v_dual_mov_b32 v202, 0 :: v_dual_mov_b32 v203, 0
	s_and_b32 s34, s2, vcc_lo
	s_and_saveexec_b32 s20, s34
	s_cbranch_execz .LBB107_68
; %bb.67:                               ;   in Loop: Header=BB107_5 Depth=1
	v_add_nc_u64_e32 v[204:205], v[52:53], v[38:39]
	v_add_nc_u64_e32 v[206:207], v[54:55], v[38:39]
	global_load_u16 v33, v[204:205], off
	global_load_u16 v177, v[206:207], off
	s_wait_loadcnt 0x1
	v_lshlrev_b32_e32 v33, 16, v33
	s_wait_loadcnt 0x0
	v_lshlrev_b32_e32 v203, 16, v177
.LBB107_68:                             ;   in Loop: Header=BB107_5 Depth=1
	s_or_b32 exec_lo, exec_lo, s20
	v_add_nc_u64_e32 v[204:205], 30, v[168:169]
	s_delay_alu instid0(VALU_DEP_1) | instskip(SKIP_1) | instid1(SALU_CYCLE_1)
	v_cmp_gt_i64_e32 vcc_lo, s[4:5], v[204:205]
	s_and_b32 s34, s2, vcc_lo
	s_and_saveexec_b32 s20, s34
	s_cbranch_execz .LBB107_70
; %bb.69:                               ;   in Loop: Header=BB107_5 Depth=1
	v_add_nc_u64_e32 v[204:205], v[48:49], v[38:39]
	v_add_nc_u64_e32 v[206:207], v[50:51], v[38:39]
	global_load_u16 v34, v[204:205], off
	global_load_u16 v177, v[206:207], off
	s_wait_loadcnt 0x0
	v_dual_lshlrev_b32 v34, 16, v34 :: v_dual_lshlrev_b32 v202, 16, v177
.LBB107_70:                             ;   in Loop: Header=BB107_5 Depth=1
	s_or_b32 exec_lo, exec_lo, s20
	v_add_nc_u64_e32 v[204:205], 31, v[168:169]
	v_mov_b32_e32 v177, 0
	s_delay_alu instid0(VALU_DEP_2) | instskip(SKIP_1) | instid1(SALU_CYCLE_1)
	v_cmp_gt_i64_e32 vcc_lo, s[4:5], v[204:205]
	s_and_b32 s34, s2, vcc_lo
	s_and_saveexec_b32 s20, s34
	s_cbranch_execz .LBB107_72
; %bb.71:                               ;   in Loop: Header=BB107_5 Depth=1
	v_add_nc_u64_e32 v[204:205], v[44:45], v[38:39]
	v_add_nc_u64_e32 v[206:207], v[46:47], v[38:39]
	global_load_u16 v35, v[204:205], off
	global_load_u16 v177, v[206:207], off
	s_wait_loadcnt 0x0
	v_dual_lshlrev_b32 v35, 16, v35 :: v_dual_lshlrev_b32 v177, 16, v177
.LBB107_72:                             ;   in Loop: Header=BB107_5 Depth=1
	s_or_b32 exec_lo, exec_lo, s20
	s_wait_loadcnt 0x1
	ds_bpermute_b32 v204, v2, v170
	ds_bpermute_b32 v206, v2, v170 offset:4
	s_wait_loadcnt 0x0
	ds_bpermute_b32 v205, v2, v171
	ds_bpermute_b32 v209, v2, v170 offset:8
	ds_bpermute_b32 v207, v2, v171 offset:4
	;; [unrolled: 1-line block ×17, first 2 shown]
	s_wait_dscnt 0x13
	v_dual_sub_f32 v173, v173, v204 :: v_dual_mov_b32 v204, v4
	s_wait_dscnt 0x12
	v_sub_f32_e32 v206, v174, v206
	ds_bpermute_b32 v222, v2, v171 offset:36
	ds_bpermute_b32 v224, v2, v171 offset:40
	v_dual_mul_f32 v173, v4, v173 :: v_dual_mov_b32 v4, v5
	s_wait_dscnt 0x12
	v_dual_mov_b32 v174, v6 :: v_dual_sub_f32 v3, v3, v209
	v_mul_f32_e32 v5, v5, v206
	s_delay_alu instid0(VALU_DEP_3) | instskip(SKIP_3) | instid1(VALU_DEP_2)
	v_dual_mul_f32 v205, v173, v205 :: v_dual_mov_b32 v206, v7
	s_wait_dscnt 0xf
	v_dual_sub_f32 v173, v176, v211 :: v_dual_sub_f32 v176, v175, v213
	v_dual_mul_f32 v3, v6, v3 :: v_dual_mov_b32 v6, v8
	v_dual_mul_f32 v5, v5, v207 :: v_dual_mul_f32 v7, v7, v173
	s_set_vgpr_msb 1                        ;  msbs: dst=0 src0=1 src1=0 src2=0
	v_pk_add_f32 v[204:205], v[36:37] /*v[292:293]*/, v[204:205]
	s_wait_dscnt 0xe
	s_set_vgpr_msb 0                        ;  msbs: dst=0 src0=0 src1=0 src2=0
	v_mul_f32_e32 v175, v3, v208
	s_wait_dscnt 0xc
	v_dual_sub_f32 v3, v179, v215 :: v_dual_mul_f32 v173, v8, v176
	v_dual_mul_f32 v207, v7, v210 :: v_dual_mov_b32 v8, v10
	v_pk_add_f32 v[4:5], v[4:5], v[204:205]
	s_delay_alu instid0(VALU_DEP_3)
	v_dual_mov_b32 v204, v9 :: v_dual_mul_f32 v3, v9, v3
	s_wait_dscnt 0x8
	v_sub_f32_e32 v9, v181, v219
	ds_bpermute_b32 v176, v2, v171 offset:48
	v_pk_add_f32 v[4:5], v[174:175], v[4:5]
	v_dual_sub_f32 v174, v178, v217 :: v_dual_mul_f32 v7, v173, v212
	s_wait_dscnt 0x8
	v_dual_mul_f32 v205, v3, v214 :: v_dual_sub_f32 v3, v180, v221
	s_delay_alu instid0(VALU_DEP_3) | instskip(NEXT) | instid1(VALU_DEP_3)
	v_pk_add_f32 v[4:5], v[206:207], v[4:5]
	v_mul_f32_e32 v10, v10, v174
	ds_bpermute_b32 v173, v2, v170 offset:44
	ds_bpermute_b32 v175, v2, v170 offset:48
	s_mov_b32 s20, 0
	v_pk_add_f32 v[4:5], v[6:7], v[4:5]
	s_wait_dscnt 0x9
	v_sub_f32_e32 v6, v183, v223
	s_wait_dscnt 0x8
	v_dual_mul_f32 v7, v11, v9 :: v_dual_mul_f32 v9, v10, v216
	s_wait_dscnt 0x7
	v_dual_sub_f32 v10, v182, v225 :: v_dual_mul_f32 v3, v12, v3
	v_pk_add_f32 v[4:5], v[204:205], v[4:5]
	v_dual_mul_f32 v174, v13, v6 :: v_dual_mov_b32 v6, v11
	s_wait_dscnt 0x6
	v_mul_f32_e32 v7, v7, v218
	s_delay_alu instid0(VALU_DEP_3)
	v_pk_add_f32 v[4:5], v[8:9], v[4:5]
	s_wait_dscnt 0x4
	v_dual_mul_f32 v9, v3, v220 :: v_dual_mul_f32 v11, v174, v222
	v_mov_b32_e32 v8, v12
	ds_bpermute_b32 v12, v2, v170 offset:52
	ds_bpermute_b32 v174, v2, v170 offset:56
	v_dual_mul_f32 v3, v14, v10 :: v_dual_mov_b32 v10, v13
	v_pk_add_f32 v[4:5], v[6:7], v[4:5]
	ds_bpermute_b32 v13, v2, v171 offset:44
	s_wait_dscnt 0x6
	v_dual_mov_b32 v6, v14 :: v_dual_mul_f32 v7, v3, v224
	ds_bpermute_b32 v3, v2, v170 offset:60
	v_pk_add_f32 v[4:5], v[8:9], v[4:5]
	s_wait_dscnt 0x5
	v_sub_f32_e32 v8, v185, v173
	ds_bpermute_b32 v14, v2, v170 offset:64
	s_wait_dscnt 0x5
	v_sub_f32_e32 v9, v184, v175
	ds_bpermute_b32 v175, v2, v170 offset:72
	v_pk_add_f32 v[4:5], v[10:11], v[4:5]
	ds_bpermute_b32 v10, v2, v171 offset:52
	ds_bpermute_b32 v11, v2, v171 offset:56
	v_dual_mul_f32 v8, v15, v8 :: v_dual_mul_f32 v9, v16, v9
	v_pk_add_f32 v[4:5], v[6:7], v[4:5]
	s_wait_dscnt 0x6
	v_dual_sub_f32 v12, v187, v12 :: v_dual_sub_f32 v173, v186, v174
	v_mov_b32_e32 v6, v15
	ds_bpermute_b32 v15, v2, v171 offset:64
	s_wait_dscnt 0x6
	v_dual_mul_f32 v9, v9, v176 :: v_dual_mul_f32 v7, v8, v13
	v_dual_mul_f32 v12, v17, v12 :: v_dual_mul_f32 v13, v18, v173
	ds_bpermute_b32 v173, v2, v171 offset:60
	ds_bpermute_b32 v174, v2, v170 offset:68
	s_wait_dscnt 0x7
	v_sub_f32_e32 v3, v189, v3
	v_pk_add_f32 v[4:5], v[6:7], v[4:5]
	v_dual_mov_b32 v8, v16 :: v_dual_mov_b32 v6, v17
	ds_bpermute_b32 v16, v2, v170 offset:80
	s_wait_dscnt 0x5
	v_dual_mul_f32 v7, v12, v10 :: v_dual_mul_f32 v3, v19, v3
	s_wait_dscnt 0x4
	v_dual_mul_f32 v11, v13, v11 :: v_dual_sub_f32 v10, v188, v14
	v_pk_add_f32 v[4:5], v[8:9], v[4:5]
	ds_bpermute_b32 v12, v2, v170 offset:76
	ds_bpermute_b32 v13, v2, v171 offset:68
	;; [unrolled: 1-line block ×3, first 2 shown]
	v_dual_mul_f32 v8, v20, v10 :: v_dual_mov_b32 v10, v18
	v_pk_add_f32 v[4:5], v[6:7], v[4:5]
	ds_bpermute_b32 v17, v2, v171 offset:80
	ds_bpermute_b32 v18, v2, v170 offset:116
	s_wait_dscnt 0x7
	v_dual_mul_f32 v7, v3, v173 :: v_dual_mul_f32 v9, v8, v15
	v_pk_add_f32 v[4:5], v[10:11], v[4:5]
	ds_bpermute_b32 v11, v2, v171 offset:76
	ds_bpermute_b32 v15, v2, v170 offset:84
	s_wait_dscnt 0x8
	v_dual_sub_f32 v3, v191, v174 :: v_dual_sub_f32 v10, v190, v175
	v_dual_mov_b32 v6, v19 :: v_dual_mov_b32 v8, v20
	s_delay_alu instid0(VALU_DEP_2) | instskip(NEXT) | instid1(VALU_DEP_2)
	v_dual_mul_f32 v3, v21, v3 :: v_dual_mul_f32 v10, v22, v10
	v_pk_add_f32 v[4:5], v[6:7], v[4:5]
	s_wait_dscnt 0x6
	v_sub_f32_e32 v12, v193, v12
	s_wait_dscnt 0x5
	v_dual_mov_b32 v6, v21 :: v_dual_mul_f32 v7, v3, v13
	ds_bpermute_b32 v13, v2, v170 offset:88
	v_pk_add_f32 v[4:5], v[8:9], v[4:5]
	s_wait_dscnt 0x5
	v_dual_mul_f32 v9, v10, v14 :: v_dual_mul_f32 v3, v23, v12
	v_dual_mov_b32 v8, v22 :: v_dual_sub_f32 v10, v192, v16
	ds_bpermute_b32 v12, v2, v171 offset:84
	ds_bpermute_b32 v14, v2, v170 offset:92
	v_pk_add_f32 v[4:5], v[6:7], v[4:5]
	s_wait_dscnt 0x4
	v_dual_mul_f32 v7, v3, v11 :: v_dual_mul_f32 v3, v24, v10
	s_wait_dscnt 0x3
	v_sub_f32_e32 v10, v195, v15
	ds_bpermute_b32 v11, v2, v170 offset:96
	v_pk_add_f32 v[4:5], v[8:9], v[4:5]
	v_mov_b32_e32 v6, v23
	v_dual_mul_f32 v9, v3, v17 :: v_dual_mov_b32 v8, v24
	v_mul_f32_e32 v3, v25, v10
	ds_bpermute_b32 v10, v2, v171 offset:88
	ds_bpermute_b32 v15, v2, v171 offset:92
	;; [unrolled: 1-line block ×3, first 2 shown]
	v_pk_add_f32 v[4:5], v[6:7], v[4:5]
	ds_bpermute_b32 v17, v2, v170 offset:108
	s_wait_dscnt 0x6
	v_dual_mul_f32 v7, v3, v12 :: v_dual_sub_f32 v3, v194, v13
	v_pk_add_f32 v[4:5], v[8:9], v[4:5]
	s_wait_dscnt 0x5
	v_sub_f32_e32 v8, v197, v14
	ds_bpermute_b32 v12, v2, v171 offset:96
	ds_bpermute_b32 v13, v2, v170 offset:104
	;; [unrolled: 1-line block ×3, first 2 shown]
	v_dual_mul_f32 v3, v26, v3 :: v_dual_mov_b32 v6, v25
	s_wait_dscnt 0x7
	v_dual_mul_f32 v8, v27, v8 :: v_dual_sub_f32 v11, v196, v11
	s_delay_alu instid0(VALU_DEP_2) | instskip(SKIP_1) | instid1(VALU_DEP_2)
	v_pk_add_f32 v[4:5], v[6:7], v[4:5]
	s_wait_dscnt 0x5
	v_dual_mul_f32 v7, v3, v10 :: v_dual_mul_f32 v9, v8, v15
	s_delay_alu instid0(VALU_DEP_3)
	v_dual_mov_b32 v6, v26 :: v_dual_mul_f32 v3, v28, v11
	s_wait_dscnt 0x4
	v_sub_f32_e32 v10, v199, v16
	ds_bpermute_b32 v11, v2, v170 offset:112
	ds_bpermute_b32 v15, v2, v171 offset:104
	;; [unrolled: 1-line block ×3, first 2 shown]
	v_pk_add_f32 v[4:5], v[6:7], v[4:5]
	v_dual_mov_b32 v8, v27 :: v_dual_mul_f32 v10, v29, v10
	s_wait_dscnt 0x4
	v_dual_mul_f32 v7, v3, v12 :: v_dual_sub_f32 v3, v198, v13
	v_mov_b32_e32 v6, v28
	s_delay_alu instid0(VALU_DEP_3)
	v_pk_add_f32 v[4:5], v[8:9], v[4:5]
	s_wait_dscnt 0x3
	v_mul_f32_e32 v9, v10, v14
	ds_bpermute_b32 v10, v2, v171 offset:112
	v_dual_sub_f32 v12, v201, v17 :: v_dual_mul_f32 v3, v30, v3
	ds_bpermute_b32 v13, v2, v170 offset:120
	v_pk_add_f32 v[4:5], v[6:7], v[4:5]
	v_dual_mov_b32 v8, v29 :: v_dual_mul_f32 v12, v31, v12
	ds_bpermute_b32 v14, v2, v171 offset:116
	s_wait_dscnt 0x5
	v_dual_mov_b32 v6, v30 :: v_dual_sub_f32 v11, v200, v11
	s_wait_dscnt 0x4
	v_mul_f32_e32 v7, v3, v15
	v_pk_add_f32 v[4:5], v[8:9], v[4:5]
	s_wait_dscnt 0x3
	v_mul_f32_e32 v9, v12, v16
	ds_bpermute_b32 v12, v2, v171 offset:120
	v_dual_mul_f32 v3, v32, v11 :: v_dual_sub_f32 v11, v203, v18
	v_pk_add_f32 v[4:5], v[6:7], v[4:5]
	v_dual_mov_b32 v8, v31 :: v_dual_mov_b32 v6, v32
	s_wait_dscnt 0x3
	s_delay_alu instid0(VALU_DEP_3) | instskip(NEXT) | instid1(VALU_DEP_2)
	v_dual_mul_f32 v7, v3, v10 :: v_dual_mul_f32 v10, v33, v11
	v_pk_add_f32 v[8:9], v[8:9], v[4:5]
	s_wait_dscnt 0x2
	v_sub_f32_e32 v5, v202, v13
	ds_bpermute_b32 v3, v2, v171 offset:124
	ds_bpermute_b32 v4, v2, v170 offset:124
	s_wait_dscnt 0x3
	v_mul_f32_e32 v11, v10, v14
	v_pk_add_f32 v[6:7], v[6:7], v[8:9]
	v_dual_mov_b32 v10, v33 :: v_dual_mul_f32 v5, v34, v5
	s_wait_dscnt 0x2
	s_delay_alu instid0(VALU_DEP_1) | instskip(NEXT) | instid1(VALU_DEP_2)
	v_dual_mov_b32 v8, v34 :: v_dual_mul_f32 v9, v5, v12
	v_pk_add_f32 v[6:7], v[10:11], v[6:7]
	s_delay_alu instid0(VALU_DEP_1)
	v_pk_add_f32 v[170:171], v[8:9], v[6:7]
.LBB107_73:                             ;   in Loop: Header=BB107_5 Depth=1
	s_and_b32 vcc_lo, exec_lo, s20
	s_cbranch_vccz .LBB107_4
; %bb.74:                               ;   in Loop: Header=BB107_5 Depth=1
	s_load_b32 s20, s[22:23], 0x0
	v_mov_b32_e32 v170, 0
	s_wait_kmcnt 0x0
	s_cmp_lt_u32 s16, s20
	s_cselect_b32 s20, 12, 18
	s_delay_alu instid0(SALU_CYCLE_1)
	s_add_nc_u64 s[34:35], s[22:23], s[20:21]
	s_load_u16 s20, s[34:35], 0x0
	s_wait_dscnt 0x1
	s_wait_kmcnt 0x0
	v_mad_u32_u24 v3, v1, s20, v172
	v_mov_b32_e32 v5, v2
	s_mov_b32 s20, exec_lo
	s_wait_dscnt 0x0
	s_delay_alu instid0(VALU_DEP_2) | instskip(NEXT) | instid1(VALU_DEP_1)
	v_and_b32_e32 v4, 31, v3
	v_add_nc_u64_e32 v[4:5], v[168:169], v[4:5]
	v_dual_mov_b32 v169, 0 :: v_dual_mov_b32 v168, 0
	s_delay_alu instid0(VALU_DEP_2)
	v_cmpx_gt_i64_e64 s[4:5], v[4:5]
	s_cbranch_execz .LBB107_76
; %bb.75:                               ;   in Loop: Header=BB107_5 Depth=1
	v_lshlrev_b64_e32 v[4:5], 2, v[4:5]
	s_delay_alu instid0(VALU_DEP_1)
	v_add_nc_u64_e32 v[6:7], s[12:13], v[4:5]
	v_add_nc_u64_e32 v[4:5], s[14:15], v[4:5]
	global_load_b32 v168, v[6:7], off
	global_load_b32 v169, v[4:5], off
.LBB107_76:                             ;   in Loop: Header=BB107_5 Depth=1
	s_wait_xcnt 0x0
	s_or_b32 exec_lo, exec_lo, s20
	v_dual_mov_b32 v31, v2 :: v_dual_mov_b32 v32, v2
	v_dual_mov_b32 v33, v2 :: v_dual_mov_b32 v3, v2
	;; [unrolled: 1-line block ×15, first 2 shown]
	v_mov_b32_e32 v30, v2
	v_mov_b64_e32 v[34:35], v[32:33]
	s_delay_alu instid0(VALU_DEP_2) | instskip(NEXT) | instid1(VALU_DEP_4)
	v_mov_b64_e32 v[32:33], v[30:31]
	v_mov_b64_e32 v[30:31], v[28:29]
	;; [unrolled: 1-line block ×15, first 2 shown]
	s_and_saveexec_b32 s20, s2
	s_cbranch_execz .LBB107_78
; %bb.77:                               ;   in Loop: Header=BB107_5 Depth=1
	v_add_nc_u64_e32 v[4:5], v[40:41], v[38:39]
	v_add_nc_u64_e32 v[6:7], v[42:43], v[38:39]
	v_dual_mov_b32 v9, v2 :: v_dual_mov_b32 v10, v2
	v_dual_mov_b32 v11, v2 :: v_dual_mov_b32 v12, v2
	;; [unrolled: 1-line block ×3, first 2 shown]
	global_load_u16 v3, v[4:5], off
	global_load_u16 v170, v[6:7], off
	s_wait_xcnt 0x0
	v_dual_mov_b32 v5, v2 :: v_dual_mov_b32 v6, v2
	v_dual_mov_b32 v7, v2 :: v_dual_mov_b32 v8, v2
	;; [unrolled: 1-line block ×12, first 2 shown]
	s_wait_loadcnt 0x1
	v_dual_mov_b32 v35, v2 :: v_dual_lshlrev_b32 v4, 16, v3
	s_wait_loadcnt 0x0
	v_lshlrev_b32_e32 v170, 16, v170
.LBB107_78:                             ;   in Loop: Header=BB107_5 Depth=1
	s_or_b32 exec_lo, exec_lo, s20
	v_dual_mov_b32 v3, 0 :: v_dual_mov_b32 v171, 0
	s_and_saveexec_b32 s20, s2
	s_cbranch_execz .LBB107_80
; %bb.79:                               ;   in Loop: Header=BB107_5 Depth=1
	v_add_nc_u64_e32 v[174:175], v[164:165], v[38:39]
	v_add_nc_u64_e32 v[176:177], v[166:167], v[38:39]
	global_load_u16 v5, v[174:175], off
	global_load_u16 v171, v[176:177], off
	s_wait_loadcnt 0x0
	v_dual_lshlrev_b32 v5, 16, v5 :: v_dual_lshlrev_b32 v171, 16, v171
.LBB107_80:                             ;   in Loop: Header=BB107_5 Depth=1
	s_or_b32 exec_lo, exec_lo, s20
	s_and_saveexec_b32 s20, s2
	s_cbranch_execz .LBB107_82
; %bb.81:                               ;   in Loop: Header=BB107_5 Depth=1
	v_add_nc_u64_e32 v[174:175], v[160:161], v[38:39]
	v_add_nc_u64_e32 v[176:177], v[162:163], v[38:39]
	global_load_u16 v3, v[174:175], off
	global_load_u16 v173, v[176:177], off
	s_wait_loadcnt 0x0
	v_dual_lshlrev_b32 v6, 16, v3 :: v_dual_lshlrev_b32 v3, 16, v173
.LBB107_82:                             ;   in Loop: Header=BB107_5 Depth=1
	s_or_b32 exec_lo, exec_lo, s20
	v_dual_mov_b32 v173, 0 :: v_dual_mov_b32 v174, 0
	s_and_saveexec_b32 s20, s2
	s_cbranch_execz .LBB107_84
; %bb.83:                               ;   in Loop: Header=BB107_5 Depth=1
	v_add_nc_u64_e32 v[174:175], v[156:157], v[38:39]
	v_add_nc_u64_e32 v[176:177], v[158:159], v[38:39]
	global_load_u16 v7, v[174:175], off
	global_load_u16 v178, v[176:177], off
	s_wait_loadcnt 0x0
	v_dual_lshlrev_b32 v7, 16, v7 :: v_dual_lshlrev_b32 v174, 16, v178
.LBB107_84:                             ;   in Loop: Header=BB107_5 Depth=1
	s_or_b32 exec_lo, exec_lo, s20
	s_and_saveexec_b32 s20, s2
	s_cbranch_execz .LBB107_86
; %bb.85:                               ;   in Loop: Header=BB107_5 Depth=1
	v_add_nc_u64_e32 v[176:177], v[152:153], v[38:39]
	v_add_nc_u64_e32 v[178:179], v[154:155], v[38:39]
	global_load_u16 v8, v[176:177], off
	global_load_u16 v173, v[178:179], off
	s_wait_loadcnt 0x0
	v_dual_lshlrev_b32 v8, 16, v8 :: v_dual_lshlrev_b32 v173, 16, v173
.LBB107_86:                             ;   in Loop: Header=BB107_5 Depth=1
	;; [unrolled: 23-line block ×4, first 2 shown]
	s_or_b32 exec_lo, exec_lo, s20
	v_dual_mov_b32 v180, 0 :: v_dual_mov_b32 v181, 0
	s_and_saveexec_b32 s20, s2
	s_cbranch_execz .LBB107_96
; %bb.95:                               ;   in Loop: Header=BB107_5 Depth=1
	v_add_nc_u64_e32 v[182:183], v[132:133], v[38:39]
	v_add_nc_u64_e32 v[184:185], v[134:135], v[38:39]
	global_load_u16 v13, v[182:183], off
	global_load_u16 v177, v[184:185], off
	s_wait_loadcnt 0x1
	v_lshlrev_b32_e32 v13, 16, v13
	s_wait_loadcnt 0x0
	v_lshlrev_b32_e32 v181, 16, v177
.LBB107_96:                             ;   in Loop: Header=BB107_5 Depth=1
	s_or_b32 exec_lo, exec_lo, s20
	s_and_saveexec_b32 s20, s2
	s_cbranch_execz .LBB107_98
; %bb.97:                               ;   in Loop: Header=BB107_5 Depth=1
	v_add_nc_u64_e32 v[182:183], v[128:129], v[38:39]
	v_add_nc_u64_e32 v[184:185], v[130:131], v[38:39]
	global_load_u16 v14, v[182:183], off
	global_load_u16 v177, v[184:185], off
	s_wait_loadcnt 0x0
	v_dual_lshlrev_b32 v14, 16, v14 :: v_dual_lshlrev_b32 v180, 16, v177
.LBB107_98:                             ;   in Loop: Header=BB107_5 Depth=1
	s_or_b32 exec_lo, exec_lo, s20
	v_dual_mov_b32 v182, 0 :: v_dual_mov_b32 v183, 0
	s_and_saveexec_b32 s20, s2
	s_cbranch_execz .LBB107_100
; %bb.99:                               ;   in Loop: Header=BB107_5 Depth=1
	v_add_nc_u64_e32 v[184:185], v[124:125], v[38:39]
	v_add_nc_u64_e32 v[186:187], v[126:127], v[38:39]
	global_load_u16 v15, v[184:185], off
	global_load_u16 v177, v[186:187], off
	s_wait_loadcnt 0x0
	v_dual_lshlrev_b32 v15, 16, v15 :: v_dual_lshlrev_b32 v183, 16, v177
.LBB107_100:                            ;   in Loop: Header=BB107_5 Depth=1
	s_or_b32 exec_lo, exec_lo, s20
	s_and_saveexec_b32 s20, s2
	s_cbranch_execz .LBB107_102
; %bb.101:                              ;   in Loop: Header=BB107_5 Depth=1
	v_add_nc_u64_e32 v[184:185], v[120:121], v[38:39]
	v_add_nc_u64_e32 v[186:187], v[122:123], v[38:39]
	global_load_u16 v16, v[184:185], off
	global_load_u16 v177, v[186:187], off
	s_wait_loadcnt 0x0
	v_dual_lshlrev_b32 v16, 16, v16 :: v_dual_lshlrev_b32 v182, 16, v177
.LBB107_102:                            ;   in Loop: Header=BB107_5 Depth=1
	s_or_b32 exec_lo, exec_lo, s20
	v_dual_mov_b32 v184, 0 :: v_dual_mov_b32 v185, 0
	s_and_saveexec_b32 s20, s2
	s_cbranch_execz .LBB107_104
; %bb.103:                              ;   in Loop: Header=BB107_5 Depth=1
	v_add_nc_u64_e32 v[186:187], v[116:117], v[38:39]
	v_add_nc_u64_e32 v[188:189], v[118:119], v[38:39]
	global_load_u16 v17, v[186:187], off
	global_load_u16 v177, v[188:189], off
	s_wait_loadcnt 0x1
	v_lshlrev_b32_e32 v17, 16, v17
	s_wait_loadcnt 0x0
	v_lshlrev_b32_e32 v185, 16, v177
.LBB107_104:                            ;   in Loop: Header=BB107_5 Depth=1
	s_or_b32 exec_lo, exec_lo, s20
	s_and_saveexec_b32 s20, s2
	s_cbranch_execz .LBB107_106
; %bb.105:                              ;   in Loop: Header=BB107_5 Depth=1
	v_add_nc_u64_e32 v[186:187], v[112:113], v[38:39]
	v_add_nc_u64_e32 v[188:189], v[114:115], v[38:39]
	global_load_u16 v18, v[186:187], off
	global_load_u16 v177, v[188:189], off
	s_wait_loadcnt 0x0
	v_dual_lshlrev_b32 v18, 16, v18 :: v_dual_lshlrev_b32 v184, 16, v177
.LBB107_106:                            ;   in Loop: Header=BB107_5 Depth=1
	s_or_b32 exec_lo, exec_lo, s20
	v_dual_mov_b32 v186, 0 :: v_dual_mov_b32 v187, 0
	s_and_saveexec_b32 s20, s2
	s_cbranch_execz .LBB107_108
; %bb.107:                              ;   in Loop: Header=BB107_5 Depth=1
	v_add_nc_u64_e32 v[188:189], v[108:109], v[38:39]
	v_add_nc_u64_e32 v[190:191], v[110:111], v[38:39]
	global_load_u16 v19, v[188:189], off
	global_load_u16 v177, v[190:191], off
	s_wait_loadcnt 0x0
	v_dual_lshlrev_b32 v19, 16, v19 :: v_dual_lshlrev_b32 v187, 16, v177
.LBB107_108:                            ;   in Loop: Header=BB107_5 Depth=1
	s_or_b32 exec_lo, exec_lo, s20
	s_and_saveexec_b32 s20, s2
	s_cbranch_execz .LBB107_110
; %bb.109:                              ;   in Loop: Header=BB107_5 Depth=1
	v_add_nc_u64_e32 v[188:189], v[104:105], v[38:39]
	v_add_nc_u64_e32 v[190:191], v[106:107], v[38:39]
	global_load_u16 v20, v[188:189], off
	global_load_u16 v177, v[190:191], off
	s_wait_loadcnt 0x0
	v_dual_lshlrev_b32 v20, 16, v20 :: v_dual_lshlrev_b32 v186, 16, v177
.LBB107_110:                            ;   in Loop: Header=BB107_5 Depth=1
	s_or_b32 exec_lo, exec_lo, s20
	v_dual_mov_b32 v188, 0 :: v_dual_mov_b32 v189, 0
	s_and_saveexec_b32 s20, s2
	s_cbranch_execz .LBB107_112
; %bb.111:                              ;   in Loop: Header=BB107_5 Depth=1
	v_add_nc_u64_e32 v[190:191], v[100:101], v[38:39]
	v_add_nc_u64_e32 v[192:193], v[102:103], v[38:39]
	global_load_u16 v21, v[190:191], off
	global_load_u16 v177, v[192:193], off
	s_wait_loadcnt 0x1
	v_lshlrev_b32_e32 v21, 16, v21
	s_wait_loadcnt 0x0
	v_lshlrev_b32_e32 v189, 16, v177
.LBB107_112:                            ;   in Loop: Header=BB107_5 Depth=1
	s_or_b32 exec_lo, exec_lo, s20
	s_and_saveexec_b32 s20, s2
	s_cbranch_execz .LBB107_114
; %bb.113:                              ;   in Loop: Header=BB107_5 Depth=1
	v_add_nc_u64_e32 v[190:191], v[96:97], v[38:39]
	v_add_nc_u64_e32 v[192:193], v[98:99], v[38:39]
	global_load_u16 v22, v[190:191], off
	global_load_u16 v177, v[192:193], off
	s_wait_loadcnt 0x0
	v_dual_lshlrev_b32 v22, 16, v22 :: v_dual_lshlrev_b32 v188, 16, v177
.LBB107_114:                            ;   in Loop: Header=BB107_5 Depth=1
	s_or_b32 exec_lo, exec_lo, s20
	v_dual_mov_b32 v190, 0 :: v_dual_mov_b32 v192, 0
	s_and_saveexec_b32 s20, s2
	s_cbranch_execz .LBB107_116
; %bb.115:                              ;   in Loop: Header=BB107_5 Depth=1
	v_add_nc_u64_e32 v[192:193], v[92:93], v[38:39]
	v_add_nc_u64_e32 v[194:195], v[94:95], v[38:39]
	global_load_u16 v23, v[192:193], off
	global_load_u16 v177, v[194:195], off
	s_wait_loadcnt 0x0
	v_dual_lshlrev_b32 v23, 16, v23 :: v_dual_lshlrev_b32 v192, 16, v177
.LBB107_116:                            ;   in Loop: Header=BB107_5 Depth=1
	;; [unrolled: 48-line block ×4, first 2 shown]
	s_or_b32 exec_lo, exec_lo, s20
	s_and_saveexec_b32 s20, s2
	s_cbranch_execz .LBB107_134
; %bb.133:                              ;   in Loop: Header=BB107_5 Depth=1
	v_add_nc_u64_e32 v[200:201], v[56:57], v[38:39]
	v_add_nc_u64_e32 v[202:203], v[58:59], v[38:39]
	global_load_u16 v32, v[200:201], off
	global_load_u16 v177, v[202:203], off
	s_wait_loadcnt 0x0
	v_dual_lshlrev_b32 v32, 16, v32 :: v_dual_lshlrev_b32 v198, 16, v177
.LBB107_134:                            ;   in Loop: Header=BB107_5 Depth=1
	s_or_b32 exec_lo, exec_lo, s20
	v_dual_mov_b32 v200, 0 :: v_dual_mov_b32 v201, 0
	s_and_saveexec_b32 s20, s2
	s_cbranch_execnz .LBB107_137
; %bb.135:                              ;   in Loop: Header=BB107_5 Depth=1
	s_or_b32 exec_lo, exec_lo, s20
	s_and_saveexec_b32 s20, s2
	s_cbranch_execnz .LBB107_138
.LBB107_136:                            ;   in Loop: Header=BB107_5 Depth=1
	s_or_b32 exec_lo, exec_lo, s20
	v_mov_b32_e32 v177, 0
	s_and_saveexec_b32 s20, s2
	s_cbranch_execz .LBB107_3
	s_branch .LBB107_139
.LBB107_137:                            ;   in Loop: Header=BB107_5 Depth=1
	v_add_nc_u64_e32 v[202:203], v[52:53], v[38:39]
	v_add_nc_u64_e32 v[204:205], v[54:55], v[38:39]
	global_load_u16 v33, v[202:203], off
	global_load_u16 v177, v[204:205], off
	s_wait_loadcnt 0x1
	v_lshlrev_b32_e32 v33, 16, v33
	s_wait_loadcnt 0x0
	v_lshlrev_b32_e32 v201, 16, v177
	s_or_b32 exec_lo, exec_lo, s20
	s_and_saveexec_b32 s20, s2
	s_cbranch_execz .LBB107_136
.LBB107_138:                            ;   in Loop: Header=BB107_5 Depth=1
	v_add_nc_u64_e32 v[202:203], v[48:49], v[38:39]
	v_add_nc_u64_e32 v[204:205], v[50:51], v[38:39]
	global_load_u16 v34, v[202:203], off
	global_load_u16 v177, v[204:205], off
	s_wait_loadcnt 0x0
	v_dual_lshlrev_b32 v34, 16, v34 :: v_dual_lshlrev_b32 v200, 16, v177
	s_or_b32 exec_lo, exec_lo, s20
	v_mov_b32_e32 v177, 0
	s_and_saveexec_b32 s20, s2
	s_cbranch_execz .LBB107_3
.LBB107_139:                            ;   in Loop: Header=BB107_5 Depth=1
	v_add_nc_u64_e32 v[202:203], v[44:45], v[38:39]
	v_add_nc_u64_e32 v[204:205], v[46:47], v[38:39]
	global_load_u16 v35, v[202:203], off
	global_load_u16 v177, v[204:205], off
	s_wait_loadcnt 0x0
	v_dual_lshlrev_b32 v35, 16, v35 :: v_dual_lshlrev_b32 v177, 16, v177
	s_branch .LBB107_3
.LBB107_140:
                                        ; implicit-def: $vgpr292_vgpr293
	s_branch .LBB107_143
.LBB107_141:
	s_set_vgpr_msb 64                       ;  msbs: dst=1 src0=0 src1=0 src2=0
	v_mov_b64_e32 v[36:37] /*v[292:293]*/, 0
.LBB107_142:
	s_set_vgpr_msb 0                        ;  msbs: dst=0 src0=0 src1=0 src2=0
	s_cbranch_execnz .LBB107_219
.LBB107_143:
	s_and_not1_b32 vcc_lo, exec_lo, s17
	s_cbranch_vccnz .LBB107_218
; %bb.144:
	v_bfe_u32 v1, v0, 10, 10
	v_mov_b32_e32 v2, 0
	s_set_vgpr_msb 64                       ;  msbs: dst=1 src0=0 src1=0 src2=0
	v_and_b32_e32 v42 /*v298*/, 0x3ff, v0
	s_load_b32 s2, s[0:1], 0x44
	s_add_nc_u64 s[20:21], s[0:1], 64
	s_set_vgpr_msb 0                        ;  msbs: dst=0 src0=0 src1=0 src2=0
	v_dual_mov_b32 v5, v2 :: v_dual_lshlrev_b32 v4, 6, v1
	v_dual_mov_b32 v145, v2 :: v_dual_lshlrev_b32 v144, 5, v1
	s_set_vgpr_msb 64                       ;  msbs: dst=1 src0=0 src1=0 src2=0
	v_dual_mov_b32 v38 /*v294*/, 0 :: v_dual_mov_b32 v39 /*v295*/, v2
	s_set_vgpr_msb 0                        ;  msbs: dst=0 src0=0 src1=0 src2=0
	v_lshl_add_u64 v[4:5], s[18:19], 1, v[4:5]
	s_delay_alu instid0(VALU_DEP_1)
	v_add_nc_u64_e32 v[6:7], 2, v[4:5]
	v_add_nc_u64_e32 v[8:9], 4, v[4:5]
	;; [unrolled: 1-line block ×7, first 2 shown]
	v_mad_nc_u64_u32 v[36:37], s6, v6, s[8:9]
	v_mul_lo_u32 v3, s6, v7
	v_mul_lo_u32 v7, s7, v6
	v_mad_nc_u64_u32 v[38:39], s6, v6, s[10:11]
	v_mad_nc_u64_u32 v[40:41], s6, v8, s[8:9]
	v_mul_lo_u32 v6, s6, v9
	v_mul_lo_u32 v9, s7, v8
	v_mad_nc_u64_u32 v[44:45], s6, v8, s[10:11]
	;; [unrolled: 4-line block ×4, first 2 shown]
	v_mad_nc_u64_u32 v[52:53], s6, v14, s[8:9]
	v_mul_lo_u32 v12, s6, v15
	v_add3_u32 v37, v7, v37, v3
	v_add3_u32 v39, v7, v39, v3
	v_mul_lo_u32 v3, s7, v14
	v_mad_nc_u64_u32 v[54:55], s6, v14, s[10:11]
	v_add3_u32 v41, v9, v41, v6
	v_add3_u32 v45, v9, v45, v6
	v_add_nc_u64_e32 v[6:7], 16, v[4:5]
	v_mul_lo_u32 v14, s7, v16
	v_mad_nc_u64_u32 v[56:57], s6, v16, s[8:9]
	v_mad_nc_u64_u32 v[58:59], s6, v16, s[10:11]
	v_mul_lo_u32 v15, s6, v19
	v_mul_lo_u32 v16, s7, v18
	v_mad_nc_u64_u32 v[60:61], s6, v18, s[8:9]
	v_mad_nc_u64_u32 v[62:63], s6, v18, s[10:11]
	v_add3_u32 v43, v11, v43, v8
	v_add3_u32 v47, v11, v47, v8
	;; [unrolled: 1-line block ×6, first 2 shown]
	v_mul_lo_u32 v3, s6, v7
	v_mul_lo_u32 v12, s7, v6
	v_mad_nc_u64_u32 v[64:65], s6, v6, s[8:9]
	v_add_nc_u64_e32 v[10:11], 20, v[4:5]
	v_mad_nc_u64_u32 v[66:67], s6, v6, s[10:11]
	v_add_nc_u64_e32 v[6:7], 22, v[4:5]
	v_add3_u32 v61, v16, v61, v15
	v_add3_u32 v63, v16, v63, v15
	v_mul_lo_u32 v9, s6, v17
	s_wait_kmcnt 0x0
	s_lshl_b32 s22, s2, 5
	v_mul_lo_u32 v11, s6, v11
	v_mul_lo_u32 v15, s7, v10
	v_mad_nc_u64_u32 v[72:73], s6, v10, s[8:9]
	v_mad_nc_u64_u32 v[74:75], s6, v10, s[10:11]
	v_mul_lo_u32 v10, s6, v7
	v_mul_lo_u32 v16, s7, v6
	v_mad_nc_u64_u32 v[76:77], s6, v6, s[8:9]
	v_mad_nc_u64_u32 v[78:79], s6, v6, s[10:11]
	v_add_nc_u64_e32 v[6:7], 26, v[4:5]
	v_add3_u32 v65, v12, v65, v3
	v_add3_u32 v67, v12, v67, v3
	;; [unrolled: 1-line block ×6, first 2 shown]
	v_mul_lo_u32 v3, s6, v7
	v_mul_lo_u32 v12, s7, v6
	v_add3_u32 v77, v16, v77, v10
	v_add3_u32 v79, v16, v79, v10
	v_mad_nc_u64_u32 v[84:85], s6, v6, s[8:9]
	v_add_nc_u64_e32 v[10:11], 30, v[4:5]
	v_mad_nc_u64_u32 v[86:87], s6, v6, s[10:11]
	v_add_nc_u64_e32 v[6:7], 32, v[4:5]
	v_add_nc_u64_e32 v[8:9], 18, v[4:5]
	s_delay_alu instid0(VALU_DEP_4)
	v_mul_lo_u32 v11, s6, v11
	v_mul_lo_u32 v15, s7, v10
	v_mad_nc_u64_u32 v[92:93], s6, v10, s[8:9]
	v_mad_nc_u64_u32 v[94:95], s6, v10, s[10:11]
	v_mul_lo_u32 v10, s6, v7
	v_mul_lo_u32 v16, s7, v6
	v_mad_nc_u64_u32 v[96:97], s6, v6, s[8:9]
	v_mad_nc_u64_u32 v[98:99], s6, v6, s[10:11]
	v_add_nc_u64_e32 v[6:7], 36, v[4:5]
	v_add3_u32 v85, v12, v85, v3
	v_add3_u32 v87, v12, v87, v3
	v_mul_lo_u32 v13, s6, v9
	v_mul_lo_u32 v14, s7, v8
	v_add3_u32 v93, v15, v93, v11
	v_add3_u32 v95, v15, v95, v11
	v_mul_lo_u32 v3, s6, v7
	v_mul_lo_u32 v12, s7, v6
	v_add3_u32 v97, v16, v97, v10
	v_add3_u32 v99, v16, v99, v10
	v_mad_nc_u64_u32 v[104:105], s6, v6, s[8:9]
	v_add_nc_u64_e32 v[10:11], 40, v[4:5]
	v_mad_nc_u64_u32 v[106:107], s6, v6, s[10:11]
	v_add_nc_u64_e32 v[6:7], 42, v[4:5]
	v_mad_nc_u64_u32 v[68:69], s6, v8, s[8:9]
	v_mad_nc_u64_u32 v[70:71], s6, v8, s[10:11]
	v_add_nc_u64_e32 v[8:9], 24, v[4:5]
	v_mul_lo_u32 v11, s6, v11
	v_mul_lo_u32 v15, s7, v10
	v_mad_nc_u64_u32 v[112:113], s6, v10, s[8:9]
	v_mad_nc_u64_u32 v[114:115], s6, v10, s[10:11]
	v_mul_lo_u32 v10, s6, v7
	v_mul_lo_u32 v16, s7, v6
	v_mad_nc_u64_u32 v[116:117], s6, v6, s[8:9]
	v_mad_nc_u64_u32 v[118:119], s6, v6, s[10:11]
	;; [unrolled: 4-line block ×3, first 2 shown]
	v_add_nc_u64_e32 v[8:9], 28, v[4:5]
	v_add_nc_u64_e32 v[6:7], 46, v[4:5]
	v_add3_u32 v69, v14, v69, v13
	v_add3_u32 v71, v14, v71, v13
	v_add3_u32 v105, v12, v105, v3
	v_add3_u32 v107, v12, v107, v3
	v_add3_u32 v113, v15, v113, v11
	v_mul_lo_u32 v13, s6, v9
	v_mul_lo_u32 v14, s7, v8
	v_mad_nc_u64_u32 v[88:89], s6, v8, s[8:9]
	v_mad_nc_u64_u32 v[90:91], s6, v8, s[10:11]
	v_add_nc_u64_e32 v[8:9], 34, v[4:5]
	v_add3_u32 v115, v15, v115, v11
	v_add3_u32 v117, v16, v117, v10
	;; [unrolled: 1-line block ×3, first 2 shown]
	v_mul_lo_u32 v3, s6, v7
	v_mul_lo_u32 v12, s7, v6
	v_mad_nc_u64_u32 v[124:125], s6, v6, s[8:9]
	v_add_nc_u64_e32 v[10:11], 50, v[4:5]
	v_mad_nc_u64_u32 v[126:127], s6, v6, s[10:11]
	v_add_nc_u64_e32 v[6:7], 52, v[4:5]
	v_add3_u32 v81, v18, v81, v17
	v_add3_u32 v83, v18, v83, v17
	v_mul_lo_u32 v17, s6, v9
	v_mul_lo_u32 v18, s7, v8
	v_mad_nc_u64_u32 v[100:101], s6, v8, s[8:9]
	v_mad_nc_u64_u32 v[102:103], s6, v8, s[10:11]
	v_add_nc_u64_e32 v[8:9], 38, v[4:5]
	v_mul_lo_u32 v15, s7, v10
	v_mad_nc_u64_u32 v[132:133], s6, v10, s[8:9]
	v_mad_nc_u64_u32 v[134:135], s6, v10, s[10:11]
	v_mul_lo_u32 v10, s6, v7
	v_mul_lo_u32 v16, s7, v6
	v_mad_nc_u64_u32 v[136:137], s6, v6, s[8:9]
	v_mad_nc_u64_u32 v[138:139], s6, v6, s[10:11]
	v_add3_u32 v89, v14, v89, v13
	v_add3_u32 v91, v14, v91, v13
	v_mul_lo_u32 v13, s6, v9
	v_mul_lo_u32 v14, s7, v8
	v_mad_nc_u64_u32 v[108:109], s6, v8, s[8:9]
	v_mad_nc_u64_u32 v[110:111], s6, v8, s[10:11]
	v_add_nc_u64_e32 v[8:9], 44, v[4:5]
	v_add_nc_u64_e32 v[6:7], 56, v[4:5]
	v_add3_u32 v101, v18, v101, v17
	v_add3_u32 v103, v18, v103, v17
	;; [unrolled: 1-line block ×5, first 2 shown]
	v_mul_lo_u32 v17, s6, v9
	v_mul_lo_u32 v18, s7, v8
	v_mad_nc_u64_u32 v[120:121], s6, v8, s[8:9]
	v_mad_nc_u64_u32 v[122:123], s6, v8, s[10:11]
	v_add_nc_u64_e32 v[8:9], 48, v[4:5]
	v_add3_u32 v139, v16, v139, v10
	v_mul_lo_u32 v3, s6, v7
	v_mul_lo_u32 v16, s7, v6
	v_mad_nc_u64_u32 v[146:147], s6, v6, s[8:9]
	v_mad_nc_u64_u32 v[148:149], s6, v6, s[10:11]
	v_add3_u32 v109, v14, v109, v13
	v_add3_u32 v111, v14, v111, v13
	v_mul_lo_u32 v13, s6, v9
	v_mul_lo_u32 v14, s7, v8
	v_mad_nc_u64_u32 v[128:129], s6, v8, s[8:9]
	v_mad_nc_u64_u32 v[130:131], s6, v8, s[10:11]
	v_mul_lo_u32 v11, s6, v11
	v_add_nc_u64_e32 v[8:9], 54, v[4:5]
	v_add3_u32 v121, v18, v121, v17
	v_add3_u32 v147, v16, v147, v3
	;; [unrolled: 1-line block ×3, first 2 shown]
	s_set_vgpr_msb 4                        ;  msbs: dst=0 src0=0 src1=1 src2=0
	v_add_nc_u32_e32 v16, s3, v42 /*v298*/
	s_set_vgpr_msb 0                        ;  msbs: dst=0 src0=0 src1=0 src2=0
	v_add_nc_u64_e32 v[6:7], s[18:19], v[144:145]
	v_add3_u32 v123, v18, v123, v17
	v_mul_lo_u32 v17, s6, v9
	v_mul_lo_u32 v18, s7, v8
	v_mad_nc_u64_u32 v[140:141], s6, v8, s[8:9]
	v_mad_nc_u64_u32 v[142:143], s6, v8, s[10:11]
	v_add_nc_u64_e32 v[8:9], 58, v[4:5]
	v_add3_u32 v129, v14, v129, v13
	v_add3_u32 v131, v14, v131, v13
	;; [unrolled: 1-line block ×4, first 2 shown]
	v_mul_u64_e32 v[14:15], s[6:7], v[6:7]
	v_add_nc_u64_e32 v[10:11], 60, v[4:5]
	v_mul_lo_u32 v19, s6, v9
	v_mul_lo_u32 v20, s7, v8
	v_mad_nc_u64_u32 v[150:151], s6, v8, s[8:9]
	v_mad_nc_u64_u32 v[152:153], s6, v8, s[10:11]
	v_add_nc_u64_e32 v[8:9], 31, v[6:7]
	v_add_nc_u64_e32 v[4:5], 62, v[4:5]
	v_mul_lo_u32 v21, s6, v11
	v_mul_lo_u32 v22, s7, v10
	v_add_nc_u64_e32 v[12:13], 30, v[6:7]
	v_mad_nc_u64_u32 v[154:155], s6, v10, s[8:9]
	v_mad_nc_u64_u32 v[156:157], s6, v10, s[10:11]
	v_mul_u64_e32 v[8:9], s[6:7], v[8:9]
	v_add_nc_u64_e32 v[10:11], 29, v[6:7]
	v_mul_lo_u32 v23, s6, v5
	v_mul_lo_u32 v24, s7, v4
	v_mul_u64_e32 v[12:13], s[6:7], v[12:13]
	v_mad_nc_u64_u32 v[158:159], s6, v4, s[8:9]
	v_mad_nc_u64_u32 v[160:161], s6, v4, s[10:11]
	v_add3_u32 v141, v18, v141, v17
	v_mul_u64_e32 v[4:5], s[6:7], v[10:11]
	v_add_nc_u64_e32 v[10:11], 28, v[6:7]
	v_add3_u32 v143, v18, v143, v17
	v_mov_b32_e32 v17, v2
	v_add3_u32 v151, v20, v151, v19
	v_add3_u32 v153, v20, v153, v19
	v_add_nc_u64_e32 v[18:19], 27, v[6:7]
	v_add3_u32 v155, v22, v155, v21
	v_mul_u64_e32 v[10:11], s[6:7], v[10:11]
	v_lshlrev_b64_e32 v[162:163], 1, v[16:17]
	v_add_nc_u64_e32 v[16:17], 26, v[6:7]
	v_add3_u32 v157, v22, v157, v21
	v_add3_u32 v159, v24, v159, v23
	;; [unrolled: 1-line block ×3, first 2 shown]
	v_mul_u64_e32 v[18:19], s[6:7], v[18:19]
	v_add_nc_u64_e32 v[22:23], 24, v[6:7]
	v_lshlrev_b64_e32 v[24:25], 1, v[14:15]
	v_mul_u64_e32 v[16:17], s[6:7], v[16:17]
	v_add_nc_u64_e32 v[26:27], 23, v[6:7]
	v_add_nc_u64_e32 v[20:21], 25, v[6:7]
	;; [unrolled: 1-line block ×4, first 2 shown]
	v_mul_u64_e32 v[22:23], s[6:7], v[22:23]
	v_add_nc_u64_e32 v[164:165], s[8:9], v[24:25]
	v_add_nc_u64_e32 v[166:167], s[10:11], v[24:25]
	v_mul_u64_e32 v[24:25], s[6:7], v[26:27]
	v_lshlrev_b64_e32 v[8:9], 1, v[8:9]
	v_mul_u64_e32 v[20:21], s[6:7], v[20:21]
	v_add_nc_u64_e32 v[26:27], 20, v[6:7]
	v_lshlrev_b64_e32 v[12:13], 1, v[12:13]
	v_add_nc_u64_e32 v[30:31], 21, v[6:7]
	v_mul_u64_e32 v[28:29], s[6:7], v[28:29]
	v_add_nc_u64_e32 v[34:35], 18, v[6:7]
	v_add_nc_u64_e32 v[168:169], s[8:9], v[8:9]
	;; [unrolled: 1-line block ×3, first 2 shown]
	v_mul_u64_e32 v[26:27], s[6:7], v[26:27]
	v_add_nc_u64_e32 v[170:171], s[10:11], v[8:9]
	v_mul_u64_e32 v[8:9], s[6:7], v[32:33]
	v_lshlrev_b64_e32 v[4:5], 1, v[4:5]
	v_mul_u64_e32 v[30:31], s[6:7], v[30:31]
	v_lshlrev_b64_e32 v[10:11], 1, v[10:11]
	v_add_nc_u64_e32 v[172:173], s[8:9], v[12:13]
	v_mul_u64_e32 v[32:33], s[6:7], v[34:35]
	v_add_nc_u64_e32 v[174:175], s[10:11], v[12:13]
	v_mul_u64_e32 v[12:13], s[6:7], v[178:179]
	v_add_nc_u64_e32 v[176:177], s[8:9], v[4:5]
	v_add_nc_u64_e32 v[178:179], s[10:11], v[4:5]
	v_add_nc_u64_e32 v[4:5], 16, v[6:7]
	v_lshlrev_b64_e32 v[18:19], 1, v[18:19]
	v_add_nc_u64_e32 v[180:181], s[8:9], v[10:11]
	v_add_nc_u64_e32 v[182:183], s[10:11], v[10:11]
	v_lshlrev_b64_e32 v[10:11], 1, v[16:17]
	v_add_nc_u64_e32 v[34:35], 15, v[6:7]
	s_mov_b32 s3, 0
	v_mul_u64_e32 v[4:5], s[6:7], v[4:5]
	v_add_nc_u64_e32 v[184:185], s[8:9], v[18:19]
	v_add_nc_u64_e32 v[186:187], s[10:11], v[18:19]
	v_lshlrev_b64_e32 v[18:19], 1, v[22:23]
	v_add_nc_u64_e32 v[188:189], s[8:9], v[10:11]
	v_add_nc_u64_e32 v[190:191], s[10:11], v[10:11]
	v_lshlrev_b64_e32 v[10:11], 1, v[24:25]
	;; [unrolled: 3-line block ×3, first 2 shown]
	v_add_nc_u64_e32 v[196:197], s[8:9], v[18:19]
	v_add_nc_u64_e32 v[198:199], s[10:11], v[18:19]
	v_mul_u64_e32 v[20:21], s[6:7], v[34:35]
	v_add_nc_u64_e32 v[200:201], s[8:9], v[10:11]
	v_mul_u64_e32 v[22:23], s[6:7], v[22:23]
	v_mul_u64_e32 v[24:25], s[6:7], v[24:25]
	v_add_nc_u64_e32 v[192:193], s[8:9], v[16:17]
	v_add_nc_u64_e32 v[194:195], s[10:11], v[16:17]
	v_lshlrev_b64_e32 v[16:17], 1, v[28:29]
	v_add_nc_u64_e32 v[202:203], s[10:11], v[10:11]
	v_lshlrev_b64_e32 v[10:11], 1, v[26:27]
	v_lshlrev_b64_e32 v[8:9], 1, v[8:9]
	v_add_nc_u64_e32 v[26:27], 11, v[6:7]
	v_lshlrev_b64_e32 v[18:19], 1, v[30:31]
	v_lshlrev_b64_e32 v[12:13], 1, v[12:13]
	v_add_nc_u64_e32 v[204:205], s[8:9], v[16:17]
	v_add_nc_u64_e32 v[206:207], s[10:11], v[16:17]
	v_lshlrev_b64_e32 v[16:17], 1, v[32:33]
	v_add_nc_u64_e32 v[212:213], s[8:9], v[10:11]
	v_add_nc_u64_e32 v[214:215], s[10:11], v[10:11]
	;; [unrolled: 1-line block ×4, first 2 shown]
	v_mul_u64_e32 v[26:27], s[6:7], v[26:27]
	v_add_nc_u64_e32 v[28:29], 9, v[6:7]
	v_add_nc_u64_e32 v[30:31], 8, v[6:7]
	;; [unrolled: 1-line block ×5, first 2 shown]
	v_mul_u64_e32 v[10:11], s[6:7], v[10:11]
	v_add_nc_u64_e32 v[222:223], s[10:11], v[16:17]
	v_mul_u64_e32 v[16:17], s[6:7], v[28:29]
	v_mul_u64_e32 v[28:29], s[6:7], v[30:31]
	v_add_nc_u64_e32 v[30:31], 6, v[6:7]
	v_mul_u64_e32 v[8:9], s[6:7], v[8:9]
	v_add_nc_u64_e32 v[32:33], 5, v[6:7]
	v_add_nc_u64_e32 v[224:225], s[8:9], v[12:13]
	v_add_nc_u64_e32 v[226:227], s[10:11], v[12:13]
	v_add_nc_u64_e32 v[12:13], 4, v[6:7]
	v_add_nc_u64_e32 v[208:209], s[8:9], v[18:19]
	v_add_nc_u64_e32 v[210:211], s[10:11], v[18:19]
	v_add_nc_u64_e32 v[18:19], 12, v[6:7]
	v_lshlrev_b64_e32 v[4:5], 1, v[4:5]
	v_mul_u64_e32 v[30:31], s[6:7], v[30:31]
	v_mul_u64_e32 v[32:33], s[6:7], v[32:33]
	v_add_nc_u64_e32 v[34:35], 3, v[6:7]
	v_add_nc_u64_e32 v[6:7], 2, v[6:7]
	v_mul_u64_e32 v[12:13], s[6:7], v[12:13]
	v_mul_u64_e32 v[18:19], s[6:7], v[18:19]
	v_add_nc_u64_e32 v[228:229], s[8:9], v[4:5]
	v_add_nc_u64_e32 v[230:231], s[10:11], v[4:5]
	v_lshlrev_b64_e32 v[4:5], 1, v[22:23]
	v_lshlrev_b64_e32 v[22:23], 1, v[24:25]
	v_mul_u64_e32 v[24:25], s[6:7], v[34:35]
	v_mul_u64_e32 v[6:7], s[6:7], v[6:7]
	v_lshlrev_b64_e32 v[20:21], 1, v[20:21]
	s_mov_b32 s23, s3
	v_add_nc_u64_e32 v[236:237], s[8:9], v[4:5]
	v_add_nc_u64_e32 v[238:239], s[10:11], v[4:5]
	v_lshlrev_b64_e32 v[4:5], 1, v[26:27]
	v_lshlrev_b64_e32 v[10:11], 1, v[10:11]
	v_add_nc_u64_e32 v[232:233], s[8:9], v[20:21]
	v_lshlrev_b64_e32 v[16:17], 1, v[16:17]
	v_add_nc_u64_e32 v[234:235], s[10:11], v[20:21]
	v_add_nc_u64_e32 v[240:241], s[8:9], v[22:23]
	v_lshlrev_b64_e32 v[8:9], 1, v[8:9]
	v_add_nc_u64_e32 v[248:249], s[8:9], v[4:5]
	;; [unrolled: 3-line block ×3, first 2 shown]
	v_add_nc_u64_e32 v[254:255], s[10:11], v[10:11]
	v_add_nc_u64_e32 v[242:243], s[10:11], v[22:23]
	s_set_vgpr_msb 64                       ;  msbs: dst=1 src0=0 src1=0 src2=0
	v_add_nc_u64_e32 v[8:9] /*v[264:265]*/, s[8:9], v[8:9]
	v_add_nc_u64_e32 v[10:11] /*v[266:267]*/, s[10:11], v[8:9]
	s_set_vgpr_msb 0                        ;  msbs: dst=0 src0=0 src1=0 src2=0
	v_lshlrev_b64_e32 v[10:11], 1, v[30:31]
	s_set_vgpr_msb 64                       ;  msbs: dst=1 src0=0 src1=0 src2=0
	v_add_nc_u64_e32 v[4:5] /*v[260:261]*/, s[8:9], v[4:5]
	v_add_nc_u64_e32 v[6:7] /*v[262:263]*/, s[10:11], v[4:5]
	s_set_vgpr_msb 0                        ;  msbs: dst=0 src0=0 src1=0 src2=0
	v_lshlrev_b64_e32 v[4:5], 1, v[32:33]
	v_lshlrev_b64_e32 v[8:9], 1, v[12:13]
	v_add_nc_u64_e32 v[12:13], s[6:7], v[14:15]
	v_lshlrev_b64_e32 v[18:19], 1, v[18:19]
	s_set_vgpr_msb 64                       ;  msbs: dst=1 src0=0 src1=0 src2=0
	v_add_nc_u64_e32 v[12:13] /*v[268:269]*/, s[8:9], v[10:11]
	v_add_nc_u64_e32 v[14:15] /*v[270:271]*/, s[10:11], v[10:11]
	;; [unrolled: 1-line block ×3, first 2 shown]
	s_set_vgpr_msb 0                        ;  msbs: dst=0 src0=0 src1=0 src2=0
	v_lshlrev_b64_e32 v[10:11], 1, v[24:25]
	v_lshlrev_b64_e32 v[6:7], 1, v[6:7]
	s_set_vgpr_msb 64                       ;  msbs: dst=1 src0=0 src1=0 src2=0
	v_add_nc_u64_e32 v[16:17] /*v[272:273]*/, s[8:9], v[4:5]
	v_add_nc_u64_e32 v[18:19] /*v[274:275]*/, s[10:11], v[4:5]
	s_set_vgpr_msb 0                        ;  msbs: dst=0 src0=0 src1=0 src2=0
	v_lshlrev_b64_e32 v[4:5], 1, v[12:13]
	v_add_nc_u64_e32 v[244:245], s[8:9], v[18:19]
	v_add_nc_u64_e32 v[246:247], s[10:11], v[18:19]
	s_set_vgpr_msb 64                       ;  msbs: dst=1 src0=0 src1=0 src2=0
	v_add_nc_u64_e32 v[2:3] /*v[258:259]*/, s[10:11], v[16:17]
	v_add_nc_u64_e32 v[20:21] /*v[276:277]*/, s[8:9], v[8:9]
	v_add_nc_u64_e32 v[22:23] /*v[278:279]*/, s[10:11], v[8:9]
	v_add_nc_u64_e32 v[24:25] /*v[280:281]*/, s[8:9], v[10:11]
	v_add_nc_u64_e32 v[26:27] /*v[282:283]*/, s[10:11], v[10:11]
	v_add_nc_u64_e32 v[28:29] /*v[284:285]*/, s[8:9], v[6:7]
	v_add_nc_u64_e32 v[30:31] /*v[286:287]*/, s[10:11], v[6:7]
	v_add_nc_u64_e32 v[32:33] /*v[288:289]*/, s[8:9], v[4:5]
	v_add_nc_u64_e32 v[34:35] /*v[290:291]*/, s[10:11], v[4:5]
	s_mul_u64 s[24:25], s[6:7], s[22:23]
	s_mov_b64 s[10:11], 31
	s_lshl_b64 s[8:9], s[24:25], 1
	s_mov_b64 s[24:25], s[18:19]
	s_set_vgpr_msb 0                        ;  msbs: dst=0 src0=0 src1=0 src2=0
	s_branch .LBB107_147
.LBB107_145:                            ;   in Loop: Header=BB107_147 Depth=1
	s_wait_xcnt 0x0
	s_or_b32 exec_lo, exec_lo, s2
	v_add_nc_u64_e32 v[4:5], v[164:165], v[162:163]
	v_add_nc_u64_e32 v[8:9], v[166:167], v[162:163]
	;; [unrolled: 1-line block ×7, first 2 shown]
	global_load_u16 v4, v[4:5], off
	global_load_u16 v5, v[8:9], off
	s_wait_xcnt 0x0
	v_add_nc_u64_e32 v[8:9], v[36:37], v[162:163]
	v_add_nc_u64_e32 v[20:21], v[58:59], v[162:163]
	;; [unrolled: 1-line block ×7, first 2 shown]
	global_load_u16 v7, v[8:9], off
	v_add_nc_u64_e32 v[32:33], v[82:83], v[162:163]
	v_add_nc_u64_e32 v[34:35], v[86:87], v[162:163]
	s_set_vgpr_msb 64                       ;  msbs: dst=1 src0=0 src1=0 src2=0
	v_add_nc_u64_e32 v[36:37] /*v[292:293]*/, v[90:91], v[162:163]
	v_add_nc_u64_e32 v[40:41] /*v[296:297]*/, v[94:95], v[162:163]
	;; [unrolled: 1-line block ×18, first 2 shown]
	s_wait_loadcnt 0x1
	s_set_vgpr_msb 0                        ;  msbs: dst=0 src0=0 src1=0 src2=0
	v_dual_lshlrev_b32 v4, 16, v4 :: v_dual_lshlrev_b32 v5, 16, v5
	s_wait_loadcnt 0x0
	v_lshlrev_b32_e32 v8, 16, v7
	global_load_u16 v7, v[10:11], off
	s_wait_xcnt 0x0
	v_add_nc_u64_e32 v[10:11], v[40:41], v[162:163]
	global_load_u16 v9, v[10:11], off
	s_wait_loadcnt 0x0
	v_dual_lshlrev_b32 v7, 16, v7 :: v_dual_lshlrev_b32 v10, 16, v9
	global_load_u16 v9, v[12:13], off
	s_wait_xcnt 0x0
	v_add_nc_u64_e32 v[12:13], v[42:43], v[162:163]
	s_wait_loadcnt 0x0
	v_lshlrev_b32_e32 v11, 16, v9
	global_load_u16 v9, v[12:13], off
	s_wait_loadcnt 0x0
	v_lshlrev_b32_e32 v12, 16, v9
	global_load_u16 v9, v[14:15], off
	s_wait_xcnt 0x0
	v_add_nc_u64_e32 v[14:15], v[48:49], v[162:163]
	s_wait_loadcnt 0x0
	v_lshlrev_b32_e32 v13, 16, v9
	global_load_u16 v9, v[14:15], off
	s_wait_loadcnt 0x0
	v_lshlrev_b32_e32 v14, 16, v9
	;; [unrolled: 8-line block ×12, first 2 shown]
	s_set_vgpr_msb 1                        ;  msbs: dst=0 src0=1 src1=0 src2=0
	global_load_u16 v9, v[36:37] /*v[292:293]*/, off
	s_wait_xcnt 0x0
	s_set_vgpr_msb 64                       ;  msbs: dst=1 src0=0 src1=0 src2=0
	v_add_nc_u64_e32 v[36:37] /*v[292:293]*/, v[92:93], v[162:163]
	s_wait_loadcnt 0x0
	s_set_vgpr_msb 1                        ;  msbs: dst=0 src0=1 src1=0 src2=0
	v_lshlrev_b32_e32 v35, 16, v9
	global_load_u16 v9, v[36:37] /*v[292:293]*/, off
	s_wait_loadcnt 0x0
	s_set_vgpr_msb 64                       ;  msbs: dst=1 src0=0 src1=0 src2=0
	v_lshlrev_b32_e32 v36 /*v292*/, 16, v9
	s_set_vgpr_msb 1                        ;  msbs: dst=0 src0=1 src1=0 src2=0
	global_load_u16 v9, v[40:41] /*v[296:297]*/, off
	s_wait_xcnt 0x0
	s_set_vgpr_msb 64                       ;  msbs: dst=1 src0=0 src1=0 src2=0
	v_add_nc_u64_e32 v[40:41] /*v[296:297]*/, v[96:97], v[162:163]
	s_wait_loadcnt 0x0
	v_lshlrev_b32_e32 v37 /*v293*/, 16, v9
	s_set_vgpr_msb 1                        ;  msbs: dst=0 src0=1 src1=0 src2=0
	global_load_u16 v9, v[40:41] /*v[296:297]*/, off
	s_wait_loadcnt 0x0
	s_set_vgpr_msb 64                       ;  msbs: dst=1 src0=0 src1=0 src2=0
	v_lshlrev_b32_e32 v40 /*v296*/, 16, v9
	s_set_vgpr_msb 1                        ;  msbs: dst=0 src0=1 src1=0 src2=0
	global_load_u16 v9, v[44:45] /*v[300:301]*/, off
	s_wait_xcnt 0x0
	s_set_vgpr_msb 64                       ;  msbs: dst=1 src0=0 src1=0 src2=0
	v_add_nc_u64_e32 v[44:45] /*v[300:301]*/, v[100:101], v[162:163]
	s_wait_loadcnt 0x0
	v_lshlrev_b32_e32 v41 /*v297*/, 16, v9
	s_set_vgpr_msb 1                        ;  msbs: dst=0 src0=1 src1=0 src2=0
	global_load_u16 v9, v[44:45] /*v[300:301]*/, off
	s_wait_xcnt 0x0
	s_set_vgpr_msb 64                       ;  msbs: dst=1 src0=0 src1=0 src2=0
	ds_bpermute_b32 v45 /*v301*/, v2, v6
	s_wait_dscnt 0x0
	s_set_vgpr_msb 4                        ;  msbs: dst=0 src0=0 src1=1 src2=0
	v_sub_f32_e32 v5, v5, v45 /*v301*/
	s_set_vgpr_msb 64                       ;  msbs: dst=1 src0=0 src1=0 src2=0
	ds_bpermute_b32 v45 /*v301*/, v2, v6 offset:4
	s_wait_dscnt 0x0
	s_set_vgpr_msb 4                        ;  msbs: dst=0 src0=0 src1=1 src2=0
	v_sub_f32_e32 v7, v7, v45 /*v301*/
	s_set_vgpr_msb 64                       ;  msbs: dst=1 src0=0 src1=0 src2=0
	ds_bpermute_b32 v45 /*v301*/, v2, v6 offset:8
	s_set_vgpr_msb 0                        ;  msbs: dst=0 src0=0 src1=0 src2=0
	v_mul_f32_e32 v7, v7, v8
	v_mul_f32_e32 v5, v5, v4
	s_wait_dscnt 0x0
	s_set_vgpr_msb 4                        ;  msbs: dst=0 src0=0 src1=1 src2=0
	v_sub_f32_e32 v11, v11, v45 /*v301*/
	s_set_vgpr_msb 64                       ;  msbs: dst=1 src0=0 src1=0 src2=0
	ds_bpermute_b32 v45 /*v301*/, v2, v6 offset:12
	s_wait_dscnt 0x0
	s_set_vgpr_msb 4                        ;  msbs: dst=0 src0=0 src1=1 src2=0
	v_sub_f32_e32 v13, v13, v45 /*v301*/
	s_set_vgpr_msb 64                       ;  msbs: dst=1 src0=0 src1=0 src2=0
	ds_bpermute_b32 v45 /*v301*/, v2, v6 offset:16
	s_set_vgpr_msb 0                        ;  msbs: dst=0 src0=0 src1=0 src2=0
	v_dual_mul_f32 v11, v11, v10 :: v_dual_mul_f32 v13, v13, v12
	s_wait_dscnt 0x0
	s_set_vgpr_msb 4                        ;  msbs: dst=0 src0=0 src1=1 src2=0
	v_sub_f32_e32 v15, v15, v45 /*v301*/
	s_set_vgpr_msb 64                       ;  msbs: dst=1 src0=0 src1=0 src2=0
	ds_bpermute_b32 v45 /*v301*/, v2, v6 offset:20
	s_wait_dscnt 0x0
	s_set_vgpr_msb 4                        ;  msbs: dst=0 src0=0 src1=1 src2=0
	v_sub_f32_e32 v17, v17, v45 /*v301*/
	s_set_vgpr_msb 64                       ;  msbs: dst=1 src0=0 src1=0 src2=0
	ds_bpermute_b32 v45 /*v301*/, v2, v6 offset:24
	s_set_vgpr_msb 0                        ;  msbs: dst=0 src0=0 src1=0 src2=0
	v_dual_mul_f32 v15, v15, v14 :: v_dual_mul_f32 v17, v17, v16
	;; [unrolled: 12-line block ×4, first 2 shown]
	s_wait_dscnt 0x0
	s_set_vgpr_msb 4                        ;  msbs: dst=0 src0=0 src1=1 src2=0
	v_sub_f32_e32 v27, v27, v45 /*v301*/
	s_set_vgpr_msb 0                        ;  msbs: dst=0 src0=0 src1=0 src2=0
	s_delay_alu instid0(VALU_DEP_1)
	v_mul_f32_e32 v27, v27, v26
	s_wait_loadcnt 0x0
	s_set_vgpr_msb 64                       ;  msbs: dst=1 src0=0 src1=0 src2=0
	v_lshlrev_b32_e32 v44 /*v300*/, 16, v9
	s_set_vgpr_msb 1                        ;  msbs: dst=0 src0=1 src1=0 src2=0
	global_load_u16 v9, v[46:47] /*v[302:303]*/, off
	s_wait_xcnt 0x0
	s_set_vgpr_msb 64                       ;  msbs: dst=1 src0=0 src1=0 src2=0
	v_add_nc_u64_e32 v[46:47] /*v[302:303]*/, v[104:105], v[162:163]
	s_wait_loadcnt 0x0
	v_lshlrev_b32_e32 v43 /*v299*/, 16, v9
	s_set_vgpr_msb 1                        ;  msbs: dst=0 src0=1 src1=0 src2=0
	global_load_u16 v9, v[46:47] /*v[302:303]*/, off
	s_wait_loadcnt 0x0
	s_set_vgpr_msb 64                       ;  msbs: dst=1 src0=0 src1=0 src2=0
	v_lshlrev_b32_e32 v46 /*v302*/, 16, v9
	s_set_vgpr_msb 1                        ;  msbs: dst=0 src0=1 src1=0 src2=0
	global_load_u16 v9, v[48:49] /*v[304:305]*/, off
	s_wait_xcnt 0x0
	s_set_vgpr_msb 64                       ;  msbs: dst=1 src0=0 src1=0 src2=0
	v_add_nc_u64_e32 v[48:49] /*v[304:305]*/, v[108:109], v[162:163]
	s_wait_loadcnt 0x0
	v_lshlrev_b32_e32 v47 /*v303*/, 16, v9
	s_set_vgpr_msb 1                        ;  msbs: dst=0 src0=1 src1=0 src2=0
	global_load_u16 v9, v[48:49] /*v[304:305]*/, off
	;; [unrolled: 12-line block ×14, first 2 shown]
	s_wait_loadcnt 0x0
	s_set_vgpr_msb 64                       ;  msbs: dst=1 src0=0 src1=0 src2=0
	v_lshlrev_b32_e32 v72 /*v328*/, 16, v9
	s_set_vgpr_msb 1                        ;  msbs: dst=0 src0=1 src1=0 src2=0
	global_load_u16 v9, v[74:75] /*v[330:331]*/, off
	s_wait_loadcnt 0x0
	s_set_vgpr_msb 64                       ;  msbs: dst=1 src0=0 src1=0 src2=0
	v_lshlrev_b32_e32 v73 /*v329*/, 16, v9
	s_set_vgpr_msb 0                        ;  msbs: dst=0 src0=0 src1=0 src2=0
	ds_bpermute_b32 v9, v2, v3
	s_wait_dscnt 0x0
	v_mul_f32_e32 v5, v5, v9
	ds_bpermute_b32 v9, v2, v3 offset:4
	s_set_vgpr_msb 1                        ;  msbs: dst=0 src0=1 src1=0 src2=0
	v_pk_add_f32 v[4:5], v[38:39] /*v[294:295]*/, v[4:5]
	s_wait_dscnt 0x0
	s_set_vgpr_msb 0                        ;  msbs: dst=0 src0=0 src1=0 src2=0
	v_mul_f32_e32 v9, v7, v9
	ds_bpermute_b32 v7, v2, v3 offset:8
	v_pk_add_f32 v[4:5], v[4:5], v[8:9]
	ds_bpermute_b32 v8, v2, v6 offset:44
	s_wait_dscnt 0x1
	v_mul_f32_e32 v11, v11, v7
	ds_bpermute_b32 v7, v2, v3 offset:12
	s_wait_dscnt 0x1
	v_sub_f32_e32 v8, v29, v8
	v_pk_add_f32 v[4:5], v[4:5], v[10:11]
	s_wait_dscnt 0x0
	s_delay_alu instid0(VALU_DEP_2)
	v_dual_mul_f32 v8, v8, v28 :: v_dual_mul_f32 v13, v13, v7
	ds_bpermute_b32 v7, v2, v3 offset:16
	v_pk_add_f32 v[4:5], v[4:5], v[12:13]
	s_wait_dscnt 0x0
	v_mul_f32_e32 v15, v15, v7
	ds_bpermute_b32 v7, v2, v3 offset:20
	v_pk_add_f32 v[4:5], v[4:5], v[14:15]
	s_wait_dscnt 0x0
	v_mul_f32_e32 v17, v17, v7
	;; [unrolled: 4-line block ×8, first 2 shown]
	ds_bpermute_b32 v8, v2, v6 offset:48
	ds_bpermute_b32 v7, v2, v3 offset:48
	s_wait_dscnt 0x1
	v_sub_f32_e32 v8, v31, v8
	v_pk_add_f32 v[4:5], v[4:5], v[28:29]
	s_delay_alu instid0(VALU_DEP_2) | instskip(SKIP_1) | instid1(VALU_DEP_1)
	v_mul_f32_e32 v8, v8, v30
	s_wait_dscnt 0x0
	v_mul_f32_e32 v31, v8, v7
	ds_bpermute_b32 v8, v2, v6 offset:52
	ds_bpermute_b32 v7, v2, v3 offset:52
	s_wait_dscnt 0x1
	v_sub_f32_e32 v8, v33, v8
	v_pk_add_f32 v[4:5], v[4:5], v[30:31]
	s_delay_alu instid0(VALU_DEP_2) | instskip(SKIP_1) | instid1(VALU_DEP_1)
	v_mul_f32_e32 v8, v8, v32
	s_wait_dscnt 0x0
	v_mul_f32_e32 v33, v8, v7
	;; [unrolled: 9-line block ×3, first 2 shown]
	ds_bpermute_b32 v8, v2, v6 offset:60
	ds_bpermute_b32 v7, v2, v3 offset:60
	v_pk_add_f32 v[4:5], v[4:5], v[34:35]
	s_wait_dscnt 0x1
	s_set_vgpr_msb 1                        ;  msbs: dst=0 src0=1 src1=0 src2=0
	v_sub_f32_e32 v8, v37 /*v293*/, v8
	s_set_vgpr_msb 4                        ;  msbs: dst=0 src0=0 src1=1 src2=0
	s_delay_alu instid0(VALU_DEP_1) | instskip(SKIP_2) | instid1(VALU_DEP_1)
	v_mul_f32_e32 v8, v8, v36 /*v292*/
	s_wait_dscnt 0x0
	s_set_vgpr_msb 64                       ;  msbs: dst=1 src0=0 src1=0 src2=0
	v_mul_f32_e32 v37 /*v293*/, v8, v7
	s_set_vgpr_msb 0                        ;  msbs: dst=0 src0=0 src1=0 src2=0
	ds_bpermute_b32 v8, v2, v6 offset:64
	ds_bpermute_b32 v7, v2, v3 offset:64
	s_wait_dscnt 0x1
	s_set_vgpr_msb 1                        ;  msbs: dst=0 src0=1 src1=0 src2=0
	v_sub_f32_e32 v8, v41 /*v297*/, v8
	s_set_vgpr_msb 4                        ;  msbs: dst=0 src0=0 src1=1 src2=0
	s_delay_alu instid0(VALU_DEP_1) | instskip(SKIP_2) | instid1(VALU_DEP_1)
	v_mul_f32_e32 v8, v8, v40 /*v296*/
	s_wait_dscnt 0x0
	s_set_vgpr_msb 64                       ;  msbs: dst=1 src0=0 src1=0 src2=0
	v_mul_f32_e32 v41 /*v297*/, v8, v7
	s_set_vgpr_msb 0                        ;  msbs: dst=0 src0=0 src1=0 src2=0
	ds_bpermute_b32 v8, v2, v6 offset:68
	ds_bpermute_b32 v7, v2, v3 offset:68
	s_set_vgpr_msb 4                        ;  msbs: dst=0 src0=0 src1=1 src2=0
	v_pk_add_f32 v[4:5], v[4:5], v[36:37] /*v[292:293]*/
	s_delay_alu instid0(VALU_DEP_1) | instskip(SKIP_4) | instid1(VALU_DEP_1)
	v_pk_add_f32 v[4:5], v[4:5], v[40:41] /*v[296:297]*/
	s_wait_dscnt 0x1
	s_set_vgpr_msb 1                        ;  msbs: dst=0 src0=1 src1=0 src2=0
	v_sub_f32_e32 v8, v43 /*v299*/, v8
	s_set_vgpr_msb 4                        ;  msbs: dst=0 src0=0 src1=1 src2=0
	v_mul_f32_e32 v8, v8, v44 /*v300*/
	s_wait_dscnt 0x0
	s_set_vgpr_msb 64                       ;  msbs: dst=1 src0=0 src1=0 src2=0
	s_delay_alu instid0(VALU_DEP_1)
	v_mul_f32_e32 v45 /*v301*/, v8, v7
	s_set_vgpr_msb 0                        ;  msbs: dst=0 src0=0 src1=0 src2=0
	ds_bpermute_b32 v8, v2, v6 offset:72
	ds_bpermute_b32 v7, v2, v3 offset:72
	s_wait_dscnt 0x1
	s_set_vgpr_msb 1                        ;  msbs: dst=0 src0=1 src1=0 src2=0
	v_sub_f32_e32 v8, v47 /*v303*/, v8
	s_set_vgpr_msb 4                        ;  msbs: dst=0 src0=0 src1=1 src2=0
	s_delay_alu instid0(VALU_DEP_1) | instskip(SKIP_2) | instid1(VALU_DEP_1)
	v_mul_f32_e32 v8, v8, v46 /*v302*/
	s_wait_dscnt 0x0
	s_set_vgpr_msb 64                       ;  msbs: dst=1 src0=0 src1=0 src2=0
	v_mul_f32_e32 v47 /*v303*/, v8, v7
	s_set_vgpr_msb 0                        ;  msbs: dst=0 src0=0 src1=0 src2=0
	ds_bpermute_b32 v8, v2, v6 offset:76
	ds_bpermute_b32 v7, v2, v3 offset:76
	s_set_vgpr_msb 4                        ;  msbs: dst=0 src0=0 src1=1 src2=0
	v_pk_add_f32 v[4:5], v[4:5], v[44:45] /*v[300:301]*/
	s_delay_alu instid0(VALU_DEP_1) | instskip(SKIP_4) | instid1(VALU_DEP_1)
	v_pk_add_f32 v[4:5], v[4:5], v[46:47] /*v[302:303]*/
	s_wait_dscnt 0x1
	s_set_vgpr_msb 1                        ;  msbs: dst=0 src0=1 src1=0 src2=0
	v_sub_f32_e32 v8, v49 /*v305*/, v8
	s_set_vgpr_msb 4                        ;  msbs: dst=0 src0=0 src1=1 src2=0
	v_mul_f32_e32 v8, v8, v48 /*v304*/
	s_wait_dscnt 0x0
	s_set_vgpr_msb 64                       ;  msbs: dst=1 src0=0 src1=0 src2=0
	s_delay_alu instid0(VALU_DEP_1)
	;; [unrolled: 28-line block ×7, first 2 shown]
	v_mul_f32_e32 v69 /*v325*/, v8, v7
	s_set_vgpr_msb 0                        ;  msbs: dst=0 src0=0 src1=0 src2=0
	ds_bpermute_b32 v8, v2, v6 offset:120
	ds_bpermute_b32 v6, v2, v6 offset:124
	;; [unrolled: 1-line block ×4, first 2 shown]
	s_wait_dscnt 0x2
	s_set_vgpr_msb 1                        ;  msbs: dst=0 src0=1 src1=0 src2=0
	v_dual_sub_f32 v8, v71 /*v327*/, v8 :: v_dual_sub_f32 v6, v73 /*v329*/, v6
	s_set_vgpr_msb 4                        ;  msbs: dst=0 src0=0 src1=1 src2=0
	s_delay_alu instid0(VALU_DEP_1) | instskip(SKIP_2) | instid1(VALU_DEP_1)
	v_dual_mul_f32 v8, v8, v70 /*v326*/ :: v_dual_mul_f32 v6, v6, v72 /*v328*/
	s_wait_dscnt 0x1
	s_set_vgpr_msb 64                       ;  msbs: dst=1 src0=0 src1=0 src2=0
	v_mul_f32_e32 v71 /*v327*/, v8, v7
	s_set_vgpr_msb 4                        ;  msbs: dst=0 src0=0 src1=1 src2=0
	v_pk_add_f32 v[4:5], v[4:5], v[68:69] /*v[324:325]*/
	s_wait_dscnt 0x0
	s_set_vgpr_msb 64                       ;  msbs: dst=1 src0=0 src1=0 src2=0
	v_mul_f32_e32 v73 /*v329*/, v6, v3
	s_set_vgpr_msb 4                        ;  msbs: dst=0 src0=0 src1=1 src2=0
	v_pk_add_f32 v[4:5], v[4:5], v[70:71] /*v[326:327]*/
	s_set_vgpr_msb 0x44                     ;  msbs: dst=1 src0=0 src1=1 src2=0
	s_delay_alu instid0(VALU_DEP_1)
	v_pk_add_f32 v[36:37] /*v[292:293]*/, v[4:5], v[72:73] /*v[328:329]*/
.LBB107_146:                            ;   in Loop: Header=BB107_147 Depth=1
	s_add_nc_u64 s[24:25], s[24:25], s[22:23]
	s_set_vgpr_msb 0                        ;  msbs: dst=0 src0=0 src1=0 src2=0
	v_add_nc_u64_e32 v[164:165], s[8:9], v[164:165]
	v_cmp_ge_i64_e64 s2, s[24:25], s[4:5]
	v_add_nc_u64_e32 v[166:167], s[8:9], v[166:167]
	v_add_nc_u64_e32 v[36:37], s[8:9], v[36:37]
	;; [unrolled: 1-line block ×108, first 2 shown]
	s_set_vgpr_msb 0x44                     ;  msbs: dst=1 src0=0 src1=1 src2=0
	v_add_nc_u64_e32 v[0:1] /*v[256:257]*/, s[8:9], v[0:1] /*v[256:257]*/
	v_add_nc_u64_e32 v[2:3] /*v[258:259]*/, s[8:9], v[2:3] /*v[258:259]*/
	;; [unrolled: 1-line block ×18, first 2 shown]
	s_set_vgpr_msb 0x41                     ;  msbs: dst=1 src0=1 src1=0 src2=0
	v_dual_mov_b32 v38 /*v294*/, v36 /*v292*/ :: v_dual_mov_b32 v39 /*v295*/, v37 /*v293*/
	s_and_b32 vcc_lo, exec_lo, s2
	s_add_nc_u64 s[10:11], s[10:11], s[22:23]
	s_set_vgpr_msb 0                        ;  msbs: dst=0 src0=0 src1=0 src2=0
	s_cbranch_vccnz .LBB107_219
.LBB107_147:                            ; =>This Inner Loop Header: Depth=1
	s_add_nc_u64 s[26:27], s[18:19], s[10:11]
	s_set_vgpr_msb 64                       ;  msbs: dst=1 src0=0 src1=0 src2=0
	v_add_nc_u64_e32 v[40:41] /*v[296:297]*/, s[18:19], v[144:145]
	v_cmp_ge_i64_e64 s2, s[26:27], s[4:5]
                                        ; implicit-def: $vgpr292_vgpr293
	s_and_b32 vcc_lo, exec_lo, s2
	s_mov_b32 s2, -1
	s_set_vgpr_msb 0                        ;  msbs: dst=0 src0=0 src1=0 src2=0
	s_cbranch_vccz .LBB107_215
; %bb.148:                              ;   in Loop: Header=BB107_147 Depth=1
	s_load_b32 s2, s[20:21], 0xc
	s_set_vgpr_msb 64                       ;  msbs: dst=1 src0=0 src1=0 src2=0
	v_dual_mov_b32 v43 /*v299*/, 0 :: v_dual_mov_b32 v37 /*v293*/, 0
	v_mov_b32_e32 v36 /*v292*/, 0
	s_wait_kmcnt 0x0
	s_and_b32 s2, s2, 0xffff
	s_set_vgpr_msb 16                       ;  msbs: dst=0 src0=0 src1=0 src2=1
	v_mad_u32_u24 v3, v1, s2, v42 /*v298*/
	v_mov_b32_e32 v5, v2
	s_mov_b32 s2, exec_lo
	s_delay_alu instid0(VALU_DEP_2) | instskip(SKIP_1) | instid1(VALU_DEP_1)
	v_and_b32_e32 v4, 31, v3
	s_set_vgpr_msb 1                        ;  msbs: dst=0 src0=1 src1=0 src2=0
	v_add_nc_u64_e32 v[4:5], v[40:41] /*v[296:297]*/, v[4:5]
	s_delay_alu instid0(VALU_DEP_1)
	v_cmpx_gt_i64_e64 s[4:5], v[4:5]
	s_set_vgpr_msb 0                        ;  msbs: dst=0 src0=0 src1=0 src2=0
	s_cbranch_execz .LBB107_150
; %bb.149:                              ;   in Loop: Header=BB107_147 Depth=1
	v_lshlrev_b64_e32 v[4:5], 2, v[4:5]
	s_delay_alu instid0(VALU_DEP_1)
	v_add_nc_u64_e32 v[6:7], s[12:13], v[4:5]
	v_add_nc_u64_e32 v[4:5], s[14:15], v[4:5]
	s_set_vgpr_msb 64                       ;  msbs: dst=1 src0=0 src1=0 src2=0
	global_load_b32 v36 /*v292*/, v[6:7], off
	global_load_b32 v37 /*v293*/, v[4:5], off
.LBB107_150:                            ;   in Loop: Header=BB107_147 Depth=1
	s_wait_xcnt 0x0
	s_or_b32 exec_lo, exec_lo, s2
	s_set_vgpr_msb 4                        ;  msbs: dst=0 src0=0 src1=1 src2=0
	v_dual_mov_b32 v31, v2 :: v_dual_mov_b32 v32, v2
	v_dual_mov_b32 v33, v2 :: v_dual_mov_b32 v3, v2
	v_dual_mov_b32 v4, v2 :: v_dual_mov_b32 v5, v2
	v_dual_mov_b32 v6, v2 :: v_dual_mov_b32 v7, v2
	v_dual_mov_b32 v8, v2 :: v_dual_mov_b32 v9, v2
	v_dual_mov_b32 v10, v2 :: v_dual_mov_b32 v11, v2
	v_dual_mov_b32 v12, v2 :: v_dual_mov_b32 v13, v2
	v_dual_mov_b32 v14, v2 :: v_dual_mov_b32 v15, v2
	v_dual_mov_b32 v16, v2 :: v_dual_mov_b32 v17, v2
	v_dual_mov_b32 v18, v2 :: v_dual_mov_b32 v19, v2
	v_dual_mov_b32 v20, v2 :: v_dual_mov_b32 v21, v2
	v_dual_mov_b32 v22, v2 :: v_dual_mov_b32 v23, v2
	v_dual_mov_b32 v24, v2 :: v_dual_mov_b32 v25, v2
	v_dual_mov_b32 v26, v2 :: v_dual_mov_b32 v27, v2
	v_dual_mov_b32 v28, v2 :: v_dual_mov_b32 v29, v2
	v_mov_b32_e32 v30, v2
	v_mov_b64_e32 v[34:35], v[32:33]
	s_delay_alu instid0(VALU_DEP_2) | instskip(NEXT) | instid1(VALU_DEP_4)
	v_mov_b64_e32 v[32:33], v[30:31]
	v_mov_b64_e32 v[30:31], v[28:29]
	;; [unrolled: 1-line block ×15, first 2 shown]
	s_mov_b32 s2, exec_lo
	v_cmpx_gt_i64_e64 s[4:5], v[40:41] /*v[296:297]*/
	s_set_vgpr_msb 0                        ;  msbs: dst=0 src0=0 src1=0 src2=0
	s_cbranch_execz .LBB107_152
; %bb.151:                              ;   in Loop: Header=BB107_147 Depth=1
	v_add_nc_u64_e32 v[4:5], v[164:165], v[162:163]
	v_add_nc_u64_e32 v[6:7], v[166:167], v[162:163]
	v_dual_mov_b32 v9, v2 :: v_dual_mov_b32 v10, v2
	v_dual_mov_b32 v11, v2 :: v_dual_mov_b32 v12, v2
	;; [unrolled: 1-line block ×3, first 2 shown]
	global_load_u16 v3, v[4:5], off
	s_set_vgpr_msb 64                       ;  msbs: dst=1 src0=0 src1=0 src2=0
	global_load_u16 v43 /*v299*/, v[6:7], off
	s_wait_xcnt 0x0
	s_set_vgpr_msb 0                        ;  msbs: dst=0 src0=0 src1=0 src2=0
	v_dual_mov_b32 v5, v2 :: v_dual_mov_b32 v6, v2
	v_dual_mov_b32 v7, v2 :: v_dual_mov_b32 v8, v2
	;; [unrolled: 1-line block ×12, first 2 shown]
	s_wait_loadcnt 0x1
	v_dual_mov_b32 v35, v2 :: v_dual_lshlrev_b32 v4, 16, v3
	s_wait_loadcnt 0x0
	s_set_vgpr_msb 0x44                     ;  msbs: dst=1 src0=0 src1=1 src2=0
	v_lshlrev_b32_e32 v43 /*v299*/, 16, v43 /*v299*/
.LBB107_152:                            ;   in Loop: Header=BB107_147 Depth=1
	s_or_b32 exec_lo, exec_lo, s2
	s_set_vgpr_msb 0x44                     ;  msbs: dst=1 src0=0 src1=1 src2=0
	v_add_nc_u64_e32 v[44:45] /*v[300:301]*/, 1, v[40:41] /*v[296:297]*/
	s_set_vgpr_msb 4                        ;  msbs: dst=0 src0=0 src1=1 src2=0
	v_mov_b32_e32 v3, 0
	s_delay_alu instid0(VALU_DEP_2)
	v_cmp_gt_i64_e32 vcc_lo, s[4:5], v[44:45] /*v[300:301]*/
	s_set_vgpr_msb 64                       ;  msbs: dst=1 src0=0 src1=0 src2=0
	v_mov_b32_e32 v44 /*v300*/, 0
	s_and_saveexec_b32 s2, vcc_lo
	s_set_vgpr_msb 0                        ;  msbs: dst=0 src0=0 src1=0 src2=0
	s_cbranch_execz .LBB107_154
; %bb.153:                              ;   in Loop: Header=BB107_147 Depth=1
	s_set_vgpr_msb 0x41                     ;  msbs: dst=1 src0=1 src1=0 src2=0
	v_add_nc_u64_e32 v[44:45] /*v[300:301]*/, v[32:33] /*v[288:289]*/, v[162:163]
	v_add_nc_u64_e32 v[46:47] /*v[302:303]*/, v[34:35] /*v[290:291]*/, v[162:163]
	s_set_vgpr_msb 1                        ;  msbs: dst=0 src0=1 src1=0 src2=0
	global_load_u16 v5, v[44:45] /*v[300:301]*/, off
	s_set_vgpr_msb 0x41                     ;  msbs: dst=1 src0=1 src1=0 src2=0
	global_load_u16 v48 /*v304*/, v[46:47] /*v[302:303]*/, off
	s_wait_loadcnt 0x1
	s_set_vgpr_msb 0                        ;  msbs: dst=0 src0=0 src1=0 src2=0
	v_lshlrev_b32_e32 v5, 16, v5
	s_wait_loadcnt 0x0
	s_set_vgpr_msb 0x44                     ;  msbs: dst=1 src0=0 src1=1 src2=0
	v_lshlrev_b32_e32 v44 /*v300*/, 16, v48 /*v304*/
.LBB107_154:                            ;   in Loop: Header=BB107_147 Depth=1
	s_or_b32 exec_lo, exec_lo, s2
	s_set_vgpr_msb 0x44                     ;  msbs: dst=1 src0=0 src1=1 src2=0
	v_add_nc_u64_e32 v[46:47] /*v[302:303]*/, 2, v[40:41] /*v[296:297]*/
	s_mov_b32 s2, exec_lo
	s_delay_alu instid0(VALU_DEP_1)
	v_cmpx_gt_i64_e64 s[4:5], v[46:47] /*v[302:303]*/
	s_set_vgpr_msb 0                        ;  msbs: dst=0 src0=0 src1=0 src2=0
	s_cbranch_execz .LBB107_156
; %bb.155:                              ;   in Loop: Header=BB107_147 Depth=1
	s_set_vgpr_msb 0x41                     ;  msbs: dst=1 src0=1 src1=0 src2=0
	v_add_nc_u64_e32 v[46:47] /*v[302:303]*/, v[28:29] /*v[284:285]*/, v[162:163]
	v_add_nc_u64_e32 v[48:49] /*v[304:305]*/, v[30:31] /*v[286:287]*/, v[162:163]
	s_set_vgpr_msb 1                        ;  msbs: dst=0 src0=1 src1=0 src2=0
	global_load_u16 v3, v[46:47] /*v[302:303]*/, off
	s_set_vgpr_msb 0x41                     ;  msbs: dst=1 src0=1 src1=0 src2=0
	global_load_u16 v45 /*v301*/, v[48:49] /*v[304:305]*/, off
	s_wait_loadcnt 0x1
	s_set_vgpr_msb 0                        ;  msbs: dst=0 src0=0 src1=0 src2=0
	v_lshlrev_b32_e32 v6, 16, v3
	s_wait_loadcnt 0x0
	s_set_vgpr_msb 4                        ;  msbs: dst=0 src0=0 src1=1 src2=0
	v_lshlrev_b32_e32 v3, 16, v45 /*v301*/
.LBB107_156:                            ;   in Loop: Header=BB107_147 Depth=1
	s_or_b32 exec_lo, exec_lo, s2
	s_set_vgpr_msb 0x44                     ;  msbs: dst=1 src0=0 src1=1 src2=0
	v_add_nc_u64_e32 v[46:47] /*v[302:303]*/, 3, v[40:41] /*v[296:297]*/
	v_mov_b32_e32 v45 /*v301*/, 0
	s_delay_alu instid0(VALU_DEP_2)
	v_cmp_gt_i64_e32 vcc_lo, s[4:5], v[46:47] /*v[302:303]*/
	v_mov_b32_e32 v46 /*v302*/, 0
	s_and_saveexec_b32 s2, vcc_lo
	s_set_vgpr_msb 0                        ;  msbs: dst=0 src0=0 src1=0 src2=0
	s_cbranch_execz .LBB107_158
; %bb.157:                              ;   in Loop: Header=BB107_147 Depth=1
	s_set_vgpr_msb 0x41                     ;  msbs: dst=1 src0=1 src1=0 src2=0
	v_add_nc_u64_e32 v[46:47] /*v[302:303]*/, v[24:25] /*v[280:281]*/, v[162:163]
	v_add_nc_u64_e32 v[48:49] /*v[304:305]*/, v[26:27] /*v[282:283]*/, v[162:163]
	s_set_vgpr_msb 1                        ;  msbs: dst=0 src0=1 src1=0 src2=0
	global_load_u16 v7, v[46:47] /*v[302:303]*/, off
	s_set_vgpr_msb 0x41                     ;  msbs: dst=1 src0=1 src1=0 src2=0
	global_load_u16 v50 /*v306*/, v[48:49] /*v[304:305]*/, off
	s_wait_loadcnt 0x1
	s_set_vgpr_msb 0                        ;  msbs: dst=0 src0=0 src1=0 src2=0
	v_lshlrev_b32_e32 v7, 16, v7
	s_wait_loadcnt 0x0
	s_set_vgpr_msb 0x44                     ;  msbs: dst=1 src0=0 src1=1 src2=0
	v_lshlrev_b32_e32 v46 /*v302*/, 16, v50 /*v306*/
.LBB107_158:                            ;   in Loop: Header=BB107_147 Depth=1
	s_or_b32 exec_lo, exec_lo, s2
	s_set_vgpr_msb 0x44                     ;  msbs: dst=1 src0=0 src1=1 src2=0
	v_add_nc_u64_e32 v[48:49] /*v[304:305]*/, 4, v[40:41] /*v[296:297]*/
	s_mov_b32 s2, exec_lo
	s_delay_alu instid0(VALU_DEP_1)
	v_cmpx_gt_i64_e64 s[4:5], v[48:49] /*v[304:305]*/
	s_set_vgpr_msb 0                        ;  msbs: dst=0 src0=0 src1=0 src2=0
	s_cbranch_execz .LBB107_160
; %bb.159:                              ;   in Loop: Header=BB107_147 Depth=1
	s_set_vgpr_msb 0x41                     ;  msbs: dst=1 src0=1 src1=0 src2=0
	v_add_nc_u64_e32 v[48:49] /*v[304:305]*/, v[20:21] /*v[276:277]*/, v[162:163]
	v_add_nc_u64_e32 v[50:51] /*v[306:307]*/, v[22:23] /*v[278:279]*/, v[162:163]
	s_set_vgpr_msb 1                        ;  msbs: dst=0 src0=1 src1=0 src2=0
	global_load_u16 v8, v[48:49] /*v[304:305]*/, off
	s_set_vgpr_msb 0x41                     ;  msbs: dst=1 src0=1 src1=0 src2=0
	global_load_u16 v45 /*v301*/, v[50:51] /*v[306:307]*/, off
	s_wait_loadcnt 0x1
	s_set_vgpr_msb 0                        ;  msbs: dst=0 src0=0 src1=0 src2=0
	v_lshlrev_b32_e32 v8, 16, v8
	s_wait_loadcnt 0x0
	s_set_vgpr_msb 0x44                     ;  msbs: dst=1 src0=0 src1=1 src2=0
	v_lshlrev_b32_e32 v45 /*v301*/, 16, v45 /*v301*/
.LBB107_160:                            ;   in Loop: Header=BB107_147 Depth=1
	s_or_b32 exec_lo, exec_lo, s2
	s_set_vgpr_msb 0x44                     ;  msbs: dst=1 src0=0 src1=1 src2=0
	v_add_nc_u64_e32 v[48:49] /*v[304:305]*/, 5, v[40:41] /*v[296:297]*/
	v_mov_b32_e32 v47 /*v303*/, 0
	s_delay_alu instid0(VALU_DEP_2)
	v_cmp_gt_i64_e32 vcc_lo, s[4:5], v[48:49] /*v[304:305]*/
	v_mov_b32_e32 v48 /*v304*/, 0
	s_and_saveexec_b32 s2, vcc_lo
	s_set_vgpr_msb 0                        ;  msbs: dst=0 src0=0 src1=0 src2=0
	s_cbranch_execz .LBB107_162
; %bb.161:                              ;   in Loop: Header=BB107_147 Depth=1
	s_set_vgpr_msb 0x41                     ;  msbs: dst=1 src0=1 src1=0 src2=0
	v_add_nc_u64_e32 v[48:49] /*v[304:305]*/, v[16:17] /*v[272:273]*/, v[162:163]
	v_add_nc_u64_e32 v[50:51] /*v[306:307]*/, v[18:19] /*v[274:275]*/, v[162:163]
	s_set_vgpr_msb 1                        ;  msbs: dst=0 src0=1 src1=0 src2=0
	global_load_u16 v9, v[48:49] /*v[304:305]*/, off
	s_set_vgpr_msb 0x41                     ;  msbs: dst=1 src0=1 src1=0 src2=0
	global_load_u16 v52 /*v308*/, v[50:51] /*v[306:307]*/, off
	s_wait_loadcnt 0x1
	s_set_vgpr_msb 0                        ;  msbs: dst=0 src0=0 src1=0 src2=0
	v_lshlrev_b32_e32 v9, 16, v9
	s_wait_loadcnt 0x0
	s_set_vgpr_msb 0x44                     ;  msbs: dst=1 src0=0 src1=1 src2=0
	v_lshlrev_b32_e32 v48 /*v304*/, 16, v52 /*v308*/
.LBB107_162:                            ;   in Loop: Header=BB107_147 Depth=1
	s_or_b32 exec_lo, exec_lo, s2
	s_set_vgpr_msb 0x44                     ;  msbs: dst=1 src0=0 src1=1 src2=0
	v_add_nc_u64_e32 v[50:51] /*v[306:307]*/, 6, v[40:41] /*v[296:297]*/
	s_mov_b32 s2, exec_lo
	s_delay_alu instid0(VALU_DEP_1)
	v_cmpx_gt_i64_e64 s[4:5], v[50:51] /*v[306:307]*/
	s_set_vgpr_msb 0                        ;  msbs: dst=0 src0=0 src1=0 src2=0
	s_cbranch_execz .LBB107_164
; %bb.163:                              ;   in Loop: Header=BB107_147 Depth=1
	s_set_vgpr_msb 0x41                     ;  msbs: dst=1 src0=1 src1=0 src2=0
	v_add_nc_u64_e32 v[50:51] /*v[306:307]*/, v[12:13] /*v[268:269]*/, v[162:163]
	v_add_nc_u64_e32 v[52:53] /*v[308:309]*/, v[14:15] /*v[270:271]*/, v[162:163]
	s_set_vgpr_msb 1                        ;  msbs: dst=0 src0=1 src1=0 src2=0
	global_load_u16 v10, v[50:51] /*v[306:307]*/, off
	s_set_vgpr_msb 0x41                     ;  msbs: dst=1 src0=1 src1=0 src2=0
	global_load_u16 v47 /*v303*/, v[52:53] /*v[308:309]*/, off
	s_wait_loadcnt 0x1
	s_set_vgpr_msb 0                        ;  msbs: dst=0 src0=0 src1=0 src2=0
	v_lshlrev_b32_e32 v10, 16, v10
	s_wait_loadcnt 0x0
	s_set_vgpr_msb 0x44                     ;  msbs: dst=1 src0=0 src1=1 src2=0
	v_lshlrev_b32_e32 v47 /*v303*/, 16, v47 /*v303*/
.LBB107_164:                            ;   in Loop: Header=BB107_147 Depth=1
	s_or_b32 exec_lo, exec_lo, s2
	s_set_vgpr_msb 0x44                     ;  msbs: dst=1 src0=0 src1=1 src2=0
	v_add_nc_u64_e32 v[50:51] /*v[306:307]*/, 7, v[40:41] /*v[296:297]*/
	s_delay_alu instid0(VALU_DEP_1)
	v_cmp_gt_i64_e32 vcc_lo, s[4:5], v[50:51] /*v[306:307]*/
	v_dual_mov_b32 v50 /*v306*/, 0 :: v_dual_mov_b32 v51 /*v307*/, 0
	s_and_saveexec_b32 s2, vcc_lo
	s_set_vgpr_msb 0                        ;  msbs: dst=0 src0=0 src1=0 src2=0
	s_cbranch_execz .LBB107_166
; %bb.165:                              ;   in Loop: Header=BB107_147 Depth=1
	s_set_vgpr_msb 0x41                     ;  msbs: dst=1 src0=1 src1=0 src2=0
	v_add_nc_u64_e32 v[52:53] /*v[308:309]*/, v[8:9] /*v[264:265]*/, v[162:163]
	v_add_nc_u64_e32 v[54:55] /*v[310:311]*/, v[10:11] /*v[266:267]*/, v[162:163]
	s_set_vgpr_msb 1                        ;  msbs: dst=0 src0=1 src1=0 src2=0
	global_load_u16 v11, v[52:53] /*v[308:309]*/, off
	s_set_vgpr_msb 0x41                     ;  msbs: dst=1 src0=1 src1=0 src2=0
	global_load_u16 v49 /*v305*/, v[54:55] /*v[310:311]*/, off
	s_wait_loadcnt 0x1
	s_set_vgpr_msb 0                        ;  msbs: dst=0 src0=0 src1=0 src2=0
	v_lshlrev_b32_e32 v11, 16, v11
	s_wait_loadcnt 0x0
	s_set_vgpr_msb 0x44                     ;  msbs: dst=1 src0=0 src1=1 src2=0
	v_lshlrev_b32_e32 v51 /*v307*/, 16, v49 /*v305*/
.LBB107_166:                            ;   in Loop: Header=BB107_147 Depth=1
	s_or_b32 exec_lo, exec_lo, s2
	s_set_vgpr_msb 0x44                     ;  msbs: dst=1 src0=0 src1=1 src2=0
	v_add_nc_u64_e32 v[52:53] /*v[308:309]*/, 8, v[40:41] /*v[296:297]*/
	s_mov_b32 s2, exec_lo
	s_delay_alu instid0(VALU_DEP_1)
	v_cmpx_gt_i64_e64 s[4:5], v[52:53] /*v[308:309]*/
	s_set_vgpr_msb 0                        ;  msbs: dst=0 src0=0 src1=0 src2=0
	s_cbranch_execz .LBB107_168
; %bb.167:                              ;   in Loop: Header=BB107_147 Depth=1
	s_set_vgpr_msb 0x41                     ;  msbs: dst=1 src0=1 src1=0 src2=0
	v_add_nc_u64_e32 v[52:53] /*v[308:309]*/, v[4:5] /*v[260:261]*/, v[162:163]
	v_add_nc_u64_e32 v[54:55] /*v[310:311]*/, v[6:7] /*v[262:263]*/, v[162:163]
	s_set_vgpr_msb 1                        ;  msbs: dst=0 src0=1 src1=0 src2=0
	global_load_u16 v12, v[52:53] /*v[308:309]*/, off
	s_set_vgpr_msb 0x41                     ;  msbs: dst=1 src0=1 src1=0 src2=0
	global_load_u16 v49 /*v305*/, v[54:55] /*v[310:311]*/, off
	s_wait_loadcnt 0x1
	s_set_vgpr_msb 0                        ;  msbs: dst=0 src0=0 src1=0 src2=0
	v_lshlrev_b32_e32 v12, 16, v12
	s_wait_loadcnt 0x0
	s_set_vgpr_msb 0x44                     ;  msbs: dst=1 src0=0 src1=1 src2=0
	v_lshlrev_b32_e32 v50 /*v306*/, 16, v49 /*v305*/
.LBB107_168:                            ;   in Loop: Header=BB107_147 Depth=1
	s_or_b32 exec_lo, exec_lo, s2
	s_set_vgpr_msb 0x44                     ;  msbs: dst=1 src0=0 src1=1 src2=0
	v_add_nc_u64_e32 v[52:53] /*v[308:309]*/, 9, v[40:41] /*v[296:297]*/
	v_dual_mov_b32 v54 /*v310*/, 0 :: v_dual_mov_b32 v56 /*v312*/, 0
	s_mov_b32 s2, exec_lo
	s_delay_alu instid0(VALU_DEP_2)
	v_cmpx_gt_i64_e64 s[4:5], v[52:53] /*v[308:309]*/
	s_set_vgpr_msb 0                        ;  msbs: dst=0 src0=0 src1=0 src2=0
	s_cbranch_execz .LBB107_170
; %bb.169:                              ;   in Loop: Header=BB107_147 Depth=1
	s_set_vgpr_msb 0x41                     ;  msbs: dst=1 src0=1 src1=0 src2=0
	v_add_nc_u64_e32 v[52:53] /*v[308:309]*/, v[0:1] /*v[256:257]*/, v[162:163]
	v_add_nc_u64_e32 v[56:57] /*v[312:313]*/, v[2:3] /*v[258:259]*/, v[162:163]
	s_set_vgpr_msb 1                        ;  msbs: dst=0 src0=1 src1=0 src2=0
	global_load_u16 v13, v[52:53] /*v[308:309]*/, off
	s_set_vgpr_msb 0x41                     ;  msbs: dst=1 src0=1 src1=0 src2=0
	global_load_u16 v49 /*v305*/, v[56:57] /*v[312:313]*/, off
	s_wait_loadcnt 0x1
	s_set_vgpr_msb 0                        ;  msbs: dst=0 src0=0 src1=0 src2=0
	v_lshlrev_b32_e32 v13, 16, v13
	s_wait_loadcnt 0x0
	s_set_vgpr_msb 0x44                     ;  msbs: dst=1 src0=0 src1=1 src2=0
	v_lshlrev_b32_e32 v56 /*v312*/, 16, v49 /*v305*/
.LBB107_170:                            ;   in Loop: Header=BB107_147 Depth=1
	s_or_b32 exec_lo, exec_lo, s2
	s_set_vgpr_msb 0x44                     ;  msbs: dst=1 src0=0 src1=1 src2=0
	v_add_nc_u64_e32 v[52:53] /*v[308:309]*/, 10, v[40:41] /*v[296:297]*/
	s_mov_b32 s2, exec_lo
	s_delay_alu instid0(VALU_DEP_1)
	v_cmpx_gt_i64_e64 s[4:5], v[52:53] /*v[308:309]*/
	s_set_vgpr_msb 0                        ;  msbs: dst=0 src0=0 src1=0 src2=0
	s_cbranch_execz .LBB107_172
; %bb.171:                              ;   in Loop: Header=BB107_147 Depth=1
	s_set_vgpr_msb 64                       ;  msbs: dst=1 src0=0 src1=0 src2=0
	v_add_nc_u64_e32 v[52:53] /*v[308:309]*/, v[252:253], v[162:163]
	v_add_nc_u64_e32 v[54:55] /*v[310:311]*/, v[254:255], v[162:163]
	s_set_vgpr_msb 1                        ;  msbs: dst=0 src0=1 src1=0 src2=0
	global_load_u16 v14, v[52:53] /*v[308:309]*/, off
	s_set_vgpr_msb 0x41                     ;  msbs: dst=1 src0=1 src1=0 src2=0
	global_load_u16 v49 /*v305*/, v[54:55] /*v[310:311]*/, off
	s_wait_loadcnt 0x1
	s_set_vgpr_msb 0                        ;  msbs: dst=0 src0=0 src1=0 src2=0
	v_lshlrev_b32_e32 v14, 16, v14
	s_wait_loadcnt 0x0
	s_set_vgpr_msb 0x44                     ;  msbs: dst=1 src0=0 src1=1 src2=0
	v_lshlrev_b32_e32 v54 /*v310*/, 16, v49 /*v305*/
.LBB107_172:                            ;   in Loop: Header=BB107_147 Depth=1
	s_or_b32 exec_lo, exec_lo, s2
	s_set_vgpr_msb 0x44                     ;  msbs: dst=1 src0=0 src1=1 src2=0
	v_add_nc_u64_e32 v[52:53] /*v[308:309]*/, 11, v[40:41] /*v[296:297]*/
	v_mov_b32_e32 v49 /*v305*/, 0
	s_delay_alu instid0(VALU_DEP_2)
	v_cmp_gt_i64_e32 vcc_lo, s[4:5], v[52:53] /*v[308:309]*/
	v_mov_b32_e32 v52 /*v308*/, 0
	s_and_saveexec_b32 s2, vcc_lo
	s_set_vgpr_msb 0                        ;  msbs: dst=0 src0=0 src1=0 src2=0
	s_cbranch_execz .LBB107_174
; %bb.173:                              ;   in Loop: Header=BB107_147 Depth=1
	s_set_vgpr_msb 64                       ;  msbs: dst=1 src0=0 src1=0 src2=0
	v_add_nc_u64_e32 v[52:53] /*v[308:309]*/, v[248:249], v[162:163]
	v_add_nc_u64_e32 v[58:59] /*v[314:315]*/, v[250:251], v[162:163]
	s_set_vgpr_msb 1                        ;  msbs: dst=0 src0=1 src1=0 src2=0
	global_load_u16 v15, v[52:53] /*v[308:309]*/, off
	s_set_vgpr_msb 0x41                     ;  msbs: dst=1 src0=1 src1=0 src2=0
	global_load_u16 v55 /*v311*/, v[58:59] /*v[314:315]*/, off
	s_wait_loadcnt 0x1
	s_set_vgpr_msb 0                        ;  msbs: dst=0 src0=0 src1=0 src2=0
	v_lshlrev_b32_e32 v15, 16, v15
	s_wait_loadcnt 0x0
	s_set_vgpr_msb 0x44                     ;  msbs: dst=1 src0=0 src1=1 src2=0
	v_lshlrev_b32_e32 v52 /*v308*/, 16, v55 /*v311*/
.LBB107_174:                            ;   in Loop: Header=BB107_147 Depth=1
	s_or_b32 exec_lo, exec_lo, s2
	s_set_vgpr_msb 0x44                     ;  msbs: dst=1 src0=0 src1=1 src2=0
	v_add_nc_u64_e32 v[58:59] /*v[314:315]*/, 12, v[40:41] /*v[296:297]*/
	s_mov_b32 s2, exec_lo
	s_delay_alu instid0(VALU_DEP_1)
	v_cmpx_gt_i64_e64 s[4:5], v[58:59] /*v[314:315]*/
	s_set_vgpr_msb 0                        ;  msbs: dst=0 src0=0 src1=0 src2=0
	s_cbranch_execz .LBB107_176
; %bb.175:                              ;   in Loop: Header=BB107_147 Depth=1
	s_set_vgpr_msb 64                       ;  msbs: dst=1 src0=0 src1=0 src2=0
	v_add_nc_u64_e32 v[58:59] /*v[314:315]*/, v[244:245], v[162:163]
	v_add_nc_u64_e32 v[60:61] /*v[316:317]*/, v[246:247], v[162:163]
	s_set_vgpr_msb 1                        ;  msbs: dst=0 src0=1 src1=0 src2=0
	global_load_u16 v16, v[58:59] /*v[314:315]*/, off
	s_set_vgpr_msb 0x41                     ;  msbs: dst=1 src0=1 src1=0 src2=0
	global_load_u16 v49 /*v305*/, v[60:61] /*v[316:317]*/, off
	s_wait_loadcnt 0x1
	s_set_vgpr_msb 0                        ;  msbs: dst=0 src0=0 src1=0 src2=0
	v_lshlrev_b32_e32 v16, 16, v16
	s_wait_loadcnt 0x0
	s_set_vgpr_msb 0x44                     ;  msbs: dst=1 src0=0 src1=1 src2=0
	v_lshlrev_b32_e32 v49 /*v305*/, 16, v49 /*v305*/
.LBB107_176:                            ;   in Loop: Header=BB107_147 Depth=1
	s_or_b32 exec_lo, exec_lo, s2
	s_set_vgpr_msb 0x44                     ;  msbs: dst=1 src0=0 src1=1 src2=0
	v_add_nc_u64_e32 v[58:59] /*v[314:315]*/, 13, v[40:41] /*v[296:297]*/
	v_dual_mov_b32 v53 /*v309*/, 0 :: v_dual_mov_b32 v55 /*v311*/, 0
	s_mov_b32 s2, exec_lo
	s_delay_alu instid0(VALU_DEP_2)
	v_cmpx_gt_i64_e64 s[4:5], v[58:59] /*v[314:315]*/
	s_set_vgpr_msb 0                        ;  msbs: dst=0 src0=0 src1=0 src2=0
	s_cbranch_execz .LBB107_178
; %bb.177:                              ;   in Loop: Header=BB107_147 Depth=1
	s_set_vgpr_msb 64                       ;  msbs: dst=1 src0=0 src1=0 src2=0
	v_add_nc_u64_e32 v[58:59] /*v[314:315]*/, v[240:241], v[162:163]
	v_add_nc_u64_e32 v[60:61] /*v[316:317]*/, v[242:243], v[162:163]
	s_set_vgpr_msb 1                        ;  msbs: dst=0 src0=1 src1=0 src2=0
	global_load_u16 v17, v[58:59] /*v[314:315]*/, off
	s_set_vgpr_msb 0x41                     ;  msbs: dst=1 src0=1 src1=0 src2=0
	global_load_u16 v55 /*v311*/, v[60:61] /*v[316:317]*/, off
	s_wait_loadcnt 0x1
	s_set_vgpr_msb 0                        ;  msbs: dst=0 src0=0 src1=0 src2=0
	v_lshlrev_b32_e32 v17, 16, v17
	s_wait_loadcnt 0x0
	s_set_vgpr_msb 0x44                     ;  msbs: dst=1 src0=0 src1=1 src2=0
	v_lshlrev_b32_e32 v55 /*v311*/, 16, v55 /*v311*/
.LBB107_178:                            ;   in Loop: Header=BB107_147 Depth=1
	s_or_b32 exec_lo, exec_lo, s2
	s_set_vgpr_msb 0x44                     ;  msbs: dst=1 src0=0 src1=1 src2=0
	v_add_nc_u64_e32 v[58:59] /*v[314:315]*/, 14, v[40:41] /*v[296:297]*/
	s_mov_b32 s2, exec_lo
	s_delay_alu instid0(VALU_DEP_1)
	v_cmpx_gt_i64_e64 s[4:5], v[58:59] /*v[314:315]*/
	s_set_vgpr_msb 0                        ;  msbs: dst=0 src0=0 src1=0 src2=0
	s_cbranch_execz .LBB107_180
; %bb.179:                              ;   in Loop: Header=BB107_147 Depth=1
	s_set_vgpr_msb 64                       ;  msbs: dst=1 src0=0 src1=0 src2=0
	v_add_nc_u64_e32 v[58:59] /*v[314:315]*/, v[236:237], v[162:163]
	v_add_nc_u64_e32 v[60:61] /*v[316:317]*/, v[238:239], v[162:163]
	s_set_vgpr_msb 1                        ;  msbs: dst=0 src0=1 src1=0 src2=0
	global_load_u16 v18, v[58:59] /*v[314:315]*/, off
	s_set_vgpr_msb 0x41                     ;  msbs: dst=1 src0=1 src1=0 src2=0
	global_load_u16 v53 /*v309*/, v[60:61] /*v[316:317]*/, off
	s_wait_loadcnt 0x1
	s_set_vgpr_msb 0                        ;  msbs: dst=0 src0=0 src1=0 src2=0
	v_lshlrev_b32_e32 v18, 16, v18
	s_wait_loadcnt 0x0
	s_set_vgpr_msb 0x44                     ;  msbs: dst=1 src0=0 src1=1 src2=0
	v_lshlrev_b32_e32 v53 /*v309*/, 16, v53 /*v309*/
.LBB107_180:                            ;   in Loop: Header=BB107_147 Depth=1
	s_or_b32 exec_lo, exec_lo, s2
	s_set_vgpr_msb 0x44                     ;  msbs: dst=1 src0=0 src1=1 src2=0
	v_add_nc_u64_e32 v[58:59] /*v[314:315]*/, 15, v[40:41] /*v[296:297]*/
	v_mov_b32_e32 v57 /*v313*/, 0
	s_delay_alu instid0(VALU_DEP_2)
	v_cmp_gt_i64_e32 vcc_lo, s[4:5], v[58:59] /*v[314:315]*/
	v_mov_b32_e32 v58 /*v314*/, 0
	s_and_saveexec_b32 s2, vcc_lo
	s_set_vgpr_msb 0                        ;  msbs: dst=0 src0=0 src1=0 src2=0
	s_cbranch_execz .LBB107_182
; %bb.181:                              ;   in Loop: Header=BB107_147 Depth=1
	s_set_vgpr_msb 64                       ;  msbs: dst=1 src0=0 src1=0 src2=0
	v_add_nc_u64_e32 v[58:59] /*v[314:315]*/, v[232:233], v[162:163]
	v_add_nc_u64_e32 v[60:61] /*v[316:317]*/, v[234:235], v[162:163]
	s_set_vgpr_msb 1                        ;  msbs: dst=0 src0=1 src1=0 src2=0
	global_load_u16 v19, v[58:59] /*v[314:315]*/, off
	s_set_vgpr_msb 0x41                     ;  msbs: dst=1 src0=1 src1=0 src2=0
	global_load_u16 v62 /*v318*/, v[60:61] /*v[316:317]*/, off
	s_wait_loadcnt 0x1
	s_set_vgpr_msb 0                        ;  msbs: dst=0 src0=0 src1=0 src2=0
	v_lshlrev_b32_e32 v19, 16, v19
	s_wait_loadcnt 0x0
	s_set_vgpr_msb 0x44                     ;  msbs: dst=1 src0=0 src1=1 src2=0
	v_lshlrev_b32_e32 v58 /*v314*/, 16, v62 /*v318*/
.LBB107_182:                            ;   in Loop: Header=BB107_147 Depth=1
	s_or_b32 exec_lo, exec_lo, s2
	s_set_vgpr_msb 0x44                     ;  msbs: dst=1 src0=0 src1=1 src2=0
	v_add_nc_u64_e32 v[60:61] /*v[316:317]*/, 16, v[40:41] /*v[296:297]*/
	s_mov_b32 s2, exec_lo
	s_delay_alu instid0(VALU_DEP_1)
	v_cmpx_gt_i64_e64 s[4:5], v[60:61] /*v[316:317]*/
	s_set_vgpr_msb 0                        ;  msbs: dst=0 src0=0 src1=0 src2=0
	s_cbranch_execz .LBB107_184
; %bb.183:                              ;   in Loop: Header=BB107_147 Depth=1
	s_set_vgpr_msb 64                       ;  msbs: dst=1 src0=0 src1=0 src2=0
	v_add_nc_u64_e32 v[60:61] /*v[316:317]*/, v[228:229], v[162:163]
	v_add_nc_u64_e32 v[62:63] /*v[318:319]*/, v[230:231], v[162:163]
	s_set_vgpr_msb 1                        ;  msbs: dst=0 src0=1 src1=0 src2=0
	global_load_u16 v20, v[60:61] /*v[316:317]*/, off
	s_set_vgpr_msb 0x41                     ;  msbs: dst=1 src0=1 src1=0 src2=0
	global_load_u16 v57 /*v313*/, v[62:63] /*v[318:319]*/, off
	s_wait_loadcnt 0x1
	s_set_vgpr_msb 0                        ;  msbs: dst=0 src0=0 src1=0 src2=0
	v_lshlrev_b32_e32 v20, 16, v20
	s_wait_loadcnt 0x0
	s_set_vgpr_msb 0x44                     ;  msbs: dst=1 src0=0 src1=1 src2=0
	v_lshlrev_b32_e32 v57 /*v313*/, 16, v57 /*v313*/
.LBB107_184:                            ;   in Loop: Header=BB107_147 Depth=1
	s_or_b32 exec_lo, exec_lo, s2
	s_set_vgpr_msb 0x44                     ;  msbs: dst=1 src0=0 src1=1 src2=0
	v_add_nc_u64_e32 v[60:61] /*v[316:317]*/, 17, v[40:41] /*v[296:297]*/
	v_mov_b32_e32 v59 /*v315*/, 0
	s_delay_alu instid0(VALU_DEP_2)
	v_cmp_gt_i64_e32 vcc_lo, s[4:5], v[60:61] /*v[316:317]*/
	v_mov_b32_e32 v61 /*v317*/, 0
	s_and_saveexec_b32 s2, vcc_lo
	s_set_vgpr_msb 0                        ;  msbs: dst=0 src0=0 src1=0 src2=0
	s_cbranch_execz .LBB107_186
; %bb.185:                              ;   in Loop: Header=BB107_147 Depth=1
	s_set_vgpr_msb 64                       ;  msbs: dst=1 src0=0 src1=0 src2=0
	v_add_nc_u64_e32 v[60:61] /*v[316:317]*/, v[224:225], v[162:163]
	v_add_nc_u64_e32 v[62:63] /*v[318:319]*/, v[226:227], v[162:163]
	s_set_vgpr_msb 1                        ;  msbs: dst=0 src0=1 src1=0 src2=0
	global_load_u16 v21, v[60:61] /*v[316:317]*/, off
	s_set_vgpr_msb 0x41                     ;  msbs: dst=1 src0=1 src1=0 src2=0
	global_load_u16 v64 /*v320*/, v[62:63] /*v[318:319]*/, off
	s_wait_loadcnt 0x1
	s_set_vgpr_msb 0                        ;  msbs: dst=0 src0=0 src1=0 src2=0
	v_lshlrev_b32_e32 v21, 16, v21
	s_wait_loadcnt 0x0
	s_set_vgpr_msb 0x44                     ;  msbs: dst=1 src0=0 src1=1 src2=0
	v_lshlrev_b32_e32 v61 /*v317*/, 16, v64 /*v320*/
.LBB107_186:                            ;   in Loop: Header=BB107_147 Depth=1
	s_or_b32 exec_lo, exec_lo, s2
	s_set_vgpr_msb 0x44                     ;  msbs: dst=1 src0=0 src1=1 src2=0
	v_add_nc_u64_e32 v[62:63] /*v[318:319]*/, 18, v[40:41] /*v[296:297]*/
	s_mov_b32 s2, exec_lo
	s_delay_alu instid0(VALU_DEP_1)
	v_cmpx_gt_i64_e64 s[4:5], v[62:63] /*v[318:319]*/
	s_set_vgpr_msb 0                        ;  msbs: dst=0 src0=0 src1=0 src2=0
	s_cbranch_execz .LBB107_188
; %bb.187:                              ;   in Loop: Header=BB107_147 Depth=1
	s_set_vgpr_msb 64                       ;  msbs: dst=1 src0=0 src1=0 src2=0
	v_add_nc_u64_e32 v[62:63] /*v[318:319]*/, v[220:221], v[162:163]
	v_add_nc_u64_e32 v[64:65] /*v[320:321]*/, v[222:223], v[162:163]
	s_set_vgpr_msb 1                        ;  msbs: dst=0 src0=1 src1=0 src2=0
	global_load_u16 v22, v[62:63] /*v[318:319]*/, off
	s_set_vgpr_msb 0x41                     ;  msbs: dst=1 src0=1 src1=0 src2=0
	global_load_u16 v59 /*v315*/, v[64:65] /*v[320:321]*/, off
	s_wait_loadcnt 0x1
	s_set_vgpr_msb 0                        ;  msbs: dst=0 src0=0 src1=0 src2=0
	v_lshlrev_b32_e32 v22, 16, v22
	s_wait_loadcnt 0x0
	s_set_vgpr_msb 0x44                     ;  msbs: dst=1 src0=0 src1=1 src2=0
	v_lshlrev_b32_e32 v59 /*v315*/, 16, v59 /*v315*/
.LBB107_188:                            ;   in Loop: Header=BB107_147 Depth=1
	s_or_b32 exec_lo, exec_lo, s2
	s_set_vgpr_msb 0x44                     ;  msbs: dst=1 src0=0 src1=1 src2=0
	v_add_nc_u64_e32 v[62:63] /*v[318:319]*/, 19, v[40:41] /*v[296:297]*/
	v_dual_mov_b32 v64 /*v320*/, 0 :: v_dual_mov_b32 v65 /*v321*/, 0
	s_mov_b32 s2, exec_lo
	s_delay_alu instid0(VALU_DEP_2)
	v_cmpx_gt_i64_e64 s[4:5], v[62:63] /*v[318:319]*/
	s_set_vgpr_msb 0                        ;  msbs: dst=0 src0=0 src1=0 src2=0
	s_cbranch_execz .LBB107_190
; %bb.189:                              ;   in Loop: Header=BB107_147 Depth=1
	s_set_vgpr_msb 64                       ;  msbs: dst=1 src0=0 src1=0 src2=0
	v_add_nc_u64_e32 v[62:63] /*v[318:319]*/, v[216:217], v[162:163]
	v_add_nc_u64_e32 v[66:67] /*v[322:323]*/, v[218:219], v[162:163]
	s_set_vgpr_msb 1                        ;  msbs: dst=0 src0=1 src1=0 src2=0
	global_load_u16 v23, v[62:63] /*v[318:319]*/, off
	s_set_vgpr_msb 0x41                     ;  msbs: dst=1 src0=1 src1=0 src2=0
	global_load_u16 v60 /*v316*/, v[66:67] /*v[322:323]*/, off
	s_wait_loadcnt 0x1
	s_set_vgpr_msb 0                        ;  msbs: dst=0 src0=0 src1=0 src2=0
	v_lshlrev_b32_e32 v23, 16, v23
	s_wait_loadcnt 0x0
	s_set_vgpr_msb 0x44                     ;  msbs: dst=1 src0=0 src1=1 src2=0
	v_lshlrev_b32_e32 v65 /*v321*/, 16, v60 /*v316*/
.LBB107_190:                            ;   in Loop: Header=BB107_147 Depth=1
	s_or_b32 exec_lo, exec_lo, s2
	s_set_vgpr_msb 0x44                     ;  msbs: dst=1 src0=0 src1=1 src2=0
	v_add_nc_u64_e32 v[62:63] /*v[318:319]*/, 20, v[40:41] /*v[296:297]*/
	s_mov_b32 s2, exec_lo
	s_delay_alu instid0(VALU_DEP_1)
	v_cmpx_gt_i64_e64 s[4:5], v[62:63] /*v[318:319]*/
	s_set_vgpr_msb 0                        ;  msbs: dst=0 src0=0 src1=0 src2=0
	s_cbranch_execz .LBB107_192
; %bb.191:                              ;   in Loop: Header=BB107_147 Depth=1
	s_set_vgpr_msb 64                       ;  msbs: dst=1 src0=0 src1=0 src2=0
	v_add_nc_u64_e32 v[62:63] /*v[318:319]*/, v[212:213], v[162:163]
	v_add_nc_u64_e32 v[66:67] /*v[322:323]*/, v[214:215], v[162:163]
	s_set_vgpr_msb 1                        ;  msbs: dst=0 src0=1 src1=0 src2=0
	global_load_u16 v24, v[62:63] /*v[318:319]*/, off
	s_set_vgpr_msb 0x41                     ;  msbs: dst=1 src0=1 src1=0 src2=0
	global_load_u16 v60 /*v316*/, v[66:67] /*v[322:323]*/, off
	s_wait_loadcnt 0x1
	s_set_vgpr_msb 0                        ;  msbs: dst=0 src0=0 src1=0 src2=0
	v_lshlrev_b32_e32 v24, 16, v24
	s_wait_loadcnt 0x0
	s_set_vgpr_msb 0x44                     ;  msbs: dst=1 src0=0 src1=1 src2=0
	v_lshlrev_b32_e32 v64 /*v320*/, 16, v60 /*v316*/
.LBB107_192:                            ;   in Loop: Header=BB107_147 Depth=1
	s_or_b32 exec_lo, exec_lo, s2
	s_set_vgpr_msb 0x44                     ;  msbs: dst=1 src0=0 src1=1 src2=0
	v_add_nc_u64_e32 v[62:63] /*v[318:319]*/, 21, v[40:41] /*v[296:297]*/
	v_dual_mov_b32 v60 /*v316*/, 0 :: v_dual_mov_b32 v71 /*v327*/, 0
	s_mov_b32 s2, exec_lo
	s_delay_alu instid0(VALU_DEP_2)
	v_cmpx_gt_i64_e64 s[4:5], v[62:63] /*v[318:319]*/
	s_set_vgpr_msb 0                        ;  msbs: dst=0 src0=0 src1=0 src2=0
	s_cbranch_execz .LBB107_194
; %bb.193:                              ;   in Loop: Header=BB107_147 Depth=1
	s_set_vgpr_msb 64                       ;  msbs: dst=1 src0=0 src1=0 src2=0
	v_add_nc_u64_e32 v[62:63] /*v[318:319]*/, v[208:209], v[162:163]
	v_add_nc_u64_e32 v[66:67] /*v[322:323]*/, v[210:211], v[162:163]
	s_set_vgpr_msb 1                        ;  msbs: dst=0 src0=1 src1=0 src2=0
	global_load_u16 v25, v[62:63] /*v[318:319]*/, off
	s_set_vgpr_msb 0x41                     ;  msbs: dst=1 src0=1 src1=0 src2=0
	global_load_u16 v68 /*v324*/, v[66:67] /*v[322:323]*/, off
	s_wait_loadcnt 0x1
	s_set_vgpr_msb 0                        ;  msbs: dst=0 src0=0 src1=0 src2=0
	v_lshlrev_b32_e32 v25, 16, v25
	s_wait_loadcnt 0x0
	s_set_vgpr_msb 0x44                     ;  msbs: dst=1 src0=0 src1=1 src2=0
	v_lshlrev_b32_e32 v71 /*v327*/, 16, v68 /*v324*/
.LBB107_194:                            ;   in Loop: Header=BB107_147 Depth=1
	s_or_b32 exec_lo, exec_lo, s2
	s_set_vgpr_msb 0x44                     ;  msbs: dst=1 src0=0 src1=1 src2=0
	v_add_nc_u64_e32 v[62:63] /*v[318:319]*/, 22, v[40:41] /*v[296:297]*/
	s_mov_b32 s2, exec_lo
	s_delay_alu instid0(VALU_DEP_1)
	v_cmpx_gt_i64_e64 s[4:5], v[62:63] /*v[318:319]*/
	s_set_vgpr_msb 0                        ;  msbs: dst=0 src0=0 src1=0 src2=0
	s_cbranch_execz .LBB107_196
; %bb.195:                              ;   in Loop: Header=BB107_147 Depth=1
	s_set_vgpr_msb 64                       ;  msbs: dst=1 src0=0 src1=0 src2=0
	v_add_nc_u64_e32 v[62:63] /*v[318:319]*/, v[204:205], v[162:163]
	v_add_nc_u64_e32 v[66:67] /*v[322:323]*/, v[206:207], v[162:163]
	s_set_vgpr_msb 1                        ;  msbs: dst=0 src0=1 src1=0 src2=0
	global_load_u16 v26, v[62:63] /*v[318:319]*/, off
	s_set_vgpr_msb 0x41                     ;  msbs: dst=1 src0=1 src1=0 src2=0
	global_load_u16 v60 /*v316*/, v[66:67] /*v[322:323]*/, off
	s_wait_loadcnt 0x1
	s_set_vgpr_msb 0                        ;  msbs: dst=0 src0=0 src1=0 src2=0
	v_lshlrev_b32_e32 v26, 16, v26
	s_wait_loadcnt 0x0
	s_set_vgpr_msb 0x44                     ;  msbs: dst=1 src0=0 src1=1 src2=0
	v_lshlrev_b32_e32 v60 /*v316*/, 16, v60 /*v316*/
.LBB107_196:                            ;   in Loop: Header=BB107_147 Depth=1
	s_or_b32 exec_lo, exec_lo, s2
	s_set_vgpr_msb 0x44                     ;  msbs: dst=1 src0=0 src1=1 src2=0
	v_add_nc_u64_e32 v[62:63] /*v[318:319]*/, 23, v[40:41] /*v[296:297]*/
	s_delay_alu instid0(VALU_DEP_1)
	v_cmp_gt_i64_e32 vcc_lo, s[4:5], v[62:63] /*v[318:319]*/
	v_dual_mov_b32 v62 /*v318*/, 0 :: v_dual_mov_b32 v63 /*v319*/, 0
	s_and_saveexec_b32 s2, vcc_lo
	s_set_vgpr_msb 0                        ;  msbs: dst=0 src0=0 src1=0 src2=0
	s_cbranch_execz .LBB107_198
; %bb.197:                              ;   in Loop: Header=BB107_147 Depth=1
	s_set_vgpr_msb 64                       ;  msbs: dst=1 src0=0 src1=0 src2=0
	v_add_nc_u64_e32 v[66:67] /*v[322:323]*/, v[200:201], v[162:163]
	v_add_nc_u64_e32 v[68:69] /*v[324:325]*/, v[202:203], v[162:163]
	s_set_vgpr_msb 1                        ;  msbs: dst=0 src0=1 src1=0 src2=0
	global_load_u16 v27, v[66:67] /*v[322:323]*/, off
	s_set_vgpr_msb 0x41                     ;  msbs: dst=1 src0=1 src1=0 src2=0
	global_load_u16 v63 /*v319*/, v[68:69] /*v[324:325]*/, off
	s_wait_loadcnt 0x1
	s_set_vgpr_msb 0                        ;  msbs: dst=0 src0=0 src1=0 src2=0
	v_lshlrev_b32_e32 v27, 16, v27
	s_wait_loadcnt 0x0
	s_set_vgpr_msb 0x44                     ;  msbs: dst=1 src0=0 src1=1 src2=0
	v_lshlrev_b32_e32 v63 /*v319*/, 16, v63 /*v319*/
.LBB107_198:                            ;   in Loop: Header=BB107_147 Depth=1
	s_or_b32 exec_lo, exec_lo, s2
	s_set_vgpr_msb 0x44                     ;  msbs: dst=1 src0=0 src1=1 src2=0
	v_add_nc_u64_e32 v[66:67] /*v[322:323]*/, 24, v[40:41] /*v[296:297]*/
	s_mov_b32 s2, exec_lo
	s_delay_alu instid0(VALU_DEP_1)
	v_cmpx_gt_i64_e64 s[4:5], v[66:67] /*v[322:323]*/
	s_set_vgpr_msb 0                        ;  msbs: dst=0 src0=0 src1=0 src2=0
	s_cbranch_execz .LBB107_200
; %bb.199:                              ;   in Loop: Header=BB107_147 Depth=1
	s_set_vgpr_msb 64                       ;  msbs: dst=1 src0=0 src1=0 src2=0
	v_add_nc_u64_e32 v[66:67] /*v[322:323]*/, v[196:197], v[162:163]
	v_add_nc_u64_e32 v[68:69] /*v[324:325]*/, v[198:199], v[162:163]
	s_set_vgpr_msb 1                        ;  msbs: dst=0 src0=1 src1=0 src2=0
	global_load_u16 v28, v[66:67] /*v[322:323]*/, off
	s_set_vgpr_msb 0x41                     ;  msbs: dst=1 src0=1 src1=0 src2=0
	global_load_u16 v62 /*v318*/, v[68:69] /*v[324:325]*/, off
	s_wait_loadcnt 0x1
	s_set_vgpr_msb 0                        ;  msbs: dst=0 src0=0 src1=0 src2=0
	v_lshlrev_b32_e32 v28, 16, v28
	s_wait_loadcnt 0x0
	s_set_vgpr_msb 0x44                     ;  msbs: dst=1 src0=0 src1=1 src2=0
	v_lshlrev_b32_e32 v62 /*v318*/, 16, v62 /*v318*/
.LBB107_200:                            ;   in Loop: Header=BB107_147 Depth=1
	s_or_b32 exec_lo, exec_lo, s2
	s_set_vgpr_msb 0x44                     ;  msbs: dst=1 src0=0 src1=1 src2=0
	v_add_nc_u64_e32 v[66:67] /*v[322:323]*/, 25, v[40:41] /*v[296:297]*/
	s_delay_alu instid0(VALU_DEP_1)
	v_cmp_gt_i64_e32 vcc_lo, s[4:5], v[66:67] /*v[322:323]*/
	v_dual_mov_b32 v66 /*v322*/, 0 :: v_dual_mov_b32 v67 /*v323*/, 0
	s_and_saveexec_b32 s2, vcc_lo
	;; [unrolled: 47-line block ×4, first 2 shown]
	s_set_vgpr_msb 0                        ;  msbs: dst=0 src0=0 src1=0 src2=0
	s_cbranch_execz .LBB107_210
; %bb.209:                              ;   in Loop: Header=BB107_147 Depth=1
	s_set_vgpr_msb 64                       ;  msbs: dst=1 src0=0 src1=0 src2=0
	v_add_nc_u64_e32 v[74:75] /*v[330:331]*/, v[176:177], v[162:163]
	v_add_nc_u64_e32 v[76:77] /*v[332:333]*/, v[178:179], v[162:163]
	s_set_vgpr_msb 1                        ;  msbs: dst=0 src0=1 src1=0 src2=0
	global_load_u16 v33, v[74:75] /*v[330:331]*/, off
	s_set_vgpr_msb 0x41                     ;  msbs: dst=1 src0=1 src1=0 src2=0
	global_load_u16 v70 /*v326*/, v[76:77] /*v[332:333]*/, off
	s_wait_loadcnt 0x1
	s_set_vgpr_msb 0                        ;  msbs: dst=0 src0=0 src1=0 src2=0
	v_lshlrev_b32_e32 v33, 16, v33
	s_wait_loadcnt 0x0
	s_set_vgpr_msb 0x44                     ;  msbs: dst=1 src0=0 src1=1 src2=0
	v_lshlrev_b32_e32 v73 /*v329*/, 16, v70 /*v326*/
.LBB107_210:                            ;   in Loop: Header=BB107_147 Depth=1
	s_or_b32 exec_lo, exec_lo, s2
	s_set_vgpr_msb 0x44                     ;  msbs: dst=1 src0=0 src1=1 src2=0
	v_add_nc_u64_e32 v[74:75] /*v[330:331]*/, 30, v[40:41] /*v[296:297]*/
	s_mov_b32 s2, exec_lo
	s_delay_alu instid0(VALU_DEP_1)
	v_cmpx_gt_i64_e64 s[4:5], v[74:75] /*v[330:331]*/
	s_set_vgpr_msb 0                        ;  msbs: dst=0 src0=0 src1=0 src2=0
	s_cbranch_execz .LBB107_212
; %bb.211:                              ;   in Loop: Header=BB107_147 Depth=1
	s_set_vgpr_msb 64                       ;  msbs: dst=1 src0=0 src1=0 src2=0
	v_add_nc_u64_e32 v[74:75] /*v[330:331]*/, v[172:173], v[162:163]
	v_add_nc_u64_e32 v[76:77] /*v[332:333]*/, v[174:175], v[162:163]
	s_set_vgpr_msb 1                        ;  msbs: dst=0 src0=1 src1=0 src2=0
	global_load_u16 v34, v[74:75] /*v[330:331]*/, off
	s_set_vgpr_msb 0x41                     ;  msbs: dst=1 src0=1 src1=0 src2=0
	global_load_u16 v70 /*v326*/, v[76:77] /*v[332:333]*/, off
	s_wait_loadcnt 0x1
	s_set_vgpr_msb 0                        ;  msbs: dst=0 src0=0 src1=0 src2=0
	v_lshlrev_b32_e32 v34, 16, v34
	s_wait_loadcnt 0x0
	s_set_vgpr_msb 0x44                     ;  msbs: dst=1 src0=0 src1=1 src2=0
	v_lshlrev_b32_e32 v72 /*v328*/, 16, v70 /*v326*/
.LBB107_212:                            ;   in Loop: Header=BB107_147 Depth=1
	s_or_b32 exec_lo, exec_lo, s2
	s_set_vgpr_msb 0x44                     ;  msbs: dst=1 src0=0 src1=1 src2=0
	v_add_nc_u64_e32 v[74:75] /*v[330:331]*/, 31, v[40:41] /*v[296:297]*/
	v_mov_b32_e32 v70 /*v326*/, 0
	s_mov_b32 s2, exec_lo
	s_delay_alu instid0(VALU_DEP_2)
	v_cmpx_gt_i64_e64 s[4:5], v[74:75] /*v[330:331]*/
	s_set_vgpr_msb 0                        ;  msbs: dst=0 src0=0 src1=0 src2=0
	s_cbranch_execz .LBB107_214
; %bb.213:                              ;   in Loop: Header=BB107_147 Depth=1
	s_set_vgpr_msb 64                       ;  msbs: dst=1 src0=0 src1=0 src2=0
	v_add_nc_u64_e32 v[74:75] /*v[330:331]*/, v[168:169], v[162:163]
	v_add_nc_u64_e32 v[76:77] /*v[332:333]*/, v[170:171], v[162:163]
	s_set_vgpr_msb 1                        ;  msbs: dst=0 src0=1 src1=0 src2=0
	global_load_u16 v35, v[74:75] /*v[330:331]*/, off
	s_set_vgpr_msb 0x41                     ;  msbs: dst=1 src0=1 src1=0 src2=0
	global_load_u16 v70 /*v326*/, v[76:77] /*v[332:333]*/, off
	s_wait_loadcnt 0x1
	s_set_vgpr_msb 0                        ;  msbs: dst=0 src0=0 src1=0 src2=0
	v_lshlrev_b32_e32 v35, 16, v35
	s_wait_loadcnt 0x0
	s_set_vgpr_msb 0x44                     ;  msbs: dst=1 src0=0 src1=1 src2=0
	v_lshlrev_b32_e32 v70 /*v326*/, 16, v70 /*v326*/
.LBB107_214:                            ;   in Loop: Header=BB107_147 Depth=1
	s_or_b32 exec_lo, exec_lo, s2
	s_wait_loadcnt 0x1
	s_set_vgpr_msb 0x44                     ;  msbs: dst=1 src0=0 src1=1 src2=0
	ds_bpermute_b32 v75 /*v331*/, v2, v36 /*v292*/
	s_wait_loadcnt 0x0
	ds_bpermute_b32 v74 /*v330*/, v2, v37 /*v293*/
	v_dual_mov_b32 v78 /*v334*/, v6 :: v_dual_mov_b32 v84 /*v340*/, v12
	v_dual_mov_b32 v86 /*v342*/, v13 :: v_dual_mov_b32 v88 /*v344*/, v14
	s_mov_b32 s2, 0
	v_dual_mov_b32 v80 /*v336*/, v7 :: v_dual_mov_b32 v76 /*v332*/, v5
	v_mov_b32_e32 v82 /*v338*/, v9
	s_wait_dscnt 0x1
	s_set_vgpr_msb 0x45                     ;  msbs: dst=1 src0=1 src1=1 src2=0
	v_sub_f32_e32 v43 /*v299*/, v43 /*v299*/, v75 /*v331*/
	s_set_vgpr_msb 0x44                     ;  msbs: dst=1 src0=0 src1=1 src2=0
	s_delay_alu instid0(VALU_DEP_1) | instskip(SKIP_2) | instid1(VALU_DEP_1)
	v_mul_f32_e32 v43 /*v299*/, v4, v43 /*v299*/
	s_wait_dscnt 0x0
	s_set_vgpr_msb 0x45                     ;  msbs: dst=1 src0=1 src1=1 src2=0
	v_mul_f32_e32 v75 /*v331*/, v43 /*v299*/, v74 /*v330*/
	s_set_vgpr_msb 0x44                     ;  msbs: dst=1 src0=0 src1=1 src2=0
	ds_bpermute_b32 v74 /*v330*/, v2, v36 /*v292*/ offset:4
	ds_bpermute_b32 v43 /*v299*/, v2, v37 /*v293*/ offset:4
	s_wait_dscnt 0x1
	s_set_vgpr_msb 0x45                     ;  msbs: dst=1 src0=1 src1=1 src2=0
	v_sub_f32_e32 v44 /*v300*/, v44 /*v300*/, v74 /*v330*/
	s_set_vgpr_msb 0x44                     ;  msbs: dst=1 src0=0 src1=1 src2=0
	s_delay_alu instid0(VALU_DEP_1) | instskip(SKIP_2) | instid1(VALU_DEP_1)
	v_dual_mov_b32 v74 /*v330*/, v4 :: v_dual_mul_f32 v44 /*v300*/, v5, v44 /*v300*/
	s_wait_dscnt 0x0
	s_set_vgpr_msb 0x45                     ;  msbs: dst=1 src0=1 src1=1 src2=0
	v_mul_f32_e32 v77 /*v333*/, v44 /*v300*/, v43 /*v299*/
	s_set_vgpr_msb 0x44                     ;  msbs: dst=1 src0=0 src1=1 src2=0
	ds_bpermute_b32 v44 /*v300*/, v2, v36 /*v292*/ offset:8
	ds_bpermute_b32 v43 /*v299*/, v2, v37 /*v293*/ offset:8
	s_set_vgpr_msb 0x45                     ;  msbs: dst=1 src0=1 src1=1 src2=0
	v_pk_add_f32 v[74:75] /*v[330:331]*/, v[38:39] /*v[294:295]*/, v[74:75] /*v[330:331]*/
	s_set_vgpr_msb 5                        ;  msbs: dst=0 src0=1 src1=1 src2=0
	s_delay_alu instid0(VALU_DEP_1)
	v_pk_add_f32 v[4:5], v[76:77] /*v[332:333]*/, v[74:75] /*v[330:331]*/
	s_wait_dscnt 0x1
	s_set_vgpr_msb 4                        ;  msbs: dst=0 src0=0 src1=1 src2=0
	v_sub_f32_e32 v3, v3, v44 /*v300*/
	s_set_vgpr_msb 64                       ;  msbs: dst=1 src0=0 src1=0 src2=0
	v_mov_b32_e32 v44 /*v300*/, v8
	s_set_vgpr_msb 0                        ;  msbs: dst=0 src0=0 src1=0 src2=0
	s_delay_alu instid0(VALU_DEP_2)
	v_mul_f32_e32 v3, v6, v3
	s_set_vgpr_msb 4                        ;  msbs: dst=0 src0=0 src1=1 src2=0
	ds_bpermute_b32 v6, v2, v36 /*v292*/ offset:44
	s_wait_dscnt 0x0
	s_set_vgpr_msb 1                        ;  msbs: dst=0 src0=1 src1=0 src2=0
	v_sub_f32_e32 v6, v52 /*v308*/, v6
	s_set_vgpr_msb 64                       ;  msbs: dst=1 src0=0 src1=0 src2=0
	v_mov_b32_e32 v52 /*v308*/, v23
	s_set_vgpr_msb 0                        ;  msbs: dst=0 src0=0 src1=0 src2=0
	s_delay_alu instid0(VALU_DEP_2)
	v_mul_f32_e32 v6, v15, v6
	s_set_vgpr_msb 0x44                     ;  msbs: dst=1 src0=0 src1=1 src2=0
	v_mul_f32_e32 v79 /*v335*/, v3, v43 /*v299*/
	ds_bpermute_b32 v43 /*v299*/, v2, v36 /*v292*/ offset:12
	s_set_vgpr_msb 4                        ;  msbs: dst=0 src0=0 src1=1 src2=0
	ds_bpermute_b32 v3, v2, v37 /*v293*/ offset:12
	s_wait_dscnt 0x1
	s_set_vgpr_msb 0x45                     ;  msbs: dst=1 src0=1 src1=1 src2=0
	v_sub_f32_e32 v43 /*v299*/, v46 /*v302*/, v43 /*v299*/
	s_set_vgpr_msb 0x44                     ;  msbs: dst=1 src0=0 src1=1 src2=0
	s_delay_alu instid0(VALU_DEP_1) | instskip(SKIP_2) | instid1(VALU_DEP_1)
	v_dual_mov_b32 v46 /*v302*/, v10 :: v_dual_mul_f32 v43 /*v299*/, v7, v43 /*v299*/
	s_wait_dscnt 0x0
	s_set_vgpr_msb 0x41                     ;  msbs: dst=1 src0=1 src1=0 src2=0
	v_mul_f32_e32 v81 /*v337*/, v43 /*v299*/, v3
	s_set_vgpr_msb 0x44                     ;  msbs: dst=1 src0=0 src1=1 src2=0
	ds_bpermute_b32 v43 /*v299*/, v2, v36 /*v292*/ offset:16
	s_set_vgpr_msb 4                        ;  msbs: dst=0 src0=0 src1=1 src2=0
	ds_bpermute_b32 v3, v2, v37 /*v293*/ offset:16
	s_wait_dscnt 0x1
	s_set_vgpr_msb 0x45                     ;  msbs: dst=1 src0=1 src1=1 src2=0
	v_sub_f32_e32 v43 /*v299*/, v45 /*v301*/, v43 /*v299*/
	s_set_vgpr_msb 0x44                     ;  msbs: dst=1 src0=0 src1=1 src2=0
	s_delay_alu instid0(VALU_DEP_1)
	v_mul_f32_e32 v43 /*v299*/, v8, v43 /*v299*/
	s_set_vgpr_msb 1                        ;  msbs: dst=0 src0=1 src1=0 src2=0
	v_pk_add_f32 v[4:5], v[78:79] /*v[334:335]*/, v[4:5]
	s_set_vgpr_msb 0                        ;  msbs: dst=0 src0=0 src1=0 src2=0
	v_mov_b32_e32 v8, v16
	s_wait_dscnt 0x0
	s_set_vgpr_msb 0x41                     ;  msbs: dst=1 src0=1 src1=0 src2=0
	v_mul_f32_e32 v45 /*v301*/, v43 /*v299*/, v3
	s_set_vgpr_msb 0x44                     ;  msbs: dst=1 src0=0 src1=1 src2=0
	ds_bpermute_b32 v43 /*v299*/, v2, v36 /*v292*/ offset:20
	s_set_vgpr_msb 4                        ;  msbs: dst=0 src0=0 src1=1 src2=0
	ds_bpermute_b32 v3, v2, v37 /*v293*/ offset:20
	s_set_vgpr_msb 1                        ;  msbs: dst=0 src0=1 src1=0 src2=0
	v_pk_add_f32 v[4:5], v[80:81] /*v[336:337]*/, v[4:5]
	s_delay_alu instid0(VALU_DEP_1)
	v_pk_add_f32 v[4:5], v[44:45] /*v[300:301]*/, v[4:5]
	s_set_vgpr_msb 64                       ;  msbs: dst=1 src0=0 src1=0 src2=0
	v_mov_b32_e32 v44 /*v300*/, v19
	s_wait_dscnt 0x1
	s_set_vgpr_msb 0x45                     ;  msbs: dst=1 src0=1 src1=1 src2=0
	v_sub_f32_e32 v43 /*v299*/, v48 /*v304*/, v43 /*v299*/
	s_set_vgpr_msb 0x44                     ;  msbs: dst=1 src0=0 src1=1 src2=0
	v_mov_b32_e32 v48 /*v304*/, v21
	s_delay_alu instid0(VALU_DEP_2) | instskip(SKIP_2) | instid1(VALU_DEP_1)
	v_mul_f32_e32 v43 /*v299*/, v9, v43 /*v299*/
	s_wait_dscnt 0x0
	s_set_vgpr_msb 0x41                     ;  msbs: dst=1 src0=1 src1=0 src2=0
	v_mul_f32_e32 v83 /*v339*/, v43 /*v299*/, v3
	s_set_vgpr_msb 0x44                     ;  msbs: dst=1 src0=0 src1=1 src2=0
	ds_bpermute_b32 v43 /*v299*/, v2, v36 /*v292*/ offset:24
	s_set_vgpr_msb 4                        ;  msbs: dst=0 src0=0 src1=1 src2=0
	ds_bpermute_b32 v3, v2, v37 /*v293*/ offset:24
	s_wait_dscnt 0x1
	s_set_vgpr_msb 0x45                     ;  msbs: dst=1 src0=1 src1=1 src2=0
	v_sub_f32_e32 v43 /*v299*/, v47 /*v303*/, v43 /*v299*/
	s_set_vgpr_msb 0x44                     ;  msbs: dst=1 src0=0 src1=1 src2=0
	s_delay_alu instid0(VALU_DEP_1)
	v_mul_f32_e32 v43 /*v299*/, v10, v43 /*v299*/
	s_set_vgpr_msb 0                        ;  msbs: dst=0 src0=0 src1=0 src2=0
	v_mov_b32_e32 v10, v17
	s_wait_dscnt 0x0
	s_set_vgpr_msb 0x41                     ;  msbs: dst=1 src0=1 src1=0 src2=0
	v_mul_f32_e32 v47 /*v303*/, v43 /*v299*/, v3
	s_set_vgpr_msb 0x44                     ;  msbs: dst=1 src0=0 src1=1 src2=0
	ds_bpermute_b32 v43 /*v299*/, v2, v36 /*v292*/ offset:28
	s_set_vgpr_msb 4                        ;  msbs: dst=0 src0=0 src1=1 src2=0
	ds_bpermute_b32 v3, v2, v37 /*v293*/ offset:28
	s_set_vgpr_msb 1                        ;  msbs: dst=0 src0=1 src1=0 src2=0
	v_pk_add_f32 v[4:5], v[82:83] /*v[338:339]*/, v[4:5]
	s_delay_alu instid0(VALU_DEP_1)
	v_pk_add_f32 v[4:5], v[46:47] /*v[302:303]*/, v[4:5]
	s_set_vgpr_msb 64                       ;  msbs: dst=1 src0=0 src1=0 src2=0
	v_mov_b32_e32 v46 /*v302*/, v20
	s_wait_dscnt 0x1
	s_set_vgpr_msb 0x45                     ;  msbs: dst=1 src0=1 src1=1 src2=0
	v_sub_f32_e32 v43 /*v299*/, v51 /*v307*/, v43 /*v299*/
	s_set_vgpr_msb 0x44                     ;  msbs: dst=1 src0=0 src1=1 src2=0
	s_delay_alu instid0(VALU_DEP_1) | instskip(SKIP_2) | instid1(VALU_DEP_1)
	v_mul_f32_e32 v43 /*v299*/, v11, v43 /*v299*/
	s_wait_dscnt 0x0
	s_set_vgpr_msb 0x41                     ;  msbs: dst=1 src0=1 src1=0 src2=0
	v_mul_f32_e32 v51 /*v307*/, v43 /*v299*/, v3
	s_set_vgpr_msb 0x44                     ;  msbs: dst=1 src0=0 src1=1 src2=0
	ds_bpermute_b32 v43 /*v299*/, v2, v36 /*v292*/ offset:32
	s_set_vgpr_msb 4                        ;  msbs: dst=0 src0=0 src1=1 src2=0
	ds_bpermute_b32 v3, v2, v37 /*v293*/ offset:32
	s_wait_dscnt 0x1
	s_set_vgpr_msb 0x45                     ;  msbs: dst=1 src0=1 src1=1 src2=0
	v_sub_f32_e32 v43 /*v299*/, v50 /*v306*/, v43 /*v299*/
	s_set_vgpr_msb 0x44                     ;  msbs: dst=1 src0=0 src1=1 src2=0
	s_delay_alu instid0(VALU_DEP_1)
	v_dual_mov_b32 v50 /*v306*/, v11 :: v_dual_mul_f32 v43 /*v299*/, v12, v43 /*v299*/
	s_set_vgpr_msb 0                        ;  msbs: dst=0 src0=0 src1=0 src2=0
	v_mov_b32_e32 v12, v18
	s_wait_dscnt 0x0
	s_set_vgpr_msb 0x41                     ;  msbs: dst=1 src0=1 src1=0 src2=0
	v_mul_f32_e32 v85 /*v341*/, v43 /*v299*/, v3
	s_set_vgpr_msb 0x44                     ;  msbs: dst=1 src0=0 src1=1 src2=0
	ds_bpermute_b32 v43 /*v299*/, v2, v36 /*v292*/ offset:36
	s_set_vgpr_msb 4                        ;  msbs: dst=0 src0=0 src1=1 src2=0
	ds_bpermute_b32 v3, v2, v37 /*v293*/ offset:36
	s_set_vgpr_msb 1                        ;  msbs: dst=0 src0=1 src1=0 src2=0
	v_pk_add_f32 v[4:5], v[50:51] /*v[306:307]*/, v[4:5]
	s_set_vgpr_msb 64                       ;  msbs: dst=1 src0=0 src1=0 src2=0
	v_mov_b32_e32 v50 /*v306*/, v22
	s_set_vgpr_msb 1                        ;  msbs: dst=0 src0=1 src1=0 src2=0
	s_delay_alu instid0(VALU_DEP_2)
	v_pk_add_f32 v[4:5], v[84:85] /*v[340:341]*/, v[4:5]
	s_wait_dscnt 0x1
	s_set_vgpr_msb 0x45                     ;  msbs: dst=1 src0=1 src1=1 src2=0
	v_sub_f32_e32 v43 /*v299*/, v56 /*v312*/, v43 /*v299*/
	s_set_vgpr_msb 0x44                     ;  msbs: dst=1 src0=0 src1=1 src2=0
	v_mov_b32_e32 v56 /*v312*/, v25
	s_delay_alu instid0(VALU_DEP_2) | instskip(SKIP_2) | instid1(VALU_DEP_1)
	v_mul_f32_e32 v43 /*v299*/, v13, v43 /*v299*/
	s_wait_dscnt 0x0
	s_set_vgpr_msb 0x41                     ;  msbs: dst=1 src0=1 src1=0 src2=0
	v_mul_f32_e32 v87 /*v343*/, v43 /*v299*/, v3
	s_set_vgpr_msb 0x44                     ;  msbs: dst=1 src0=0 src1=1 src2=0
	ds_bpermute_b32 v43 /*v299*/, v2, v36 /*v292*/ offset:40
	s_set_vgpr_msb 4                        ;  msbs: dst=0 src0=0 src1=1 src2=0
	ds_bpermute_b32 v3, v2, v37 /*v293*/ offset:40
	s_wait_dscnt 0x1
	s_set_vgpr_msb 0x45                     ;  msbs: dst=1 src0=1 src1=1 src2=0
	v_sub_f32_e32 v43 /*v299*/, v54 /*v310*/, v43 /*v299*/
	s_set_vgpr_msb 0x44                     ;  msbs: dst=1 src0=0 src1=1 src2=0
	s_delay_alu instid0(VALU_DEP_1)
	v_dual_mov_b32 v54 /*v310*/, v24 :: v_dual_mul_f32 v43 /*v299*/, v14, v43 /*v299*/
	s_set_vgpr_msb 0                        ;  msbs: dst=0 src0=0 src1=0 src2=0
	v_mov_b32_e32 v14, v30
	s_wait_dscnt 0x0
	s_set_vgpr_msb 0x41                     ;  msbs: dst=1 src0=1 src1=0 src2=0
	v_mul_f32_e32 v89 /*v345*/, v43 /*v299*/, v3
	s_set_vgpr_msb 4                        ;  msbs: dst=0 src0=0 src1=1 src2=0
	ds_bpermute_b32 v3, v2, v37 /*v293*/ offset:44
	s_set_vgpr_msb 1                        ;  msbs: dst=0 src0=1 src1=0 src2=0
	v_pk_add_f32 v[4:5], v[86:87] /*v[342:343]*/, v[4:5]
	s_delay_alu instid0(VALU_DEP_1)
	v_pk_add_f32 v[4:5], v[88:89] /*v[344:345]*/, v[4:5]
	s_wait_dscnt 0x0
	s_set_vgpr_msb 0                        ;  msbs: dst=0 src0=0 src1=0 src2=0
	v_mul_f32_e32 v7, v6, v3
	s_set_vgpr_msb 4                        ;  msbs: dst=0 src0=0 src1=1 src2=0
	ds_bpermute_b32 v6, v2, v36 /*v292*/ offset:48
	ds_bpermute_b32 v3, v2, v37 /*v293*/ offset:48
	s_wait_dscnt 0x1
	s_set_vgpr_msb 1                        ;  msbs: dst=0 src0=1 src1=0 src2=0
	v_sub_f32_e32 v6, v49 /*v305*/, v6
	s_set_vgpr_msb 0                        ;  msbs: dst=0 src0=0 src1=0 src2=0
	s_delay_alu instid0(VALU_DEP_1) | instskip(SKIP_1) | instid1(VALU_DEP_1)
	v_dual_mul_f32 v6, v16, v6 :: v_dual_mov_b32 v16, v31
	s_wait_dscnt 0x0
	v_mul_f32_e32 v9, v6, v3
	s_set_vgpr_msb 4                        ;  msbs: dst=0 src0=0 src1=1 src2=0
	ds_bpermute_b32 v6, v2, v36 /*v292*/ offset:52
	ds_bpermute_b32 v3, v2, v37 /*v293*/ offset:52
	s_wait_dscnt 0x1
	s_set_vgpr_msb 1                        ;  msbs: dst=0 src0=1 src1=0 src2=0
	v_sub_f32_e32 v6, v55 /*v311*/, v6
	s_set_vgpr_msb 0                        ;  msbs: dst=0 src0=0 src1=0 src2=0
	s_delay_alu instid0(VALU_DEP_1) | instskip(SKIP_1) | instid1(VALU_DEP_1)
	v_mul_f32_e32 v6, v17, v6
	s_wait_dscnt 0x0
	v_mul_f32_e32 v11, v6, v3
	s_set_vgpr_msb 4                        ;  msbs: dst=0 src0=0 src1=1 src2=0
	ds_bpermute_b32 v6, v2, v36 /*v292*/ offset:56
	ds_bpermute_b32 v3, v2, v37 /*v293*/ offset:56
	s_wait_dscnt 0x1
	s_set_vgpr_msb 1                        ;  msbs: dst=0 src0=1 src1=0 src2=0
	v_sub_f32_e32 v6, v53 /*v309*/, v6
	s_set_vgpr_msb 0                        ;  msbs: dst=0 src0=0 src1=0 src2=0
	s_delay_alu instid0(VALU_DEP_1) | instskip(SKIP_1) | instid1(VALU_DEP_1)
	v_dual_mul_f32 v6, v18, v6 :: v_dual_mov_b32 v18, v32
	s_wait_dscnt 0x0
	v_mul_f32_e32 v13, v6, v3
	s_set_vgpr_msb 4                        ;  msbs: dst=0 src0=0 src1=1 src2=0
	ds_bpermute_b32 v6, v2, v36 /*v292*/ offset:60
	ds_bpermute_b32 v3, v2, v37 /*v293*/ offset:60
	s_wait_dscnt 0x1
	s_set_vgpr_msb 1                        ;  msbs: dst=0 src0=1 src1=0 src2=0
	v_sub_f32_e32 v6, v58 /*v314*/, v6
	s_set_vgpr_msb 0                        ;  msbs: dst=0 src0=0 src1=0 src2=0
	s_delay_alu instid0(VALU_DEP_1) | instskip(SKIP_2) | instid1(VALU_DEP_1)
	v_mul_f32_e32 v6, v19, v6
	s_wait_dscnt 0x0
	s_set_vgpr_msb 64                       ;  msbs: dst=1 src0=0 src1=0 src2=0
	v_mul_f32_e32 v45 /*v301*/, v6, v3
	s_set_vgpr_msb 4                        ;  msbs: dst=0 src0=0 src1=1 src2=0
	ds_bpermute_b32 v6, v2, v36 /*v292*/ offset:64
	ds_bpermute_b32 v3, v2, v37 /*v293*/ offset:64
	s_wait_dscnt 0x1
	s_set_vgpr_msb 1                        ;  msbs: dst=0 src0=1 src1=0 src2=0
	v_sub_f32_e32 v6, v57 /*v313*/, v6
	s_set_vgpr_msb 0                        ;  msbs: dst=0 src0=0 src1=0 src2=0
	s_delay_alu instid0(VALU_DEP_1) | instskip(SKIP_2) | instid1(VALU_DEP_1)
	v_dual_mul_f32 v6, v20, v6 :: v_dual_mov_b32 v20, v33
	s_wait_dscnt 0x0
	s_set_vgpr_msb 64                       ;  msbs: dst=1 src0=0 src1=0 src2=0
	v_mul_f32_e32 v47 /*v303*/, v6, v3
	s_set_vgpr_msb 4                        ;  msbs: dst=0 src0=0 src1=1 src2=0
	ds_bpermute_b32 v6, v2, v36 /*v292*/ offset:68
	ds_bpermute_b32 v3, v2, v37 /*v293*/ offset:68
	s_wait_dscnt 0x1
	s_set_vgpr_msb 1                        ;  msbs: dst=0 src0=1 src1=0 src2=0
	v_sub_f32_e32 v6, v61 /*v317*/, v6
	s_set_vgpr_msb 0                        ;  msbs: dst=0 src0=0 src1=0 src2=0
	s_delay_alu instid0(VALU_DEP_1) | instskip(SKIP_2) | instid1(VALU_DEP_1)
	v_mul_f32_e32 v6, v21, v6
	s_wait_dscnt 0x0
	s_set_vgpr_msb 64                       ;  msbs: dst=1 src0=0 src1=0 src2=0
	v_mul_f32_e32 v49 /*v305*/, v6, v3
	s_set_vgpr_msb 4                        ;  msbs: dst=0 src0=0 src1=1 src2=0
	ds_bpermute_b32 v6, v2, v36 /*v292*/ offset:72
	ds_bpermute_b32 v3, v2, v37 /*v293*/ offset:72
	s_wait_dscnt 0x1
	s_set_vgpr_msb 1                        ;  msbs: dst=0 src0=1 src1=0 src2=0
	v_sub_f32_e32 v6, v59 /*v315*/, v6
	s_set_vgpr_msb 0                        ;  msbs: dst=0 src0=0 src1=0 src2=0
	s_delay_alu instid0(VALU_DEP_1) | instskip(SKIP_3) | instid1(VALU_DEP_2)
	v_mul_f32_e32 v6, v22, v6
	v_mov_b32_e32 v22, v34
	s_wait_dscnt 0x0
	s_set_vgpr_msb 64                       ;  msbs: dst=1 src0=0 src1=0 src2=0
	v_mul_f32_e32 v51 /*v307*/, v6, v3
	s_set_vgpr_msb 4                        ;  msbs: dst=0 src0=0 src1=1 src2=0
	ds_bpermute_b32 v6, v2, v36 /*v292*/ offset:76
	ds_bpermute_b32 v3, v2, v37 /*v293*/ offset:76
	s_wait_dscnt 0x1
	s_set_vgpr_msb 1                        ;  msbs: dst=0 src0=1 src1=0 src2=0
	v_sub_f32_e32 v6, v65 /*v321*/, v6
	s_set_vgpr_msb 0                        ;  msbs: dst=0 src0=0 src1=0 src2=0
	s_delay_alu instid0(VALU_DEP_1) | instskip(SKIP_2) | instid1(VALU_DEP_1)
	v_mul_f32_e32 v6, v23, v6
	s_wait_dscnt 0x0
	s_set_vgpr_msb 64                       ;  msbs: dst=1 src0=0 src1=0 src2=0
	v_mul_f32_e32 v53 /*v309*/, v6, v3
	s_set_vgpr_msb 4                        ;  msbs: dst=0 src0=0 src1=1 src2=0
	ds_bpermute_b32 v6, v2, v36 /*v292*/ offset:80
	ds_bpermute_b32 v3, v2, v37 /*v293*/ offset:80
	s_wait_dscnt 0x1
	s_set_vgpr_msb 1                        ;  msbs: dst=0 src0=1 src1=0 src2=0
	v_sub_f32_e32 v6, v64 /*v320*/, v6
	s_set_vgpr_msb 0                        ;  msbs: dst=0 src0=0 src1=0 src2=0
	s_delay_alu instid0(VALU_DEP_1) | instskip(SKIP_2) | instid1(VALU_DEP_1)
	v_mul_f32_e32 v6, v24, v6
	;; [unrolled: 12-line block ×3, first 2 shown]
	s_wait_dscnt 0x0
	s_set_vgpr_msb 64                       ;  msbs: dst=1 src0=0 src1=0 src2=0
	v_mul_f32_e32 v57 /*v313*/, v6, v3
	s_set_vgpr_msb 4                        ;  msbs: dst=0 src0=0 src1=1 src2=0
	v_mov_b32_e32 v6, v15
	ds_bpermute_b32 v3, v2, v37 /*v293*/ offset:88
	s_set_vgpr_msb 0                        ;  msbs: dst=0 src0=0 src1=0 src2=0
	v_pk_add_f32 v[4:5], v[6:7], v[4:5]
	s_set_vgpr_msb 4                        ;  msbs: dst=0 src0=0 src1=1 src2=0
	ds_bpermute_b32 v6, v2, v36 /*v292*/ offset:88
	s_set_vgpr_msb 0                        ;  msbs: dst=0 src0=0 src1=0 src2=0
	v_pk_add_f32 v[4:5], v[8:9], v[4:5]
	v_mov_b32_e32 v8, v27
	s_delay_alu instid0(VALU_DEP_2) | instskip(SKIP_1) | instid1(VALU_DEP_2)
	v_pk_add_f32 v[4:5], v[10:11], v[4:5]
	v_mov_b32_e32 v10, v28
	v_pk_add_f32 v[4:5], v[12:13], v[4:5]
	v_mov_b32_e32 v12, v29
	s_set_vgpr_msb 1                        ;  msbs: dst=0 src0=1 src1=0 src2=0
	s_delay_alu instid0(VALU_DEP_2) | instskip(SKIP_2) | instid1(VALU_DEP_2)
	v_pk_add_f32 v[4:5], v[44:45] /*v[300:301]*/, v[4:5]
	s_wait_dscnt 0x0
	v_sub_f32_e32 v6, v60 /*v316*/, v6
	v_pk_add_f32 v[4:5], v[46:47] /*v[302:303]*/, v[4:5]
	s_set_vgpr_msb 0                        ;  msbs: dst=0 src0=0 src1=0 src2=0
	s_delay_alu instid0(VALU_DEP_2) | instskip(SKIP_1) | instid1(VALU_DEP_2)
	v_mul_f32_e32 v6, v26, v6
	s_set_vgpr_msb 1                        ;  msbs: dst=0 src0=1 src1=0 src2=0
	v_pk_add_f32 v[4:5], v[48:49] /*v[304:305]*/, v[4:5]
	s_set_vgpr_msb 0                        ;  msbs: dst=0 src0=0 src1=0 src2=0
	s_delay_alu instid0(VALU_DEP_2)
	v_mul_f32_e32 v7, v6, v3
	s_set_vgpr_msb 4                        ;  msbs: dst=0 src0=0 src1=1 src2=0
	ds_bpermute_b32 v6, v2, v36 /*v292*/ offset:92
	ds_bpermute_b32 v3, v2, v37 /*v293*/ offset:92
	s_set_vgpr_msb 1                        ;  msbs: dst=0 src0=1 src1=0 src2=0
	v_pk_add_f32 v[4:5], v[50:51] /*v[306:307]*/, v[4:5]
	s_delay_alu instid0(VALU_DEP_1) | instskip(NEXT) | instid1(VALU_DEP_1)
	v_pk_add_f32 v[4:5], v[52:53] /*v[308:309]*/, v[4:5]
	v_pk_add_f32 v[4:5], v[54:55] /*v[310:311]*/, v[4:5]
	s_delay_alu instid0(VALU_DEP_1) | instskip(SKIP_3) | instid1(VALU_DEP_1)
	v_pk_add_f32 v[4:5], v[56:57] /*v[312:313]*/, v[4:5]
	s_wait_dscnt 0x1
	v_sub_f32_e32 v6, v63 /*v319*/, v6
	s_set_vgpr_msb 0                        ;  msbs: dst=0 src0=0 src1=0 src2=0
	v_mul_f32_e32 v6, v27, v6
	s_wait_dscnt 0x0
	s_delay_alu instid0(VALU_DEP_1)
	v_mul_f32_e32 v9, v6, v3
	s_set_vgpr_msb 4                        ;  msbs: dst=0 src0=0 src1=1 src2=0
	ds_bpermute_b32 v6, v2, v36 /*v292*/ offset:96
	ds_bpermute_b32 v3, v2, v37 /*v293*/ offset:96
	s_wait_dscnt 0x1
	s_set_vgpr_msb 1                        ;  msbs: dst=0 src0=1 src1=0 src2=0
	v_sub_f32_e32 v6, v62 /*v318*/, v6
	s_set_vgpr_msb 0                        ;  msbs: dst=0 src0=0 src1=0 src2=0
	s_delay_alu instid0(VALU_DEP_1) | instskip(SKIP_1) | instid1(VALU_DEP_1)
	v_mul_f32_e32 v6, v28, v6
	s_wait_dscnt 0x0
	v_mul_f32_e32 v11, v6, v3
	s_set_vgpr_msb 4                        ;  msbs: dst=0 src0=0 src1=1 src2=0
	ds_bpermute_b32 v6, v2, v36 /*v292*/ offset:100
	ds_bpermute_b32 v3, v2, v37 /*v293*/ offset:100
	s_wait_dscnt 0x1
	s_set_vgpr_msb 1                        ;  msbs: dst=0 src0=1 src1=0 src2=0
	v_sub_f32_e32 v6, v67 /*v323*/, v6
	s_set_vgpr_msb 0                        ;  msbs: dst=0 src0=0 src1=0 src2=0
	s_delay_alu instid0(VALU_DEP_1) | instskip(SKIP_1) | instid1(VALU_DEP_1)
	v_mul_f32_e32 v6, v29, v6
	s_wait_dscnt 0x0
	;; [unrolled: 11-line block ×7, first 2 shown]
	v_mul_f32_e32 v23, v6, v3
	v_mov_b32_e32 v6, v26
	s_set_vgpr_msb 4                        ;  msbs: dst=0 src0=0 src1=1 src2=0
	ds_bpermute_b32 v3, v2, v37 /*v293*/ offset:124
	s_set_vgpr_msb 0                        ;  msbs: dst=0 src0=0 src1=0 src2=0
	v_pk_add_f32 v[4:5], v[6:7], v[4:5]
	s_set_vgpr_msb 4                        ;  msbs: dst=0 src0=0 src1=1 src2=0
	ds_bpermute_b32 v6, v2, v36 /*v292*/ offset:124
	s_set_vgpr_msb 0                        ;  msbs: dst=0 src0=0 src1=0 src2=0
	v_pk_add_f32 v[4:5], v[8:9], v[4:5]
	s_delay_alu instid0(VALU_DEP_1) | instskip(NEXT) | instid1(VALU_DEP_1)
	v_pk_add_f32 v[4:5], v[10:11], v[4:5]
	v_pk_add_f32 v[4:5], v[12:13], v[4:5]
	s_delay_alu instid0(VALU_DEP_1)
	v_pk_add_f32 v[4:5], v[14:15], v[4:5]
	s_wait_dscnt 0x0
	s_set_vgpr_msb 1                        ;  msbs: dst=0 src0=1 src1=0 src2=0
	v_sub_f32_e32 v6, v70 /*v326*/, v6
	s_set_vgpr_msb 0                        ;  msbs: dst=0 src0=0 src1=0 src2=0
	v_pk_add_f32 v[4:5], v[16:17], v[4:5]
	s_delay_alu instid0(VALU_DEP_2) | instskip(NEXT) | instid1(VALU_DEP_2)
	v_mul_f32_e32 v6, v35, v6
	v_pk_add_f32 v[4:5], v[18:19], v[4:5]
	s_delay_alu instid0(VALU_DEP_2) | instskip(NEXT) | instid1(VALU_DEP_2)
	v_dual_mul_f32 v7, v6, v3 :: v_dual_mov_b32 v6, v35
	v_pk_add_f32 v[4:5], v[20:21], v[4:5]
	s_delay_alu instid0(VALU_DEP_1) | instskip(SKIP_1) | instid1(VALU_DEP_1)
	v_pk_add_f32 v[4:5], v[22:23], v[4:5]
	s_set_vgpr_msb 64                       ;  msbs: dst=1 src0=0 src1=0 src2=0
	v_pk_add_f32 v[36:37] /*v[292:293]*/, v[6:7], v[4:5]
.LBB107_215:                            ;   in Loop: Header=BB107_147 Depth=1
	s_and_b32 vcc_lo, exec_lo, s2
	s_set_vgpr_msb 0                        ;  msbs: dst=0 src0=0 src1=0 src2=0
	s_cbranch_vccz .LBB107_146
; %bb.216:                              ;   in Loop: Header=BB107_147 Depth=1
	s_load_b32 s2, s[20:21], 0x0
	v_dual_mov_b32 v5, v2 :: v_dual_mov_b32 v6, 0
	s_wait_kmcnt 0x0
	s_cmp_lt_u32 s16, s2
	s_cselect_b32 s2, 12, 18
	s_delay_alu instid0(SALU_CYCLE_1)
	s_add_nc_u64 s[26:27], s[20:21], s[2:3]
	s_load_u16 s2, s[26:27], 0x0
	s_wait_kmcnt 0x0
	s_set_vgpr_msb 16                       ;  msbs: dst=0 src0=0 src1=0 src2=1
	v_mad_u32_u24 v3, v1, s2, v42 /*v298*/
	s_mov_b32 s2, exec_lo
	s_delay_alu instid0(VALU_DEP_1) | instskip(SKIP_1) | instid1(VALU_DEP_1)
	v_dual_mov_b32 v3, 0 :: v_dual_bitop2_b32 v4, 31, v3 bitop3:0x40
	s_set_vgpr_msb 1                        ;  msbs: dst=0 src0=1 src1=0 src2=0
	v_add_nc_u64_e32 v[4:5], v[40:41] /*v[296:297]*/, v[4:5]
	s_delay_alu instid0(VALU_DEP_1)
	v_cmpx_gt_i64_e64 s[4:5], v[4:5]
	s_set_vgpr_msb 0                        ;  msbs: dst=0 src0=0 src1=0 src2=0
	s_cbranch_execz .LBB107_145
; %bb.217:                              ;   in Loop: Header=BB107_147 Depth=1
	v_lshlrev_b64_e32 v[4:5], 2, v[4:5]
	s_delay_alu instid0(VALU_DEP_1)
	v_add_nc_u64_e32 v[8:9], s[12:13], v[4:5]
	v_add_nc_u64_e32 v[4:5], s[14:15], v[4:5]
	global_load_b32 v6, v[8:9], off
	global_load_b32 v3, v[4:5], off
	s_branch .LBB107_145
.LBB107_218:
	s_set_vgpr_msb 64                       ;  msbs: dst=1 src0=0 src1=0 src2=0
	v_mov_b64_e32 v[36:37] /*v[292:293]*/, 0
.LBB107_219:
	s_mov_b32 s17, 0
	s_delay_alu instid0(SALU_CYCLE_1) | instskip(SKIP_4) | instid1(VALU_DEP_1)
	s_lshl_b64 s[2:3], s[16:17], 5
	s_set_vgpr_msb 0                        ;  msbs: dst=0 src0=0 src1=0 src2=0
	v_and_or_b32 v2, 0x3ff, v0, s2
	v_mov_b32_e32 v3, s3
	s_mov_b32 s2, exec_lo
	v_cmpx_gt_i64_e64 s[6:7], v[2:3]
	s_cbranch_execz .LBB107_224
; %bb.220:
	s_load_u16 s2, s[0:1], 0x4e
	v_bfe_u32 v0, v0, 10, 10
	v_mov_b32_e32 v1, 0
	s_wait_kmcnt 0x0
	s_delay_alu instid0(VALU_DEP_1) | instskip(SKIP_1) | instid1(VALU_DEP_1)
	v_mad_nc_u64_u32 v[0:1], s2, s33, v[0:1]
	s_load_b128 s[0:3], s[0:1], 0x30
	v_mul_u64_e32 v[0:1], s[6:7], v[0:1]
	s_wait_kmcnt 0x0
	s_cmp_eq_u64 s[0:1], 0
	s_cbranch_scc1 .LBB107_222
; %bb.221:
	s_set_vgpr_msb 5                        ;  msbs: dst=0 src0=1 src1=1 src2=0
	v_bfe_u32 v4, v37 /*v293*/, 16, 1
	v_cmp_o_f32_e32 vcc_lo, v37 /*v293*/, v37 /*v293*/
	s_set_vgpr_msb 1                        ;  msbs: dst=0 src0=1 src1=0 src2=0
	s_delay_alu instid0(VALU_DEP_2) | instskip(NEXT) | instid1(VALU_DEP_1)
	v_add3_u32 v4, v37 /*v293*/, v4, 0x7fff
	v_lshrrev_b32_e32 v6, 16, v4
	s_set_vgpr_msb 0                        ;  msbs: dst=0 src0=0 src1=0 src2=0
	v_lshl_add_u64 v[4:5], v[0:1], 1, s[0:1]
	s_delay_alu instid0(VALU_DEP_2) | instskip(NEXT) | instid1(VALU_DEP_2)
	v_cndmask_b32_e32 v6, 0x7fc0, v6, vcc_lo
	v_lshl_add_u64 v[4:5], v[2:3], 1, v[4:5]
	global_store_b16 v[4:5], v6, off
.LBB107_222:
	s_cmp_eq_u64 s[2:3], 0
	s_cbranch_scc1 .LBB107_224
; %bb.223:
	s_wait_xcnt 0x0
	s_set_vgpr_msb 1                        ;  msbs: dst=0 src0=1 src1=0 src2=0
	v_bfe_u32 v4, v36 /*v292*/, 16, 1
	s_set_vgpr_msb 0                        ;  msbs: dst=0 src0=0 src1=0 src2=0
	s_delay_alu instid0(VALU_DEP_2)
	v_lshl_add_u64 v[0:1], v[0:1], 1, s[2:3]
	s_set_vgpr_msb 5                        ;  msbs: dst=0 src0=1 src1=1 src2=0
	v_cmp_o_f32_e32 vcc_lo, v36 /*v292*/, v36 /*v292*/
	s_set_vgpr_msb 1                        ;  msbs: dst=0 src0=1 src1=0 src2=0
	v_add3_u32 v4, v36 /*v292*/, v4, 0x7fff
	s_set_vgpr_msb 0                        ;  msbs: dst=0 src0=0 src1=0 src2=0
	v_lshl_add_u64 v[0:1], v[2:3], 1, v[0:1]
	s_delay_alu instid0(VALU_DEP_2) | instskip(NEXT) | instid1(VALU_DEP_1)
	v_lshrrev_b32_e32 v4, 16, v4
	v_cndmask_b32_e32 v4, 0x7fc0, v4, vcc_lo
	global_store_b16 v[0:1], v4, off
.LBB107_224:
	s_sendmsg sendmsg(MSG_DEALLOC_VGPRS)
	s_endpgm
	.section	.rodata,"a",@progbits
	.p2align	6, 0x0
	.amdhsa_kernel _ZN2at6native12_GLOBAL__N_135GammaBetaBackwardCUDAKernelTemplateIN3c108BFloat16EfLj32ELj1ELj32ELb1ELb0ELb0EEEvllPKT_S7_PKT0_SA_PS5_SB_
		.amdhsa_group_segment_fixed_size 0
		.amdhsa_private_segment_fixed_size 0
		.amdhsa_kernarg_size 320
		.amdhsa_user_sgpr_count 2
		.amdhsa_user_sgpr_dispatch_ptr 0
		.amdhsa_user_sgpr_queue_ptr 0
		.amdhsa_user_sgpr_kernarg_segment_ptr 1
		.amdhsa_user_sgpr_dispatch_id 0
		.amdhsa_user_sgpr_kernarg_preload_length 0
		.amdhsa_user_sgpr_kernarg_preload_offset 0
		.amdhsa_user_sgpr_private_segment_size 0
		.amdhsa_wavefront_size32 1
		.amdhsa_uses_dynamic_stack 0
		.amdhsa_enable_private_segment 0
		.amdhsa_system_sgpr_workgroup_id_x 1
		.amdhsa_system_sgpr_workgroup_id_y 1
		.amdhsa_system_sgpr_workgroup_id_z 0
		.amdhsa_system_sgpr_workgroup_info 0
		.amdhsa_system_vgpr_workitem_id 1
		.amdhsa_next_free_vgpr 346
		.amdhsa_next_free_sgpr 36
		.amdhsa_named_barrier_count 0
		.amdhsa_reserve_vcc 1
		.amdhsa_float_round_mode_32 0
		.amdhsa_float_round_mode_16_64 0
		.amdhsa_float_denorm_mode_32 3
		.amdhsa_float_denorm_mode_16_64 3
		.amdhsa_fp16_overflow 0
		.amdhsa_memory_ordered 1
		.amdhsa_forward_progress 1
		.amdhsa_inst_pref_size 185
		.amdhsa_round_robin_scheduling 0
		.amdhsa_exception_fp_ieee_invalid_op 0
		.amdhsa_exception_fp_denorm_src 0
		.amdhsa_exception_fp_ieee_div_zero 0
		.amdhsa_exception_fp_ieee_overflow 0
		.amdhsa_exception_fp_ieee_underflow 0
		.amdhsa_exception_fp_ieee_inexact 0
		.amdhsa_exception_int_div_zero 0
	.end_amdhsa_kernel
	.section	.text._ZN2at6native12_GLOBAL__N_135GammaBetaBackwardCUDAKernelTemplateIN3c108BFloat16EfLj32ELj1ELj32ELb1ELb0ELb0EEEvllPKT_S7_PKT0_SA_PS5_SB_,"axG",@progbits,_ZN2at6native12_GLOBAL__N_135GammaBetaBackwardCUDAKernelTemplateIN3c108BFloat16EfLj32ELj1ELj32ELb1ELb0ELb0EEEvllPKT_S7_PKT0_SA_PS5_SB_,comdat
.Lfunc_end107:
	.size	_ZN2at6native12_GLOBAL__N_135GammaBetaBackwardCUDAKernelTemplateIN3c108BFloat16EfLj32ELj1ELj32ELb1ELb0ELb0EEEvllPKT_S7_PKT0_SA_PS5_SB_, .Lfunc_end107-_ZN2at6native12_GLOBAL__N_135GammaBetaBackwardCUDAKernelTemplateIN3c108BFloat16EfLj32ELj1ELj32ELb1ELb0ELb0EEEvllPKT_S7_PKT0_SA_PS5_SB_
                                        ; -- End function
	.set _ZN2at6native12_GLOBAL__N_135GammaBetaBackwardCUDAKernelTemplateIN3c108BFloat16EfLj32ELj1ELj32ELb1ELb0ELb0EEEvllPKT_S7_PKT0_SA_PS5_SB_.num_vgpr, 346
	.set _ZN2at6native12_GLOBAL__N_135GammaBetaBackwardCUDAKernelTemplateIN3c108BFloat16EfLj32ELj1ELj32ELb1ELb0ELb0EEEvllPKT_S7_PKT0_SA_PS5_SB_.num_agpr, 0
	.set _ZN2at6native12_GLOBAL__N_135GammaBetaBackwardCUDAKernelTemplateIN3c108BFloat16EfLj32ELj1ELj32ELb1ELb0ELb0EEEvllPKT_S7_PKT0_SA_PS5_SB_.numbered_sgpr, 36
	.set _ZN2at6native12_GLOBAL__N_135GammaBetaBackwardCUDAKernelTemplateIN3c108BFloat16EfLj32ELj1ELj32ELb1ELb0ELb0EEEvllPKT_S7_PKT0_SA_PS5_SB_.num_named_barrier, 0
	.set _ZN2at6native12_GLOBAL__N_135GammaBetaBackwardCUDAKernelTemplateIN3c108BFloat16EfLj32ELj1ELj32ELb1ELb0ELb0EEEvllPKT_S7_PKT0_SA_PS5_SB_.private_seg_size, 0
	.set _ZN2at6native12_GLOBAL__N_135GammaBetaBackwardCUDAKernelTemplateIN3c108BFloat16EfLj32ELj1ELj32ELb1ELb0ELb0EEEvllPKT_S7_PKT0_SA_PS5_SB_.uses_vcc, 1
	.set _ZN2at6native12_GLOBAL__N_135GammaBetaBackwardCUDAKernelTemplateIN3c108BFloat16EfLj32ELj1ELj32ELb1ELb0ELb0EEEvllPKT_S7_PKT0_SA_PS5_SB_.uses_flat_scratch, 0
	.set _ZN2at6native12_GLOBAL__N_135GammaBetaBackwardCUDAKernelTemplateIN3c108BFloat16EfLj32ELj1ELj32ELb1ELb0ELb0EEEvllPKT_S7_PKT0_SA_PS5_SB_.has_dyn_sized_stack, 0
	.set _ZN2at6native12_GLOBAL__N_135GammaBetaBackwardCUDAKernelTemplateIN3c108BFloat16EfLj32ELj1ELj32ELb1ELb0ELb0EEEvllPKT_S7_PKT0_SA_PS5_SB_.has_recursion, 0
	.set _ZN2at6native12_GLOBAL__N_135GammaBetaBackwardCUDAKernelTemplateIN3c108BFloat16EfLj32ELj1ELj32ELb1ELb0ELb0EEEvllPKT_S7_PKT0_SA_PS5_SB_.has_indirect_call, 0
	.section	.AMDGPU.csdata,"",@progbits
; Kernel info:
; codeLenInByte = 23652
; TotalNumSgprs: 38
; NumVgprs: 346
; ScratchSize: 0
; MemoryBound: 0
; FloatMode: 240
; IeeeMode: 1
; LDSByteSize: 0 bytes/workgroup (compile time only)
; SGPRBlocks: 0
; VGPRBlocks: 21
; NumSGPRsForWavesPerEU: 38
; NumVGPRsForWavesPerEU: 346
; NamedBarCnt: 0
; Occupancy: 2
; WaveLimiterHint : 0
; COMPUTE_PGM_RSRC2:SCRATCH_EN: 0
; COMPUTE_PGM_RSRC2:USER_SGPR: 2
; COMPUTE_PGM_RSRC2:TRAP_HANDLER: 0
; COMPUTE_PGM_RSRC2:TGID_X_EN: 1
; COMPUTE_PGM_RSRC2:TGID_Y_EN: 1
; COMPUTE_PGM_RSRC2:TGID_Z_EN: 0
; COMPUTE_PGM_RSRC2:TIDIG_COMP_CNT: 1
	.section	.text._ZN2at6native12_GLOBAL__N_135GammaBetaBackwardCUDAKernelTemplateIN3c108BFloat16EfLj32ELj1ELj8ELb1ELb1ELb0EEEvllPKT_S7_PKT0_SA_PS5_SB_,"axG",@progbits,_ZN2at6native12_GLOBAL__N_135GammaBetaBackwardCUDAKernelTemplateIN3c108BFloat16EfLj32ELj1ELj8ELb1ELb1ELb0EEEvllPKT_S7_PKT0_SA_PS5_SB_,comdat
	.globl	_ZN2at6native12_GLOBAL__N_135GammaBetaBackwardCUDAKernelTemplateIN3c108BFloat16EfLj32ELj1ELj8ELb1ELb1ELb0EEEvllPKT_S7_PKT0_SA_PS5_SB_ ; -- Begin function _ZN2at6native12_GLOBAL__N_135GammaBetaBackwardCUDAKernelTemplateIN3c108BFloat16EfLj32ELj1ELj8ELb1ELb1ELb0EEEvllPKT_S7_PKT0_SA_PS5_SB_
	.p2align	8
	.type	_ZN2at6native12_GLOBAL__N_135GammaBetaBackwardCUDAKernelTemplateIN3c108BFloat16EfLj32ELj1ELj8ELb1ELb1ELb0EEEvllPKT_S7_PKT0_SA_PS5_SB_,@function
_ZN2at6native12_GLOBAL__N_135GammaBetaBackwardCUDAKernelTemplateIN3c108BFloat16EfLj32ELj1ELj8ELb1ELb1ELb0EEEvllPKT_S7_PKT0_SA_PS5_SB_: ; @_ZN2at6native12_GLOBAL__N_135GammaBetaBackwardCUDAKernelTemplateIN3c108BFloat16EfLj32ELj1ELj8ELb1ELb1ELb0EEEvllPKT_S7_PKT0_SA_PS5_SB_
; %bb.0:
	s_load_b128 s[12:15], s[0:1], 0x0
	s_bfe_u32 s3, ttmp6, 0x4000c
	s_bfe_u32 s4, ttmp6, 0x40010
	s_add_co_i32 s3, s3, 1
	s_add_co_i32 s4, s4, 1
	s_and_b32 s2, ttmp6, 15
	s_bfe_u32 s5, ttmp6, 0x40004
	s_mul_i32 s3, ttmp9, s3
	s_mul_i32 s4, ttmp7, s4
	s_getreg_b32 s6, hwreg(HW_REG_IB_STS2, 6, 4)
	s_add_co_i32 s2, s2, s3
	s_add_co_i32 s5, s5, s4
	s_cmp_eq_u32 s6, 0
	s_mov_b32 s19, 0
	s_cselect_b32 s17, ttmp7, s5
	s_cselect_b32 s16, ttmp9, s2
	s_lshl_b32 s18, s17, 3
	v_bfe_u32 v1, v0, 10, 10
	s_add_nc_u64 s[20:21], s[0:1], 64
	s_wait_kmcnt 0x0
	v_cmp_gt_i64_e64 s2, s[12:13], s[18:19]
	s_and_b32 vcc_lo, exec_lo, s2
	s_cbranch_vccnz .LBB108_2
; %bb.1:
	v_bfe_u32 v2, v0, 10, 10
	s_add_nc_u64 s[4:5], s[0:1], 64
	s_mov_b32 s2, s19
	s_branch .LBB108_3
.LBB108_2:
	s_mov_b32 s2, -1
                                        ; implicit-def: $sgpr4_sgpr5
                                        ; implicit-def: $vgpr2
.LBB108_3:
	v_mov_b32_e32 v5, 0
	v_and_b32_e32 v0, 0x3ff, v0
	s_and_not1_b32 vcc_lo, exec_lo, s2
	s_delay_alu instid0(VALU_DEP_2)
	v_mov_b32_e32 v4, v5
	s_cbranch_vccnz .LBB108_11
; %bb.4:
	v_dual_mov_b32 v3, 0 :: v_dual_lshlrev_b32 v2, 3, v1
	s_clause 0x2
	s_load_b32 s2, s[0:1], 0x4c
	s_load_b32 s3, s[0:1], 0x44
	s_load_b256 s[4:11], s[0:1], 0x10
	v_mov_b32_e32 v13, 12
	v_lshl_add_u32 v8, s16, 5, v0
	v_add_nc_u64_e32 v[4:5], s[18:19], v[2:3]
	v_mov_b32_e32 v19, v3
	s_mov_b32 s23, 0
	v_dual_mov_b32 v2, 8 :: v_dual_mov_b32 v12, 4
	v_dual_mov_b32 v14, 16 :: v_dual_mov_b32 v15, 20
	s_delay_alu instid0(VALU_DEP_4)
	v_mul_u64_e32 v[10:11], s[14:15], v[4:5]
	v_dual_mov_b32 v16, 24 :: v_dual_mov_b32 v17, 28
	s_lshl_b64 s[28:29], s[14:15], 1
	v_mov_b32_e32 v9, v3
	s_wait_kmcnt 0x0
	s_and_b32 s2, s2, 0xffff
	s_lshl_b32 s22, s3, 3
	v_mad_u32_u24 v6, v1, s2, v0
	s_mul_u64 s[26:27], s[14:15], s[22:23]
	s_lshl_b64 s[24:25], s[22:23], 2
	s_lshl_b64 s[26:27], s[26:27], 1
	v_lshlrev_b64_e32 v[20:21], 1, v[8:9]
	v_and_b32_e32 v18, 31, v6
	s_delay_alu instid0(VALU_DEP_1) | instskip(SKIP_2) | instid1(VALU_DEP_3)
	v_add_nc_u64_e32 v[6:7], v[4:5], v[18:19]
	v_dual_mov_b32 v4, 0 :: v_dual_mov_b32 v5, v3
	v_cmp_gt_u32_e64 s2, 8, v18
	v_lshlrev_b64_e32 v[8:9], 2, v[6:7]
	v_lshl_add_u64 v[10:11], v[10:11], 1, v[20:21]
	s_branch .LBB108_7
.LBB108_5:                              ;   in Loop: Header=BB108_7 Depth=1
	s_wait_xcnt 0x0
	s_or_b32 exec_lo, exec_lo, s30
.LBB108_6:                              ;   in Loop: Header=BB108_7 Depth=1
	s_delay_alu instid0(SALU_CYCLE_1)
	s_or_b32 exec_lo, exec_lo, s3
	v_add_nc_u64_e32 v[20:21], s[6:7], v[10:11]
	v_add_nc_u64_e32 v[22:23], s[4:5], v[10:11]
	s_wait_loadcnt 0x1
	ds_bpermute_b32 v43, v2, v19
	ds_bpermute_b32 v45, v13, v19
	s_wait_loadcnt 0x0
	ds_bpermute_b32 v42, v2, v18
	ds_bpermute_b32 v46, v14, v19
	ds_bpermute_b32 v44, v13, v18
	v_add_nc_u64_e32 v[24:25], s[28:29], v[20:21]
	v_add_nc_u64_e32 v[26:27], s[28:29], v[22:23]
	global_load_u16 v28, v[20:21], off
	global_load_u16 v29, v[22:23], off
	ds_bpermute_b32 v47, v15, v18
	ds_bpermute_b32 v48, v16, v18
	s_add_nc_u64 s[18:19], s[18:19], s[22:23]
	s_wait_xcnt 0x1
	v_add_nc_u64_e32 v[20:21], s[28:29], v[24:25]
	s_wait_xcnt 0x0
	v_add_nc_u64_e32 v[22:23], s[28:29], v[26:27]
	global_load_u16 v30, v[24:25], off
	global_load_u16 v31, v[26:27], off
	v_cmp_lt_i64_e64 s3, s[18:19], s[12:13]
	v_add_nc_u64_e32 v[8:9], s[24:25], v[8:9]
	v_add_nc_u64_e32 v[6:7], s[22:23], v[6:7]
	v_add_nc_u64_e32 v[10:11], s[26:27], v[10:11]
	s_wait_xcnt 0x1
	v_add_nc_u64_e32 v[24:25], s[28:29], v[20:21]
	s_wait_xcnt 0x0
	v_add_nc_u64_e32 v[26:27], s[28:29], v[22:23]
	global_load_u16 v32, v[20:21], off
	global_load_u16 v33, v[22:23], off
	s_and_b32 vcc_lo, exec_lo, s3
	global_load_u16 v34, v[24:25], off
	global_load_u16 v35, v[26:27], off
	s_wait_xcnt 0x3
	v_add_nc_u64_e32 v[20:21], s[28:29], v[24:25]
	s_wait_xcnt 0x2
	v_add_nc_u64_e32 v[22:23], s[28:29], v[26:27]
	s_wait_xcnt 0x1
	s_delay_alu instid0(VALU_DEP_2)
	v_add_nc_u64_e32 v[24:25], s[28:29], v[20:21]
	global_load_u16 v26, v[20:21], off
	s_wait_xcnt 0x0
	v_add_nc_u64_e32 v[20:21], s[28:29], v[22:23]
	global_load_u16 v27, v[22:23], off
	global_load_u16 v36, v[24:25], off
	;; [unrolled: 1-line block ×3, first 2 shown]
	s_wait_xcnt 0x2
	v_add_nc_u64_e32 v[22:23], s[28:29], v[24:25]
	global_load_u16 v38, v[22:23], off
	s_wait_xcnt 0x2
	v_add_nc_u64_e32 v[24:25], s[28:29], v[20:21]
	s_wait_xcnt 0x1
	v_add_nc_u64_e32 v[20:21], s[28:29], v[22:23]
	s_wait_xcnt 0x0
	s_delay_alu instid0(VALU_DEP_2)
	v_add_nc_u64_e32 v[22:23], s[28:29], v[24:25]
	global_load_u16 v39, v[24:25], off
	global_load_u16 v40, v[20:21], off
	;; [unrolled: 1-line block ×3, first 2 shown]
	s_wait_xcnt 0x1
	ds_bpermute_b32 v21, v3, v19
	s_wait_xcnt 0x0
	ds_bpermute_b32 v23, v12, v19
	ds_bpermute_b32 v24, v3, v18
	;; [unrolled: 1-line block ×3, first 2 shown]
	s_wait_loadcnt 0xe
	v_dual_lshlrev_b32 v22, 16, v28 :: v_dual_lshlrev_b32 v20, 16, v29
	ds_bpermute_b32 v28, v14, v18
	s_wait_loadcnt_dscnt 0xd04
	v_dual_sub_f32 v21, v22, v21 :: v_dual_lshlrev_b32 v29, 16, v30
	ds_bpermute_b32 v30, v15, v19
	s_wait_loadcnt 0xc
	v_dual_mul_f32 v21, v21, v20 :: v_dual_lshlrev_b32 v22, 16, v31
	s_wait_dscnt 0x4
	v_sub_f32_e32 v23, v29, v23
	ds_bpermute_b32 v29, v16, v19
	s_wait_loadcnt 0xb
	v_lshlrev_b32_e32 v31, 16, v32
	ds_bpermute_b32 v32, v17, v19
	s_wait_dscnt 0x5
	v_dual_mul_f32 v21, v21, v24 :: v_dual_mul_f32 v19, v23, v22
	s_wait_loadcnt 0xa
	v_dual_sub_f32 v31, v31, v43 :: v_dual_lshlrev_b32 v24, 16, v33
	s_wait_loadcnt 0x9
	v_lshlrev_b32_e32 v33, 16, v34
	v_pk_add_f32 v[4:5], v[4:5], v[20:21]
	s_wait_loadcnt_dscnt 0x804
	v_dual_mul_f32 v23, v19, v25 :: v_dual_lshlrev_b32 v20, 16, v35
	s_delay_alu instid0(VALU_DEP_3) | instskip(NEXT) | instid1(VALU_DEP_2)
	v_dual_mul_f32 v19, v31, v24 :: v_dual_sub_f32 v21, v33, v45
	v_pk_add_f32 v[4:5], v[4:5], v[22:23]
	s_wait_loadcnt 0x7
	v_lshlrev_b32_e32 v26, 16, v26
	s_wait_loadcnt 0x6
	v_dual_mul_f32 v25, v19, v42 :: v_dual_lshlrev_b32 v22, 16, v27
	s_delay_alu instid0(VALU_DEP_2)
	v_dual_mul_f32 v19, v21, v20 :: v_dual_sub_f32 v23, v26, v46
	s_wait_loadcnt 0x5
	v_lshlrev_b32_e32 v27, 16, v36
	ds_bpermute_b32 v26, v17, v18
	v_pk_add_f32 v[4:5], v[4:5], v[24:25]
	s_wait_loadcnt 0x4
	v_dual_mul_f32 v21, v19, v44 :: v_dual_lshlrev_b32 v18, 16, v37
	v_mul_f32_e32 v19, v23, v22
	s_wait_dscnt 0x3
	v_sub_f32_e32 v24, v27, v30
	s_delay_alu instid0(VALU_DEP_3) | instskip(SKIP_3) | instid1(VALU_DEP_1)
	v_pk_add_f32 v[4:5], v[4:5], v[20:21]
	s_wait_loadcnt 0x3
	v_dual_lshlrev_b32 v25, 16, v38 :: v_dual_mul_f32 v23, v19, v28
	s_wait_dscnt 0x2
	v_sub_f32_e32 v21, v25, v29
	s_delay_alu instid0(VALU_DEP_2) | instskip(SKIP_4) | instid1(VALU_DEP_2)
	v_pk_add_f32 v[4:5], v[4:5], v[22:23]
	s_wait_loadcnt 0x2
	v_dual_mul_f32 v19, v24, v18 :: v_dual_lshlrev_b32 v20, 16, v39
	s_wait_loadcnt 0x0
	v_dual_lshlrev_b32 v24, 16, v40 :: v_dual_lshlrev_b32 v22, 16, v41
	v_dual_mul_f32 v21, v21, v20 :: v_dual_mul_f32 v19, v19, v47
	s_wait_dscnt 0x1
	s_delay_alu instid0(VALU_DEP_2) | instskip(NEXT) | instid1(VALU_DEP_2)
	v_sub_f32_e32 v23, v24, v32
	v_mul_f32_e32 v21, v21, v48
	s_delay_alu instid0(VALU_DEP_3) | instskip(NEXT) | instid1(VALU_DEP_3)
	v_pk_add_f32 v[4:5], v[4:5], v[18:19]
	v_mul_f32_e32 v18, v23, v22
	s_delay_alu instid0(VALU_DEP_2) | instskip(SKIP_1) | instid1(VALU_DEP_2)
	v_pk_add_f32 v[4:5], v[4:5], v[20:21]
	s_wait_dscnt 0x0
	v_mul_f32_e32 v23, v18, v26
	s_delay_alu instid0(VALU_DEP_1)
	v_pk_add_f32 v[4:5], v[4:5], v[22:23]
	s_cbranch_vccz .LBB108_10
.LBB108_7:                              ; =>This Inner Loop Header: Depth=1
	v_dual_mov_b32 v18, 0 :: v_dual_mov_b32 v19, 0
	s_and_saveexec_b32 s3, s2
	s_cbranch_execz .LBB108_6
; %bb.8:                                ;   in Loop: Header=BB108_7 Depth=1
	v_dual_mov_b32 v19, 0 :: v_dual_mov_b32 v18, 0
	s_mov_b32 s30, exec_lo
	v_cmpx_gt_i64_e64 s[12:13], v[6:7]
	s_cbranch_execz .LBB108_5
; %bb.9:                                ;   in Loop: Header=BB108_7 Depth=1
	v_add_nc_u64_e32 v[20:21], s[8:9], v[8:9]
	v_add_nc_u64_e32 v[22:23], s[10:11], v[8:9]
	global_load_b32 v19, v[20:21], off
	global_load_b32 v18, v[22:23], off
	s_branch .LBB108_5
.LBB108_10:
	v_mov_b32_e32 v2, v1
	s_mov_b64 s[4:5], s[20:21]
.LBB108_11:
	s_load_b128 s[0:3], s[0:1], 0x30
	s_nop 0
	s_load_u16 s4, s[4:5], 0xe
	v_mov_b32_e32 v1, 0
	s_delay_alu instid0(VALU_DEP_1) | instskip(SKIP_1) | instid1(VALU_DEP_1)
	v_mov_b32_e32 v3, v1
	s_wait_kmcnt 0x0
	v_mad_nc_u64_u32 v[2:3], s4, s17, v[2:3]
	s_mov_b32 s17, 0
	s_delay_alu instid0(SALU_CYCLE_1) | instskip(SKIP_2) | instid1(VALU_DEP_2)
	s_lshl_b64 s[4:5], s[16:17], 5
	s_cmp_eq_u64 s[0:1], 0
	v_add_nc_u64_e32 v[0:1], s[4:5], v[0:1]
	v_mul_u64_e32 v[2:3], s[14:15], v[2:3]
	s_cbranch_scc1 .LBB108_13
; %bb.12:
	v_bfe_u32 v6, v5, 16, 1
	v_cmp_o_f32_e32 vcc_lo, v5, v5
	s_delay_alu instid0(VALU_DEP_2) | instskip(NEXT) | instid1(VALU_DEP_1)
	v_add3_u32 v6, v5, v6, 0x7fff
	v_lshrrev_b32_e32 v8, 16, v6
	v_lshl_add_u64 v[6:7], v[2:3], 1, s[0:1]
	s_delay_alu instid0(VALU_DEP_2) | instskip(NEXT) | instid1(VALU_DEP_2)
	v_cndmask_b32_e32 v5, 0x7fc0, v8, vcc_lo
	v_lshl_add_u64 v[6:7], v[0:1], 1, v[6:7]
	global_store_b16 v[6:7], v5, off
.LBB108_13:
	s_cmp_eq_u64 s[2:3], 0
	s_cbranch_scc1 .LBB108_15
; %bb.14:
	s_wait_xcnt 0x0
	v_bfe_u32 v5, v4, 16, 1
	s_delay_alu instid0(VALU_DEP_2) | instskip(SKIP_1) | instid1(VALU_DEP_3)
	v_lshl_add_u64 v[2:3], v[2:3], 1, s[2:3]
	v_cmp_o_f32_e32 vcc_lo, v4, v4
	v_add3_u32 v5, v4, v5, 0x7fff
	s_delay_alu instid0(VALU_DEP_3) | instskip(NEXT) | instid1(VALU_DEP_2)
	v_lshl_add_u64 v[0:1], v[0:1], 1, v[2:3]
	v_lshrrev_b32_e32 v5, 16, v5
	s_delay_alu instid0(VALU_DEP_1)
	v_cndmask_b32_e32 v4, 0x7fc0, v5, vcc_lo
	global_store_b16 v[0:1], v4, off
.LBB108_15:
	s_endpgm
	.section	.rodata,"a",@progbits
	.p2align	6, 0x0
	.amdhsa_kernel _ZN2at6native12_GLOBAL__N_135GammaBetaBackwardCUDAKernelTemplateIN3c108BFloat16EfLj32ELj1ELj8ELb1ELb1ELb0EEEvllPKT_S7_PKT0_SA_PS5_SB_
		.amdhsa_group_segment_fixed_size 0
		.amdhsa_private_segment_fixed_size 0
		.amdhsa_kernarg_size 320
		.amdhsa_user_sgpr_count 2
		.amdhsa_user_sgpr_dispatch_ptr 0
		.amdhsa_user_sgpr_queue_ptr 0
		.amdhsa_user_sgpr_kernarg_segment_ptr 1
		.amdhsa_user_sgpr_dispatch_id 0
		.amdhsa_user_sgpr_kernarg_preload_length 0
		.amdhsa_user_sgpr_kernarg_preload_offset 0
		.amdhsa_user_sgpr_private_segment_size 0
		.amdhsa_wavefront_size32 1
		.amdhsa_uses_dynamic_stack 0
		.amdhsa_enable_private_segment 0
		.amdhsa_system_sgpr_workgroup_id_x 1
		.amdhsa_system_sgpr_workgroup_id_y 1
		.amdhsa_system_sgpr_workgroup_id_z 0
		.amdhsa_system_sgpr_workgroup_info 0
		.amdhsa_system_vgpr_workitem_id 1
		.amdhsa_next_free_vgpr 49
		.amdhsa_next_free_sgpr 31
		.amdhsa_named_barrier_count 0
		.amdhsa_reserve_vcc 1
		.amdhsa_float_round_mode_32 0
		.amdhsa_float_round_mode_16_64 0
		.amdhsa_float_denorm_mode_32 3
		.amdhsa_float_denorm_mode_16_64 3
		.amdhsa_fp16_overflow 0
		.amdhsa_memory_ordered 1
		.amdhsa_forward_progress 1
		.amdhsa_inst_pref_size 13
		.amdhsa_round_robin_scheduling 0
		.amdhsa_exception_fp_ieee_invalid_op 0
		.amdhsa_exception_fp_denorm_src 0
		.amdhsa_exception_fp_ieee_div_zero 0
		.amdhsa_exception_fp_ieee_overflow 0
		.amdhsa_exception_fp_ieee_underflow 0
		.amdhsa_exception_fp_ieee_inexact 0
		.amdhsa_exception_int_div_zero 0
	.end_amdhsa_kernel
	.section	.text._ZN2at6native12_GLOBAL__N_135GammaBetaBackwardCUDAKernelTemplateIN3c108BFloat16EfLj32ELj1ELj8ELb1ELb1ELb0EEEvllPKT_S7_PKT0_SA_PS5_SB_,"axG",@progbits,_ZN2at6native12_GLOBAL__N_135GammaBetaBackwardCUDAKernelTemplateIN3c108BFloat16EfLj32ELj1ELj8ELb1ELb1ELb0EEEvllPKT_S7_PKT0_SA_PS5_SB_,comdat
.Lfunc_end108:
	.size	_ZN2at6native12_GLOBAL__N_135GammaBetaBackwardCUDAKernelTemplateIN3c108BFloat16EfLj32ELj1ELj8ELb1ELb1ELb0EEEvllPKT_S7_PKT0_SA_PS5_SB_, .Lfunc_end108-_ZN2at6native12_GLOBAL__N_135GammaBetaBackwardCUDAKernelTemplateIN3c108BFloat16EfLj32ELj1ELj8ELb1ELb1ELb0EEEvllPKT_S7_PKT0_SA_PS5_SB_
                                        ; -- End function
	.set _ZN2at6native12_GLOBAL__N_135GammaBetaBackwardCUDAKernelTemplateIN3c108BFloat16EfLj32ELj1ELj8ELb1ELb1ELb0EEEvllPKT_S7_PKT0_SA_PS5_SB_.num_vgpr, 49
	.set _ZN2at6native12_GLOBAL__N_135GammaBetaBackwardCUDAKernelTemplateIN3c108BFloat16EfLj32ELj1ELj8ELb1ELb1ELb0EEEvllPKT_S7_PKT0_SA_PS5_SB_.num_agpr, 0
	.set _ZN2at6native12_GLOBAL__N_135GammaBetaBackwardCUDAKernelTemplateIN3c108BFloat16EfLj32ELj1ELj8ELb1ELb1ELb0EEEvllPKT_S7_PKT0_SA_PS5_SB_.numbered_sgpr, 31
	.set _ZN2at6native12_GLOBAL__N_135GammaBetaBackwardCUDAKernelTemplateIN3c108BFloat16EfLj32ELj1ELj8ELb1ELb1ELb0EEEvllPKT_S7_PKT0_SA_PS5_SB_.num_named_barrier, 0
	.set _ZN2at6native12_GLOBAL__N_135GammaBetaBackwardCUDAKernelTemplateIN3c108BFloat16EfLj32ELj1ELj8ELb1ELb1ELb0EEEvllPKT_S7_PKT0_SA_PS5_SB_.private_seg_size, 0
	.set _ZN2at6native12_GLOBAL__N_135GammaBetaBackwardCUDAKernelTemplateIN3c108BFloat16EfLj32ELj1ELj8ELb1ELb1ELb0EEEvllPKT_S7_PKT0_SA_PS5_SB_.uses_vcc, 1
	.set _ZN2at6native12_GLOBAL__N_135GammaBetaBackwardCUDAKernelTemplateIN3c108BFloat16EfLj32ELj1ELj8ELb1ELb1ELb0EEEvllPKT_S7_PKT0_SA_PS5_SB_.uses_flat_scratch, 0
	.set _ZN2at6native12_GLOBAL__N_135GammaBetaBackwardCUDAKernelTemplateIN3c108BFloat16EfLj32ELj1ELj8ELb1ELb1ELb0EEEvllPKT_S7_PKT0_SA_PS5_SB_.has_dyn_sized_stack, 0
	.set _ZN2at6native12_GLOBAL__N_135GammaBetaBackwardCUDAKernelTemplateIN3c108BFloat16EfLj32ELj1ELj8ELb1ELb1ELb0EEEvllPKT_S7_PKT0_SA_PS5_SB_.has_recursion, 0
	.set _ZN2at6native12_GLOBAL__N_135GammaBetaBackwardCUDAKernelTemplateIN3c108BFloat16EfLj32ELj1ELj8ELb1ELb1ELb0EEEvllPKT_S7_PKT0_SA_PS5_SB_.has_indirect_call, 0
	.section	.AMDGPU.csdata,"",@progbits
; Kernel info:
; codeLenInByte = 1548
; TotalNumSgprs: 33
; NumVgprs: 49
; ScratchSize: 0
; MemoryBound: 0
; FloatMode: 240
; IeeeMode: 1
; LDSByteSize: 0 bytes/workgroup (compile time only)
; SGPRBlocks: 0
; VGPRBlocks: 3
; NumSGPRsForWavesPerEU: 33
; NumVGPRsForWavesPerEU: 49
; NamedBarCnt: 0
; Occupancy: 16
; WaveLimiterHint : 0
; COMPUTE_PGM_RSRC2:SCRATCH_EN: 0
; COMPUTE_PGM_RSRC2:USER_SGPR: 2
; COMPUTE_PGM_RSRC2:TRAP_HANDLER: 0
; COMPUTE_PGM_RSRC2:TGID_X_EN: 1
; COMPUTE_PGM_RSRC2:TGID_Y_EN: 1
; COMPUTE_PGM_RSRC2:TGID_Z_EN: 0
; COMPUTE_PGM_RSRC2:TIDIG_COMP_CNT: 1
	.section	.text._ZN2at6native12_GLOBAL__N_135GammaBetaBackwardCUDAKernelTemplateIN3c108BFloat16EfLj32ELj1ELj8ELb1ELb0ELb0EEEvllPKT_S7_PKT0_SA_PS5_SB_,"axG",@progbits,_ZN2at6native12_GLOBAL__N_135GammaBetaBackwardCUDAKernelTemplateIN3c108BFloat16EfLj32ELj1ELj8ELb1ELb0ELb0EEEvllPKT_S7_PKT0_SA_PS5_SB_,comdat
	.globl	_ZN2at6native12_GLOBAL__N_135GammaBetaBackwardCUDAKernelTemplateIN3c108BFloat16EfLj32ELj1ELj8ELb1ELb0ELb0EEEvllPKT_S7_PKT0_SA_PS5_SB_ ; -- Begin function _ZN2at6native12_GLOBAL__N_135GammaBetaBackwardCUDAKernelTemplateIN3c108BFloat16EfLj32ELj1ELj8ELb1ELb0ELb0EEEvllPKT_S7_PKT0_SA_PS5_SB_
	.p2align	8
	.type	_ZN2at6native12_GLOBAL__N_135GammaBetaBackwardCUDAKernelTemplateIN3c108BFloat16EfLj32ELj1ELj8ELb1ELb0ELb0EEEvllPKT_S7_PKT0_SA_PS5_SB_,@function
_ZN2at6native12_GLOBAL__N_135GammaBetaBackwardCUDAKernelTemplateIN3c108BFloat16EfLj32ELj1ELj8ELb1ELb0ELb0EEEvllPKT_S7_PKT0_SA_PS5_SB_: ; @_ZN2at6native12_GLOBAL__N_135GammaBetaBackwardCUDAKernelTemplateIN3c108BFloat16EfLj32ELj1ELj8ELb1ELb0ELb0EEEvllPKT_S7_PKT0_SA_PS5_SB_
; %bb.0:
	s_load_b256 s[4:11], s[0:1], 0x0
	s_bfe_u32 s3, ttmp6, 0x4000c
	s_bfe_u32 s12, ttmp6, 0x40010
	s_add_co_i32 s3, s3, 1
	s_add_co_i32 s12, s12, 1
	s_and_b32 s2, ttmp6, 15
	s_bfe_u32 s13, ttmp6, 0x40004
	s_mul_i32 s3, ttmp9, s3
	s_mul_i32 s12, ttmp7, s12
	s_getreg_b32 s14, hwreg(HW_REG_IB_STS2, 6, 4)
	s_add_co_i32 s2, s2, s3
	s_add_co_i32 s3, s13, s12
	s_cmp_eq_u32 s14, 0
	s_mov_b32 s19, 0
	s_cselect_b32 s16, ttmp9, s2
	s_cselect_b32 s33, ttmp7, s3
	s_lshl_b32 s3, s16, 5
	s_load_b128 s[12:15], s[0:1], 0x20
	s_or_b32 s18, s3, 31
	s_wait_kmcnt 0x0
	v_cmp_le_i64_e64 s2, s[6:7], s[18:19]
	s_lshl_b32 s18, s33, 3
	s_delay_alu instid0(SALU_CYCLE_1) | instskip(SKIP_2) | instid1(VALU_DEP_1)
	v_cmp_gt_i64_e64 s17, s[4:5], s[18:19]
	s_and_b32 vcc_lo, exec_lo, s2
	v_cndmask_b32_e64 v1, 0, 1, s17
	v_cmp_ne_u32_e64 s2, 1, v1
	s_cbranch_vccz .LBB109_48
; %bb.1:
	v_mov_b32_e32 v23, 0
	s_and_b32 vcc_lo, exec_lo, s2
	s_delay_alu instid0(VALU_DEP_1)
	v_mov_b32_e32 v22, v23
	s_cbranch_vccnz .LBB109_49
; %bb.2:
	v_bfe_u32 v1, v0, 10, 10
	v_mov_b32_e32 v2, 0
	v_and_b32_e32 v62, 0x3ff, v0
	s_load_b32 s20, s[0:1], 0x44
	s_mov_b32 s21, 0
	s_delay_alu instid0(VALU_DEP_2) | instskip(NEXT) | instid1(VALU_DEP_2)
	v_dual_mov_b32 v21, v2 :: v_dual_lshlrev_b32 v20, 3, v1
	v_dual_mov_b32 v19, v2 :: v_dual_add_nc_u32 v18, s3, v62
	s_mov_b32 s25, s21
	s_add_nc_u64 s[22:23], s[0:1], 64
	s_delay_alu instid0(VALU_DEP_2) | instskip(SKIP_2) | instid1(VALU_DEP_1)
	v_add_nc_u64_e32 v[4:5], s[18:19], v[20:21]
	s_mov_b64 s[28:29], 7
	s_mov_b64 s[30:31], s[18:19]
	v_mul_u64_e32 v[6:7], s[6:7], v[4:5]
	v_add_nc_u64_e32 v[8:9], 7, v[4:5]
	v_add_nc_u64_e32 v[10:11], 6, v[4:5]
	;; [unrolled: 1-line block ×6, first 2 shown]
	s_wait_kmcnt 0x0
	s_lshl_b32 s24, s20, 3
	v_mul_u64_e32 v[8:9], s[6:7], v[8:9]
	v_mul_u64_e32 v[10:11], s[6:7], v[10:11]
	;; [unrolled: 1-line block ×6, first 2 shown]
	s_mul_u64 s[26:27], s[6:7], s[24:25]
	s_delay_alu instid0(SALU_CYCLE_1) | instskip(SKIP_2) | instid1(VALU_DEP_2)
	s_lshl_b64 s[26:27], s[26:27], 1
	v_lshlrev_b64_e32 v[22:23], 1, v[6:7]
	v_add_nc_u64_e32 v[6:7], s[6:7], v[6:7]
	v_add_nc_u64_e32 v[26:27], s[8:9], v[22:23]
	v_lshlrev_b64_e32 v[8:9], 1, v[8:9]
	v_lshlrev_b64_e32 v[10:11], 1, v[10:11]
	v_lshlrev_b64_e32 v[12:13], 1, v[12:13]
	v_lshlrev_b64_e32 v[14:15], 1, v[14:15]
	v_lshlrev_b64_e32 v[16:17], 1, v[16:17]
	v_lshlrev_b64_e32 v[4:5], 1, v[4:5]
	v_lshlrev_b64_e32 v[6:7], 1, v[6:7]
	v_add_nc_u64_e32 v[28:29], s[10:11], v[22:23]
	v_add_nc_u64_e32 v[30:31], s[8:9], v[8:9]
	;; [unrolled: 1-line block ×15, first 2 shown]
	v_mov_b32_e32 v22, 0
	v_cmp_gt_i64_e64 s2, s[6:7], v[18:19]
	v_lshlrev_b64_e32 v[24:25], 1, v[18:19]
	v_mov_b32_e32 v23, v2
	s_branch .LBB109_5
.LBB109_3:                              ;   in Loop: Header=BB109_5 Depth=1
	s_or_b32 exec_lo, exec_lo, s20
	s_wait_loadcnt 0x1
	ds_bpermute_b32 v3, v2, v60
	ds_bpermute_b32 v59, v2, v60 offset:4
	ds_bpermute_b32 v63, v2, v60 offset:8
	s_wait_loadcnt 0x0
	ds_bpermute_b32 v64, v2, v61
	ds_bpermute_b32 v65, v2, v60 offset:12
	ds_bpermute_b32 v66, v2, v61 offset:4
	;; [unrolled: 1-line block ×9, first 2 shown]
	s_wait_dscnt 0xc
	v_dual_mov_b32 v58, v5 :: v_dual_sub_f32 v3, v12, v3
	s_wait_dscnt 0xb
	v_dual_mov_b32 v12, v4 :: v_dual_sub_f32 v13, v13, v59
	s_wait_dscnt 0xa
	v_sub_f32_e32 v59, v14, v63
	v_dual_mul_f32 v3, v4, v3 :: v_dual_mov_b32 v4, v6
	s_delay_alu instid0(VALU_DEP_3) | instskip(SKIP_1) | instid1(VALU_DEP_2)
	v_dual_mul_f32 v5, v5, v13 :: v_dual_mov_b32 v14, v7
	s_wait_dscnt 0x9
	v_dual_mul_f32 v6, v6, v59 :: v_dual_mul_f32 v13, v3, v64
	s_wait_dscnt 0x7
	s_delay_alu instid0(VALU_DEP_2) | instskip(SKIP_1) | instid1(VALU_DEP_2)
	v_dual_sub_f32 v3, v15, v65 :: v_dual_mul_f32 v59, v5, v66
	s_wait_dscnt 0x6
	v_mul_f32_e32 v5, v6, v67
	v_pk_add_f32 v[12:13], v[22:23], v[12:13]
	ds_bpermute_b32 v22, v2, v61 offset:24
	s_wait_dscnt 0x6
	v_dual_sub_f32 v15, v16, v69 :: v_dual_mul_f32 v3, v7, v3
	v_pk_add_f32 v[6:7], v[58:59], v[12:13]
	s_wait_dscnt 0x4
	v_dual_mov_b32 v12, v8 :: v_dual_sub_f32 v13, v17, v72
	s_delay_alu instid0(VALU_DEP_3) | instskip(NEXT) | instid1(VALU_DEP_3)
	v_dual_mul_f32 v8, v8, v15 :: v_dual_mul_f32 v15, v3, v68
	v_pk_add_f32 v[4:5], v[4:5], v[6:7]
	ds_bpermute_b32 v3, v2, v61 offset:28
	s_wait_dscnt 0x3
	v_sub_f32_e32 v16, v18, v73
	v_dual_mul_f32 v17, v9, v13 :: v_dual_mul_f32 v13, v8, v70
	v_pk_add_f32 v[6:7], v[14:15], v[4:5]
	ds_bpermute_b32 v4, v2, v60 offset:28
	v_dual_mov_b32 v8, v9 :: v_dual_mul_f32 v5, v10, v16
	s_wait_dscnt 0x3
	v_mul_f32_e32 v9, v17, v71
	v_pk_add_f32 v[6:7], v[12:13], v[6:7]
	s_wait_dscnt 0x2
	v_dual_mov_b32 v12, v10 :: v_dual_mul_f32 v13, v5, v22
	s_delay_alu instid0(VALU_DEP_2) | instskip(NEXT) | instid1(VALU_DEP_1)
	v_pk_add_f32 v[6:7], v[8:9], v[6:7]
	v_pk_add_f32 v[60:61], v[12:13], v[6:7]
.LBB109_4:                              ;   in Loop: Header=BB109_5 Depth=1
	s_wait_dscnt 0x0
	v_sub_f32_e32 v5, v19, v4
	v_mov_b32_e32 v4, v11
	s_add_nc_u64 s[30:31], s[30:31], s[24:25]
	v_add_nc_u64_e32 v[26:27], s[26:27], v[26:27]
	v_cmp_lt_i64_e64 s20, s[30:31], s[4:5]
	v_mul_f32_e32 v5, v11, v5
	v_add_nc_u64_e32 v[28:29], s[26:27], v[28:29]
	v_add_nc_u64_e32 v[30:31], s[26:27], v[30:31]
	;; [unrolled: 1-line block ×4, first 2 shown]
	v_mul_f32_e32 v5, v5, v3
	v_add_nc_u64_e32 v[36:37], s[26:27], v[36:37]
	v_add_nc_u64_e32 v[38:39], s[26:27], v[38:39]
	;; [unrolled: 1-line block ×12, first 2 shown]
	v_pk_add_f32 v[22:23], v[60:61], v[4:5]
	s_and_b32 vcc_lo, exec_lo, s20
	s_add_nc_u64 s[28:29], s[28:29], s[24:25]
	s_cbranch_vccz .LBB109_49
.LBB109_5:                              ; =>This Inner Loop Header: Depth=1
	s_add_nc_u64 s[34:35], s[18:19], s[28:29]
	s_delay_alu instid0(VALU_DEP_2)
	v_add_nc_u64_e32 v[58:59], s[18:19], v[20:21]
	v_cmp_ge_i64_e64 s20, s[34:35], s[4:5]
                                        ; implicit-def: $vgpr4_vgpr5_vgpr6_vgpr7_vgpr8_vgpr9_vgpr10_vgpr11
                                        ; implicit-def: $vgpr60_vgpr61
                                        ; implicit-def: $vgpr3
                                        ; implicit-def: $vgpr12_vgpr13_vgpr14_vgpr15_vgpr16_vgpr17_vgpr18_vgpr19
                                        ; implicit-def: $vgpr4
	s_and_b32 vcc_lo, exec_lo, s20
	s_mov_b32 s20, -1
	s_cbranch_vccz .LBB109_27
; %bb.6:                                ;   in Loop: Header=BB109_5 Depth=1
	s_load_b32 s20, s[22:23], 0xc
	v_dual_mov_b32 v60, 0 :: v_dual_mov_b32 v61, 0
	s_wait_kmcnt 0x0
	s_and_b32 s20, s20, 0xffff
	s_delay_alu instid0(SALU_CYCLE_1) | instskip(SKIP_1) | instid1(VALU_DEP_1)
	v_mad_u32_u24 v3, v1, s20, v62
	s_mov_b32 s20, exec_lo
	v_and_b32_e32 v4, 31, v3
	s_delay_alu instid0(VALU_DEP_1)
	v_cmpx_gt_u32_e32 8, v4
	s_cbranch_execz .LBB109_10
; %bb.7:                                ;   in Loop: Header=BB109_5 Depth=1
	v_dual_mov_b32 v5, v2 :: v_dual_mov_b32 v60, 0
	v_mov_b32_e32 v61, 0
	s_mov_b32 s34, exec_lo
	s_delay_alu instid0(VALU_DEP_2) | instskip(NEXT) | instid1(VALU_DEP_1)
	v_add_nc_u64_e32 v[4:5], v[58:59], v[4:5]
	v_cmpx_gt_i64_e64 s[4:5], v[4:5]
	s_cbranch_execz .LBB109_9
; %bb.8:                                ;   in Loop: Header=BB109_5 Depth=1
	v_lshlrev_b64_e32 v[4:5], 2, v[4:5]
	s_delay_alu instid0(VALU_DEP_1)
	v_add_nc_u64_e32 v[6:7], s[12:13], v[4:5]
	v_add_nc_u64_e32 v[4:5], s[14:15], v[4:5]
	global_load_b32 v60, v[6:7], off
	global_load_b32 v61, v[4:5], off
.LBB109_9:                              ;   in Loop: Header=BB109_5 Depth=1
	s_wait_xcnt 0x0
	s_or_b32 exec_lo, exec_lo, s34
.LBB109_10:                             ;   in Loop: Header=BB109_5 Depth=1
	s_delay_alu instid0(SALU_CYCLE_1)
	s_or_b32 exec_lo, exec_lo, s20
	v_dual_mov_b32 v7, v2 :: v_dual_mov_b32 v8, v2
	v_dual_mov_b32 v9, v2 :: v_dual_mov_b32 v3, v2
	;; [unrolled: 1-line block ×3, first 2 shown]
	v_mov_b32_e32 v6, v2
	v_cmp_gt_i64_e32 vcc_lo, s[4:5], v[58:59]
	s_delay_alu instid0(VALU_DEP_4)
	v_mov_b64_e32 v[18:19], v[8:9]
	v_mov_b64_e32 v[12:13], v[2:3]
	v_mov_b64_e32 v[14:15], v[4:5]
	v_mov_b64_e32 v[16:17], v[6:7]
	v_mov_b64_e32 v[10:11], v[8:9]
	v_mov_b64_e32 v[8:9], v[6:7]
	v_mov_b64_e32 v[6:7], v[4:5]
	v_mov_b64_e32 v[4:5], v[2:3]
	s_and_b32 s34, s2, vcc_lo
	s_delay_alu instid0(SALU_CYCLE_1)
	s_and_saveexec_b32 s20, s34
	s_cbranch_execz .LBB109_12
; %bb.11:                               ;   in Loop: Header=BB109_5 Depth=1
	v_add_nc_u64_e32 v[4:5], v[26:27], v[24:25]
	v_add_nc_u64_e32 v[6:7], v[28:29], v[24:25]
	v_dual_mov_b32 v9, v2 :: v_dual_mov_b32 v10, v2
	v_dual_mov_b32 v11, v2 :: v_dual_mov_b32 v13, v2
	;; [unrolled: 1-line block ×3, first 2 shown]
	global_load_u16 v3, v[4:5], off
	global_load_u16 v12, v[6:7], off
	s_wait_xcnt 0x0
	v_dual_mov_b32 v5, v2 :: v_dual_mov_b32 v6, v2
	v_dual_mov_b32 v7, v2 :: v_dual_mov_b32 v8, v2
	;; [unrolled: 1-line block ×4, first 2 shown]
	s_wait_loadcnt 0x0
	v_dual_lshlrev_b32 v4, 16, v3 :: v_dual_lshlrev_b32 v12, 16, v12
.LBB109_12:                             ;   in Loop: Header=BB109_5 Depth=1
	s_or_b32 exec_lo, exec_lo, s20
	v_add_nc_u64_e32 v[64:65], 1, v[58:59]
	s_delay_alu instid0(VALU_DEP_1) | instskip(SKIP_1) | instid1(SALU_CYCLE_1)
	v_cmp_gt_i64_e32 vcc_lo, s[4:5], v[64:65]
	s_and_b32 s34, s2, vcc_lo
	s_and_saveexec_b32 s20, s34
	s_cbranch_execz .LBB109_14
; %bb.13:                               ;   in Loop: Header=BB109_5 Depth=1
	v_add_nc_u64_e32 v[64:65], v[54:55], v[24:25]
	v_add_nc_u64_e32 v[66:67], v[56:57], v[24:25]
	global_load_u16 v3, v[64:65], off
	global_load_u16 v13, v[66:67], off
	s_wait_loadcnt 0x0
	v_dual_lshlrev_b32 v5, 16, v3 :: v_dual_lshlrev_b32 v13, 16, v13
.LBB109_14:                             ;   in Loop: Header=BB109_5 Depth=1
	s_or_b32 exec_lo, exec_lo, s20
	v_add_nc_u64_e32 v[64:65], 2, v[58:59]
	s_delay_alu instid0(VALU_DEP_1) | instskip(SKIP_1) | instid1(SALU_CYCLE_1)
	v_cmp_gt_i64_e32 vcc_lo, s[4:5], v[64:65]
	s_and_b32 s34, s2, vcc_lo
	s_and_saveexec_b32 s20, s34
	s_cbranch_execz .LBB109_16
; %bb.15:                               ;   in Loop: Header=BB109_5 Depth=1
	v_add_nc_u64_e32 v[64:65], v[50:51], v[24:25]
	v_add_nc_u64_e32 v[66:67], v[52:53], v[24:25]
	global_load_u16 v3, v[64:65], off
	global_load_u16 v14, v[66:67], off
	s_wait_loadcnt 0x0
	v_dual_lshlrev_b32 v6, 16, v3 :: v_dual_lshlrev_b32 v14, 16, v14
.LBB109_16:                             ;   in Loop: Header=BB109_5 Depth=1
	s_or_b32 exec_lo, exec_lo, s20
	v_add_nc_u64_e32 v[64:65], 3, v[58:59]
	s_delay_alu instid0(VALU_DEP_1) | instskip(SKIP_1) | instid1(SALU_CYCLE_1)
	v_cmp_gt_i64_e32 vcc_lo, s[4:5], v[64:65]
	s_and_b32 s34, s2, vcc_lo
	s_and_saveexec_b32 s20, s34
	s_cbranch_execz .LBB109_18
; %bb.17:                               ;   in Loop: Header=BB109_5 Depth=1
	v_add_nc_u64_e32 v[64:65], v[46:47], v[24:25]
	v_add_nc_u64_e32 v[66:67], v[48:49], v[24:25]
	global_load_u16 v3, v[64:65], off
	global_load_u16 v15, v[66:67], off
	s_wait_loadcnt 0x1
	v_lshlrev_b32_e32 v7, 16, v3
	s_wait_loadcnt 0x0
	v_lshlrev_b32_e32 v15, 16, v15
.LBB109_18:                             ;   in Loop: Header=BB109_5 Depth=1
	s_or_b32 exec_lo, exec_lo, s20
	v_add_nc_u64_e32 v[64:65], 4, v[58:59]
	s_delay_alu instid0(VALU_DEP_1) | instskip(SKIP_1) | instid1(SALU_CYCLE_1)
	v_cmp_gt_i64_e32 vcc_lo, s[4:5], v[64:65]
	s_and_b32 s34, s2, vcc_lo
	s_and_saveexec_b32 s20, s34
	s_cbranch_execz .LBB109_20
; %bb.19:                               ;   in Loop: Header=BB109_5 Depth=1
	v_add_nc_u64_e32 v[64:65], v[42:43], v[24:25]
	v_add_nc_u64_e32 v[66:67], v[44:45], v[24:25]
	global_load_u16 v3, v[64:65], off
	global_load_u16 v16, v[66:67], off
	s_wait_loadcnt 0x0
	v_dual_lshlrev_b32 v8, 16, v3 :: v_dual_lshlrev_b32 v16, 16, v16
.LBB109_20:                             ;   in Loop: Header=BB109_5 Depth=1
	s_or_b32 exec_lo, exec_lo, s20
	v_add_nc_u64_e32 v[64:65], 5, v[58:59]
	s_delay_alu instid0(VALU_DEP_1) | instskip(SKIP_1) | instid1(SALU_CYCLE_1)
	v_cmp_gt_i64_e32 vcc_lo, s[4:5], v[64:65]
	s_and_b32 s34, s2, vcc_lo
	s_and_saveexec_b32 s20, s34
	s_cbranch_execz .LBB109_22
; %bb.21:                               ;   in Loop: Header=BB109_5 Depth=1
	v_add_nc_u64_e32 v[64:65], v[38:39], v[24:25]
	v_add_nc_u64_e32 v[66:67], v[40:41], v[24:25]
	global_load_u16 v3, v[64:65], off
	global_load_u16 v17, v[66:67], off
	s_wait_loadcnt 0x0
	v_dual_lshlrev_b32 v9, 16, v3 :: v_dual_lshlrev_b32 v17, 16, v17
.LBB109_22:                             ;   in Loop: Header=BB109_5 Depth=1
	;; [unrolled: 15-line block ×3, first 2 shown]
	s_or_b32 exec_lo, exec_lo, s20
	v_add_nc_u64_e32 v[64:65], 7, v[58:59]
	s_delay_alu instid0(VALU_DEP_1) | instskip(SKIP_1) | instid1(SALU_CYCLE_1)
	v_cmp_gt_i64_e32 vcc_lo, s[4:5], v[64:65]
	s_and_b32 s34, s2, vcc_lo
	s_and_saveexec_b32 s20, s34
	s_cbranch_execz .LBB109_26
; %bb.25:                               ;   in Loop: Header=BB109_5 Depth=1
	v_add_nc_u64_e32 v[64:65], v[30:31], v[24:25]
	v_add_nc_u64_e32 v[66:67], v[32:33], v[24:25]
	global_load_u16 v3, v[64:65], off
	global_load_u16 v19, v[66:67], off
	s_wait_loadcnt 0x1
	v_lshlrev_b32_e32 v11, 16, v3
	s_wait_loadcnt 0x0
	v_lshlrev_b32_e32 v19, 16, v19
.LBB109_26:                             ;   in Loop: Header=BB109_5 Depth=1
	s_or_b32 exec_lo, exec_lo, s20
	s_wait_loadcnt 0x1
	ds_bpermute_b32 v3, v2, v60
	ds_bpermute_b32 v63, v2, v60 offset:4
	ds_bpermute_b32 v65, v2, v60 offset:8
	s_wait_loadcnt 0x0
	ds_bpermute_b32 v66, v2, v61
	ds_bpermute_b32 v67, v2, v60 offset:12
	ds_bpermute_b32 v68, v2, v61 offset:4
	ds_bpermute_b32 v69, v2, v61 offset:8
	ds_bpermute_b32 v71, v2, v60 offset:16
	ds_bpermute_b32 v70, v2, v61 offset:12
	ds_bpermute_b32 v74, v2, v60 offset:20
	ds_bpermute_b32 v72, v2, v61 offset:16
	ds_bpermute_b32 v73, v2, v61 offset:20
	s_mov_b32 s20, 0
	s_wait_dscnt 0xb
	v_dual_mov_b32 v64, v5 :: v_dual_sub_f32 v3, v12, v3
	s_wait_dscnt 0xa
	v_dual_mov_b32 v12, v4 :: v_dual_sub_f32 v13, v13, v63
	ds_bpermute_b32 v63, v2, v60 offset:24
	v_dual_mul_f32 v3, v4, v3 :: v_dual_mov_b32 v4, v6
	s_wait_dscnt 0xa
	v_sub_f32_e32 v65, v14, v65
	v_dual_mul_f32 v5, v5, v13 :: v_dual_mov_b32 v14, v7
	s_wait_dscnt 0x9
	v_mul_f32_e32 v13, v3, v66
	s_wait_dscnt 0x8
	v_dual_sub_f32 v3, v15, v67 :: v_dual_mul_f32 v6, v6, v65
	s_wait_dscnt 0x5
	v_dual_mul_f32 v65, v5, v68 :: v_dual_sub_f32 v15, v16, v71
	v_pk_add_f32 v[12:13], v[22:23], v[12:13]
	ds_bpermute_b32 v66, v2, v61 offset:24
	v_dual_mul_f32 v3, v7, v3 :: v_dual_mul_f32 v5, v6, v69
	v_pk_add_f32 v[6:7], v[64:65], v[12:13]
	s_wait_dscnt 0x4
	v_dual_mov_b32 v12, v8 :: v_dual_sub_f32 v13, v17, v74
	s_delay_alu instid0(VALU_DEP_3) | instskip(NEXT) | instid1(VALU_DEP_3)
	v_dual_mul_f32 v8, v8, v15 :: v_dual_mul_f32 v15, v3, v70
	v_pk_add_f32 v[4:5], v[4:5], v[6:7]
	ds_bpermute_b32 v3, v2, v61 offset:28
	s_wait_dscnt 0x2
	v_dual_sub_f32 v16, v18, v63 :: v_dual_mul_f32 v17, v9, v13
	v_dual_mul_f32 v13, v8, v72 :: v_dual_mov_b32 v8, v9
	v_pk_add_f32 v[6:7], v[14:15], v[4:5]
	ds_bpermute_b32 v4, v2, v60 offset:28
	v_dual_mul_f32 v5, v10, v16 :: v_dual_mul_f32 v9, v17, v73
	v_pk_add_f32 v[6:7], v[12:13], v[6:7]
	s_wait_dscnt 0x2
	s_delay_alu instid0(VALU_DEP_2) | instskip(NEXT) | instid1(VALU_DEP_2)
	v_dual_mov_b32 v12, v10 :: v_dual_mul_f32 v13, v5, v66
	v_pk_add_f32 v[6:7], v[8:9], v[6:7]
	s_delay_alu instid0(VALU_DEP_1)
	v_pk_add_f32 v[60:61], v[12:13], v[6:7]
.LBB109_27:                             ;   in Loop: Header=BB109_5 Depth=1
	s_and_b32 vcc_lo, exec_lo, s20
	s_cbranch_vccz .LBB109_4
; %bb.28:                               ;   in Loop: Header=BB109_5 Depth=1
	s_load_b32 s20, s[22:23], 0x0
	v_dual_mov_b32 v60, 0 :: v_dual_mov_b32 v61, 0
	s_wait_kmcnt 0x0
	s_cmp_lt_u32 s16, s20
	s_cselect_b32 s20, 12, 18
	s_delay_alu instid0(SALU_CYCLE_1)
	s_add_nc_u64 s[34:35], s[22:23], s[20:21]
	s_load_u16 s20, s[34:35], 0x0
	s_wait_dscnt 0x1
	s_wait_kmcnt 0x0
	v_mad_u32_u24 v3, v1, s20, v62
	s_mov_b32 s20, exec_lo
	s_wait_dscnt 0x0
	s_delay_alu instid0(VALU_DEP_1) | instskip(NEXT) | instid1(VALU_DEP_1)
	v_and_b32_e32 v4, 31, v3
	v_cmpx_gt_u32_e32 8, v4
	s_cbranch_execz .LBB109_32
; %bb.29:                               ;   in Loop: Header=BB109_5 Depth=1
	v_dual_mov_b32 v5, v2 :: v_dual_mov_b32 v60, 0
	v_mov_b32_e32 v61, 0
	s_mov_b32 s34, exec_lo
	s_delay_alu instid0(VALU_DEP_2) | instskip(NEXT) | instid1(VALU_DEP_1)
	v_add_nc_u64_e32 v[4:5], v[58:59], v[4:5]
	v_cmpx_gt_i64_e64 s[4:5], v[4:5]
	s_cbranch_execz .LBB109_31
; %bb.30:                               ;   in Loop: Header=BB109_5 Depth=1
	v_lshlrev_b64_e32 v[4:5], 2, v[4:5]
	s_delay_alu instid0(VALU_DEP_1)
	v_add_nc_u64_e32 v[6:7], s[12:13], v[4:5]
	v_add_nc_u64_e32 v[4:5], s[14:15], v[4:5]
	global_load_b32 v60, v[6:7], off
	global_load_b32 v61, v[4:5], off
.LBB109_31:                             ;   in Loop: Header=BB109_5 Depth=1
	s_wait_xcnt 0x0
	s_or_b32 exec_lo, exec_lo, s34
.LBB109_32:                             ;   in Loop: Header=BB109_5 Depth=1
	s_delay_alu instid0(SALU_CYCLE_1) | instskip(SKIP_4) | instid1(VALU_DEP_3)
	s_or_b32 exec_lo, exec_lo, s20
	v_dual_mov_b32 v7, v2 :: v_dual_mov_b32 v8, v2
	v_dual_mov_b32 v9, v2 :: v_dual_mov_b32 v3, v2
	v_dual_mov_b32 v4, v2 :: v_dual_mov_b32 v5, v2
	v_mov_b32_e32 v6, v2
	v_mov_b64_e32 v[18:19], v[8:9]
	s_delay_alu instid0(VALU_DEP_4) | instskip(NEXT) | instid1(VALU_DEP_4)
	v_mov_b64_e32 v[12:13], v[2:3]
	v_mov_b64_e32 v[14:15], v[4:5]
	s_delay_alu instid0(VALU_DEP_4)
	v_mov_b64_e32 v[16:17], v[6:7]
	v_mov_b64_e32 v[10:11], v[8:9]
	;; [unrolled: 1-line block ×5, first 2 shown]
	s_and_saveexec_b32 s20, s2
	s_cbranch_execnz .LBB109_40
; %bb.33:                               ;   in Loop: Header=BB109_5 Depth=1
	s_or_b32 exec_lo, exec_lo, s20
	s_and_saveexec_b32 s20, s2
	s_cbranch_execnz .LBB109_41
.LBB109_34:                             ;   in Loop: Header=BB109_5 Depth=1
	s_or_b32 exec_lo, exec_lo, s20
	s_and_saveexec_b32 s20, s2
	s_cbranch_execnz .LBB109_42
.LBB109_35:                             ;   in Loop: Header=BB109_5 Depth=1
	s_or_b32 exec_lo, exec_lo, s20
	s_and_saveexec_b32 s20, s2
	s_cbranch_execnz .LBB109_43
.LBB109_36:                             ;   in Loop: Header=BB109_5 Depth=1
	s_or_b32 exec_lo, exec_lo, s20
	s_and_saveexec_b32 s20, s2
	s_cbranch_execnz .LBB109_44
.LBB109_37:                             ;   in Loop: Header=BB109_5 Depth=1
	s_or_b32 exec_lo, exec_lo, s20
	s_and_saveexec_b32 s20, s2
	s_cbranch_execnz .LBB109_45
.LBB109_38:                             ;   in Loop: Header=BB109_5 Depth=1
	s_or_b32 exec_lo, exec_lo, s20
	s_and_saveexec_b32 s20, s2
	s_cbranch_execnz .LBB109_46
.LBB109_39:                             ;   in Loop: Header=BB109_5 Depth=1
	s_or_b32 exec_lo, exec_lo, s20
	s_and_saveexec_b32 s20, s2
	s_cbranch_execz .LBB109_3
	s_branch .LBB109_47
.LBB109_40:                             ;   in Loop: Header=BB109_5 Depth=1
	v_add_nc_u64_e32 v[4:5], v[26:27], v[24:25]
	v_add_nc_u64_e32 v[6:7], v[28:29], v[24:25]
	v_dual_mov_b32 v9, v2 :: v_dual_mov_b32 v10, v2
	v_dual_mov_b32 v11, v2 :: v_dual_mov_b32 v13, v2
	;; [unrolled: 1-line block ×3, first 2 shown]
	global_load_u16 v3, v[4:5], off
	global_load_u16 v12, v[6:7], off
	s_wait_xcnt 0x0
	v_dual_mov_b32 v5, v2 :: v_dual_mov_b32 v6, v2
	v_dual_mov_b32 v7, v2 :: v_dual_mov_b32 v8, v2
	;; [unrolled: 1-line block ×4, first 2 shown]
	s_wait_loadcnt 0x0
	v_dual_lshlrev_b32 v4, 16, v3 :: v_dual_lshlrev_b32 v12, 16, v12
	s_or_b32 exec_lo, exec_lo, s20
	s_and_saveexec_b32 s20, s2
	s_cbranch_execz .LBB109_34
.LBB109_41:                             ;   in Loop: Header=BB109_5 Depth=1
	v_add_nc_u64_e32 v[58:59], v[54:55], v[24:25]
	v_add_nc_u64_e32 v[64:65], v[56:57], v[24:25]
	global_load_u16 v3, v[58:59], off
	global_load_u16 v13, v[64:65], off
	s_wait_loadcnt 0x0
	v_dual_lshlrev_b32 v5, 16, v3 :: v_dual_lshlrev_b32 v13, 16, v13
	s_or_b32 exec_lo, exec_lo, s20
	s_and_saveexec_b32 s20, s2
	s_cbranch_execz .LBB109_35
.LBB109_42:                             ;   in Loop: Header=BB109_5 Depth=1
	v_add_nc_u64_e32 v[58:59], v[50:51], v[24:25]
	v_add_nc_u64_e32 v[64:65], v[52:53], v[24:25]
	global_load_u16 v3, v[58:59], off
	global_load_u16 v14, v[64:65], off
	s_wait_loadcnt 0x0
	v_dual_lshlrev_b32 v6, 16, v3 :: v_dual_lshlrev_b32 v14, 16, v14
	s_or_b32 exec_lo, exec_lo, s20
	s_and_saveexec_b32 s20, s2
	s_cbranch_execz .LBB109_36
.LBB109_43:                             ;   in Loop: Header=BB109_5 Depth=1
	v_add_nc_u64_e32 v[58:59], v[46:47], v[24:25]
	v_add_nc_u64_e32 v[64:65], v[48:49], v[24:25]
	global_load_u16 v3, v[58:59], off
	global_load_u16 v15, v[64:65], off
	s_wait_loadcnt 0x1
	v_lshlrev_b32_e32 v7, 16, v3
	s_wait_loadcnt 0x0
	v_lshlrev_b32_e32 v15, 16, v15
	s_or_b32 exec_lo, exec_lo, s20
	s_and_saveexec_b32 s20, s2
	s_cbranch_execz .LBB109_37
.LBB109_44:                             ;   in Loop: Header=BB109_5 Depth=1
	v_add_nc_u64_e32 v[58:59], v[42:43], v[24:25]
	v_add_nc_u64_e32 v[64:65], v[44:45], v[24:25]
	global_load_u16 v3, v[58:59], off
	global_load_u16 v16, v[64:65], off
	s_wait_loadcnt 0x0
	v_dual_lshlrev_b32 v8, 16, v3 :: v_dual_lshlrev_b32 v16, 16, v16
	s_or_b32 exec_lo, exec_lo, s20
	s_and_saveexec_b32 s20, s2
	s_cbranch_execz .LBB109_38
.LBB109_45:                             ;   in Loop: Header=BB109_5 Depth=1
	v_add_nc_u64_e32 v[58:59], v[38:39], v[24:25]
	v_add_nc_u64_e32 v[64:65], v[40:41], v[24:25]
	global_load_u16 v3, v[58:59], off
	global_load_u16 v17, v[64:65], off
	s_wait_loadcnt 0x0
	v_dual_lshlrev_b32 v9, 16, v3 :: v_dual_lshlrev_b32 v17, 16, v17
	s_or_b32 exec_lo, exec_lo, s20
	s_and_saveexec_b32 s20, s2
	s_cbranch_execz .LBB109_39
.LBB109_46:                             ;   in Loop: Header=BB109_5 Depth=1
	v_add_nc_u64_e32 v[58:59], v[34:35], v[24:25]
	v_add_nc_u64_e32 v[64:65], v[36:37], v[24:25]
	global_load_u16 v3, v[58:59], off
	global_load_u16 v18, v[64:65], off
	s_wait_loadcnt 0x0
	v_dual_lshlrev_b32 v10, 16, v3 :: v_dual_lshlrev_b32 v18, 16, v18
	s_or_b32 exec_lo, exec_lo, s20
	s_and_saveexec_b32 s20, s2
	s_cbranch_execz .LBB109_3
.LBB109_47:                             ;   in Loop: Header=BB109_5 Depth=1
	v_add_nc_u64_e32 v[58:59], v[30:31], v[24:25]
	v_add_nc_u64_e32 v[64:65], v[32:33], v[24:25]
	global_load_u16 v3, v[58:59], off
	global_load_u16 v19, v[64:65], off
	s_wait_loadcnt 0x1
	v_lshlrev_b32_e32 v11, 16, v3
	s_wait_loadcnt 0x0
	v_lshlrev_b32_e32 v19, 16, v19
	s_branch .LBB109_3
.LBB109_48:
                                        ; implicit-def: $vgpr23
	s_branch .LBB109_50
.LBB109_49:
	s_cbranch_execnz .LBB109_81
.LBB109_50:
	v_mov_b32_e32 v23, 0
	s_and_not1_b32 vcc_lo, exec_lo, s17
	s_delay_alu instid0(VALU_DEP_1)
	v_mov_b32_e32 v22, v23
	s_cbranch_vccnz .LBB109_81
; %bb.51:
	v_bfe_u32 v1, v0, 10, 10
	v_mov_b32_e32 v2, 0
	v_and_b32_e32 v90, 0x3ff, v0
	s_load_b32 s2, s[0:1], 0x44
	s_add_nc_u64 s[20:21], s[0:1], 64
	s_delay_alu instid0(VALU_DEP_2) | instskip(SKIP_1) | instid1(VALU_DEP_2)
	v_dual_mov_b32 v5, v2 :: v_dual_lshlrev_b32 v4, 4, v1
	v_dual_mov_b32 v21, v2 :: v_dual_lshlrev_b32 v20, 3, v1
	v_lshl_add_u64 v[4:5], s[18:19], 1, v[4:5]
	s_delay_alu instid0(VALU_DEP_2) | instskip(NEXT) | instid1(VALU_DEP_2)
	v_add_nc_u64_e32 v[8:9], s[18:19], v[20:21]
	v_add_nc_u64_e32 v[6:7], 2, v[4:5]
	;; [unrolled: 1-line block ×6, first 2 shown]
	v_mul_u64_e32 v[22:23], s[6:7], v[8:9]
	v_add_nc_u64_e32 v[48:49], 4, v[8:9]
	v_mad_nc_u64_u32 v[24:25], s6, v6, s[8:9]
	v_mul_lo_u32 v3, s6, v7
	v_mul_lo_u32 v44, s7, v6
	v_mad_nc_u64_u32 v[34:35], s6, v6, s[10:11]
	v_add_nc_u64_e32 v[6:7], 7, v[8:9]
	v_mad_nc_u64_u32 v[26:27], s6, v10, s[8:9]
	v_mul_lo_u32 v50, s6, v11
	v_mul_lo_u32 v51, s7, v10
	v_mad_nc_u64_u32 v[28:29], s6, v12, s[8:9]
	v_mul_lo_u32 v52, s6, v13
	v_mul_lo_u32 v53, s7, v12
	v_mad_nc_u64_u32 v[36:37], s6, v10, s[10:11]
	v_mad_nc_u64_u32 v[40:41], s6, v12, s[10:11]
	v_add_nc_u64_e32 v[10:11], 6, v[8:9]
	v_mul_u64_e32 v[6:7], s[6:7], v[6:7]
	v_add_nc_u64_e32 v[12:13], 5, v[8:9]
	v_mad_nc_u64_u32 v[30:31], s6, v14, s[8:9]
	v_mul_lo_u32 v54, s6, v15
	v_mul_lo_u32 v55, s7, v14
	v_add3_u32 v25, v44, v25, v3
	v_add3_u32 v35, v44, v35, v3
	v_mul_u64_e32 v[10:11], s[6:7], v[10:11]
	v_mad_nc_u64_u32 v[44:45], s6, v14, s[10:11]
	v_add_nc_u64_e32 v[14:15], 3, v[8:9]
	v_add_nc_u64_e32 v[8:9], 2, v[8:9]
	v_mul_u64_e32 v[12:13], s[6:7], v[12:13]
	v_mad_nc_u64_u32 v[32:33], s6, v16, s[8:9]
	v_mul_lo_u32 v56, s6, v17
	v_mul_lo_u32 v57, s7, v16
	v_mad_nc_u64_u32 v[46:47], s6, v16, s[10:11]
	v_mul_u64_e32 v[16:17], s[6:7], v[48:49]
	v_mul_u64_e32 v[14:15], s[6:7], v[14:15]
	;; [unrolled: 1-line block ×3, first 2 shown]
	v_add_nc_u64_e32 v[18:19], 12, v[4:5]
	v_add_nc_u64_e32 v[4:5], 14, v[4:5]
	v_add3_u32 v27, v51, v27, v50
	v_add3_u32 v37, v51, v37, v50
	;; [unrolled: 1-line block ×5, first 2 shown]
	v_mad_nc_u64_u32 v[38:39], s6, v18, s[8:9]
	v_mul_lo_u32 v19, s6, v19
	v_mul_lo_u32 v58, s7, v18
	v_mad_nc_u64_u32 v[42:43], s6, v4, s[8:9]
	v_mad_nc_u64_u32 v[48:49], s6, v18, s[10:11]
	v_mul_lo_u32 v3, s6, v5
	v_mul_lo_u32 v18, s7, v4
	v_mad_nc_u64_u32 v[50:51], s6, v4, s[10:11]
	v_lshlrev_b64_e32 v[6:7], 1, v[6:7]
	v_dual_mov_b32 v5, v2 :: v_dual_add_nc_u32 v4, s3, v90
	s_mov_b32 s3, 0
	v_add3_u32 v33, v57, v33, v56
	v_add3_u32 v39, v58, v39, v19
	;; [unrolled: 1-line block ×4, first 2 shown]
	v_add_nc_u64_e32 v[58:59], s[8:9], v[6:7]
	v_add3_u32 v43, v18, v43, v3
	v_add3_u32 v51, v18, v51, v3
	v_lshlrev_b64_e32 v[18:19], 1, v[22:23]
	v_add_nc_u64_e32 v[60:61], s[10:11], v[6:7]
	v_lshlrev_b64_e32 v[6:7], 1, v[12:13]
	v_add_nc_u64_e32 v[12:13], s[6:7], v[22:23]
	v_mov_b32_e32 v22, 0
	v_lshlrev_b64_e32 v[52:53], 1, v[4:5]
	v_lshlrev_b64_e32 v[4:5], 1, v[10:11]
	;; [unrolled: 1-line block ×4, first 2 shown]
	v_add_nc_u64_e32 v[66:67], s[8:9], v[6:7]
	v_add_nc_u64_e32 v[68:69], s[10:11], v[6:7]
	v_lshlrev_b64_e32 v[6:7], 1, v[12:13]
	v_add3_u32 v47, v57, v47, v56
	v_add_nc_u64_e32 v[62:63], s[8:9], v[4:5]
	v_add_nc_u64_e32 v[64:65], s[10:11], v[4:5]
	v_lshlrev_b64_e32 v[4:5], 1, v[14:15]
	v_add_nc_u64_e32 v[54:55], s[8:9], v[18:19]
	v_add_nc_u64_e32 v[56:57], s[10:11], v[18:19]
	;; [unrolled: 1-line block ×10, first 2 shown]
	s_wait_kmcnt 0x0
	s_lshl_b32 s22, s2, 3
	s_mov_b32 s23, s3
	v_mov_b32_e32 v23, v2
	s_mul_u64 s[24:25], s[6:7], s[22:23]
	s_mov_b64 s[10:11], 7
	s_lshl_b64 s[8:9], s[24:25], 1
	s_mov_b64 s[24:25], s[18:19]
	s_branch .LBB109_55
.LBB109_52:                             ;   in Loop: Header=BB109_55 Depth=1
	s_wait_xcnt 0x0
	s_or_b32 exec_lo, exec_lo, s17
.LBB109_53:                             ;   in Loop: Header=BB109_55 Depth=1
	s_delay_alu instid0(SALU_CYCLE_1)
	s_or_b32 exec_lo, exec_lo, s2
	v_add_nc_u64_e32 v[4:5], v[54:55], v[52:53]
	v_add_nc_u64_e32 v[8:9], v[56:57], v[52:53]
	;; [unrolled: 1-line block ×5, first 2 shown]
	s_wait_loadcnt 0x1
	ds_bpermute_b32 v98, v2, v3 offset:12
	s_wait_loadcnt 0x0
	ds_bpermute_b32 v96, v2, v6 offset:8
	global_load_u16 v7, v[4:5], off
	global_load_u16 v16, v[8:9], off
	;; [unrolled: 1-line block ×3, first 2 shown]
	s_wait_xcnt 0x2
	v_add_nc_u64_e32 v[4:5], v[36:37], v[52:53]
	s_wait_xcnt 0x1
	v_add_nc_u64_e32 v[8:9], v[28:29], v[52:53]
	global_load_u16 v18, v[12:13], off
	global_load_u16 v19, v[14:15], off
	s_wait_xcnt 0x2
	v_add_nc_u64_e32 v[10:11], v[40:41], v[52:53]
	s_wait_xcnt 0x1
	v_add_nc_u64_e32 v[12:13], v[30:31], v[52:53]
	s_wait_xcnt 0x0
	v_add_nc_u64_e32 v[14:15], v[44:45], v[52:53]
	global_load_u16 v22, v[4:5], off
	global_load_u16 v23, v[8:9], off
	;; [unrolled: 1-line block ×3, first 2 shown]
	s_wait_xcnt 0x2
	v_add_nc_u64_e32 v[4:5], v[32:33], v[52:53]
	global_load_u16 v89, v[12:13], off
	global_load_u16 v91, v[14:15], off
	s_wait_xcnt 0x3
	v_add_nc_u64_e32 v[8:9], v[46:47], v[52:53]
	s_wait_xcnt 0x2
	v_add_nc_u64_e32 v[10:11], v[42:43], v[52:53]
	s_wait_xcnt 0x1
	ds_bpermute_b32 v12, v2, v3 offset:4
	s_wait_xcnt 0x0
	ds_bpermute_b32 v14, v2, v3 offset:8
	global_load_u16 v13, v[4:5], off
	s_wait_xcnt 0x0
	v_add_nc_u64_e32 v[4:5], v[48:49], v[52:53]
	ds_bpermute_b32 v97, v2, v6 offset:12
	global_load_u16 v15, v[8:9], off
	s_wait_xcnt 0x0
	v_add_nc_u64_e32 v[8:9], v[38:39], v[52:53]
	ds_bpermute_b32 v99, v2, v6 offset:16
	ds_bpermute_b32 v100, v2, v3 offset:16
	ds_bpermute_b32 v101, v2, v6 offset:20
	global_load_u16 v92, v[4:5], off
	s_wait_xcnt 0x0
	v_add_nc_u64_e32 v[4:5], v[50:51], v[52:53]
	global_load_u16 v93, v[8:9], off
	global_load_u16 v94, v[4:5], off
	;; [unrolled: 1-line block ×3, first 2 shown]
	s_wait_xcnt 0x2
	ds_bpermute_b32 v9, v2, v3
	s_wait_xcnt 0x1
	ds_bpermute_b32 v5, v2, v6
	s_wait_xcnt 0x0
	ds_bpermute_b32 v11, v2, v6 offset:4
	ds_bpermute_b32 v103, v2, v6 offset:24
	;; [unrolled: 1-line block ×6, first 2 shown]
	s_wait_loadcnt 0xe
	v_dual_lshlrev_b32 v4, 16, v7 :: v_dual_lshlrev_b32 v10, 16, v16
	s_wait_loadcnt 0xc
	v_dual_lshlrev_b32 v6, 16, v17 :: v_dual_lshlrev_b32 v7, 16, v18
	s_wait_loadcnt_dscnt 0xb07
	s_delay_alu instid0(VALU_DEP_2) | instskip(SKIP_3) | instid1(VALU_DEP_3)
	v_dual_sub_f32 v9, v10, v9 :: v_dual_lshlrev_b32 v8, 16, v19
	s_wait_loadcnt 0x9
	v_dual_lshlrev_b32 v16, 16, v22 :: v_dual_lshlrev_b32 v10, 16, v23
	v_sub_f32_e32 v7, v7, v12
	v_mul_f32_e32 v9, v9, v4
	s_wait_loadcnt 0x7
	v_dual_lshlrev_b32 v17, 16, v88 :: v_dual_lshlrev_b32 v12, 16, v89
	s_wait_loadcnt 0x6
	v_dual_lshlrev_b32 v18, 16, v91 :: v_dual_sub_f32 v16, v16, v14
	s_wait_dscnt 0x6
	v_dual_mul_f32 v7, v7, v6 :: v_dual_mul_f32 v5, v9, v5
	s_wait_loadcnt 0x5
	v_dual_sub_f32 v9, v17, v98 :: v_dual_lshlrev_b32 v14, 16, v13
	s_wait_dscnt 0x5
	s_delay_alu instid0(VALU_DEP_2)
	v_dual_mul_f32 v13, v16, v8 :: v_dual_mul_f32 v7, v7, v11
	v_pk_add_f32 v[4:5], v[86:87], v[4:5]
	s_wait_loadcnt 0x4
	v_dual_lshlrev_b32 v11, 16, v15 :: v_dual_sub_f32 v15, v18, v100
	v_mul_f32_e32 v16, v9, v10
	v_mul_f32_e32 v9, v13, v96
	v_pk_add_f32 v[4:5], v[4:5], v[6:7]
	s_wait_loadcnt_dscnt 0x302
	v_dual_lshlrev_b32 v7, 16, v92 :: v_dual_sub_f32 v13, v11, v102
	v_dual_mul_f32 v15, v15, v12 :: v_dual_mul_f32 v11, v16, v97
	s_delay_alu instid0(VALU_DEP_3) | instskip(SKIP_1) | instid1(VALU_DEP_3)
	v_pk_add_f32 v[4:5], v[4:5], v[8:9]
	s_wait_loadcnt_dscnt 0x201
	v_dual_sub_f32 v7, v7, v104 :: v_dual_lshlrev_b32 v6, 16, v93
	s_delay_alu instid0(VALU_DEP_3) | instskip(NEXT) | instid1(VALU_DEP_3)
	v_dual_mul_f32 v9, v13, v14 :: v_dual_mul_f32 v13, v15, v99
	v_pk_add_f32 v[4:5], v[4:5], v[10:11]
	s_wait_loadcnt 0x0
	v_dual_lshlrev_b32 v10, 16, v94 :: v_dual_lshlrev_b32 v8, 16, v95
	s_delay_alu instid0(VALU_DEP_3) | instskip(NEXT) | instid1(VALU_DEP_3)
	v_dual_mul_f32 v7, v7, v6 :: v_dual_mul_f32 v15, v9, v101
	v_pk_add_f32 v[4:5], v[4:5], v[12:13]
	s_wait_dscnt 0x0
	s_delay_alu instid0(VALU_DEP_3) | instskip(NEXT) | instid1(VALU_DEP_3)
	v_sub_f32_e32 v3, v10, v3
	v_mul_f32_e32 v7, v7, v103
	s_delay_alu instid0(VALU_DEP_3) | instskip(NEXT) | instid1(VALU_DEP_3)
	v_pk_add_f32 v[4:5], v[4:5], v[14:15]
	v_mul_f32_e32 v3, v3, v8
	s_delay_alu instid0(VALU_DEP_2) | instskip(NEXT) | instid1(VALU_DEP_2)
	v_pk_add_f32 v[4:5], v[4:5], v[6:7]
	v_mul_f32_e32 v9, v3, v105
	s_delay_alu instid0(VALU_DEP_1)
	v_pk_add_f32 v[22:23], v[4:5], v[8:9]
.LBB109_54:                             ;   in Loop: Header=BB109_55 Depth=1
	s_add_nc_u64 s[24:25], s[24:25], s[22:23]
	v_add_nc_u64_e32 v[54:55], s[8:9], v[54:55]
	v_cmp_ge_i64_e64 s2, s[24:25], s[4:5]
	v_add_nc_u64_e32 v[56:57], s[8:9], v[56:57]
	v_add_nc_u64_e32 v[20:21], s[22:23], v[20:21]
	;; [unrolled: 1-line block ×30, first 2 shown]
	s_and_b32 vcc_lo, exec_lo, s2
	s_add_nc_u64 s[10:11], s[10:11], s[22:23]
	s_cbranch_vccnz .LBB109_81
.LBB109_55:                             ; =>This Inner Loop Header: Depth=1
	s_add_nc_u64 s[26:27], s[18:19], s[10:11]
	v_add_nc_u64_e32 v[88:89], s[18:19], v[20:21]
	v_cmp_ge_i64_e64 s2, s[26:27], s[4:5]
	v_dual_mov_b32 v86, v22 :: v_dual_mov_b32 v87, v23
                                        ; implicit-def: $vgpr23
	s_and_b32 vcc_lo, exec_lo, s2
	s_mov_b32 s2, -1
	s_cbranch_vccz .LBB109_77
; %bb.56:                               ;   in Loop: Header=BB109_55 Depth=1
	s_load_b32 s2, s[20:21], 0xc
	v_dual_mov_b32 v23, 0 :: v_dual_mov_b32 v22, 0
	s_wait_kmcnt 0x0
	s_and_b32 s2, s2, 0xffff
	s_delay_alu instid0(SALU_CYCLE_1) | instskip(SKIP_1) | instid1(VALU_DEP_1)
	v_mad_u32_u24 v3, v1, s2, v90
	s_mov_b32 s2, exec_lo
	v_and_b32_e32 v4, 31, v3
	s_delay_alu instid0(VALU_DEP_1)
	v_cmpx_gt_u32_e32 8, v4
	s_cbranch_execz .LBB109_60
; %bb.57:                               ;   in Loop: Header=BB109_55 Depth=1
	v_dual_mov_b32 v5, v2 :: v_dual_mov_b32 v23, 0
	v_mov_b32_e32 v22, 0
	s_mov_b32 s17, exec_lo
	s_delay_alu instid0(VALU_DEP_2) | instskip(NEXT) | instid1(VALU_DEP_1)
	v_add_nc_u64_e32 v[4:5], v[88:89], v[4:5]
	v_cmpx_gt_i64_e64 s[4:5], v[4:5]
	s_cbranch_execz .LBB109_59
; %bb.58:                               ;   in Loop: Header=BB109_55 Depth=1
	v_lshlrev_b64_e32 v[4:5], 2, v[4:5]
	s_delay_alu instid0(VALU_DEP_1)
	v_add_nc_u64_e32 v[6:7], s[12:13], v[4:5]
	v_add_nc_u64_e32 v[4:5], s[14:15], v[4:5]
	global_load_b32 v23, v[6:7], off
	global_load_b32 v22, v[4:5], off
.LBB109_59:                             ;   in Loop: Header=BB109_55 Depth=1
	s_wait_xcnt 0x0
	s_or_b32 exec_lo, exec_lo, s17
.LBB109_60:                             ;   in Loop: Header=BB109_55 Depth=1
	s_delay_alu instid0(SALU_CYCLE_1) | instskip(SKIP_4) | instid1(VALU_DEP_3)
	s_or_b32 exec_lo, exec_lo, s2
	v_dual_mov_b32 v7, v2 :: v_dual_mov_b32 v8, v2
	v_dual_mov_b32 v9, v2 :: v_dual_mov_b32 v3, v2
	;; [unrolled: 1-line block ×3, first 2 shown]
	v_mov_b32_e32 v6, v2
	v_mov_b64_e32 v[18:19], v[8:9]
	s_delay_alu instid0(VALU_DEP_4)
	v_mov_b64_e32 v[12:13], v[2:3]
	s_mov_b32 s2, exec_lo
	v_mov_b64_e32 v[14:15], v[4:5]
	v_mov_b64_e32 v[16:17], v[6:7]
	;; [unrolled: 1-line block ×6, first 2 shown]
	v_cmpx_gt_i64_e64 s[4:5], v[88:89]
	s_cbranch_execz .LBB109_62
; %bb.61:                               ;   in Loop: Header=BB109_55 Depth=1
	v_add_nc_u64_e32 v[4:5], v[54:55], v[52:53]
	v_add_nc_u64_e32 v[6:7], v[56:57], v[52:53]
	v_dual_mov_b32 v9, v2 :: v_dual_mov_b32 v10, v2
	v_dual_mov_b32 v11, v2 :: v_dual_mov_b32 v13, v2
	;; [unrolled: 1-line block ×3, first 2 shown]
	global_load_u16 v3, v[4:5], off
	global_load_u16 v12, v[6:7], off
	s_wait_xcnt 0x0
	v_dual_mov_b32 v5, v2 :: v_dual_mov_b32 v6, v2
	v_dual_mov_b32 v7, v2 :: v_dual_mov_b32 v8, v2
	;; [unrolled: 1-line block ×4, first 2 shown]
	s_wait_loadcnt 0x0
	v_dual_lshlrev_b32 v4, 16, v3 :: v_dual_lshlrev_b32 v12, 16, v12
.LBB109_62:                             ;   in Loop: Header=BB109_55 Depth=1
	s_or_b32 exec_lo, exec_lo, s2
	v_add_nc_u64_e32 v[92:93], 1, v[88:89]
	s_mov_b32 s2, exec_lo
	s_delay_alu instid0(VALU_DEP_1)
	v_cmpx_gt_i64_e64 s[4:5], v[92:93]
	s_cbranch_execz .LBB109_64
; %bb.63:                               ;   in Loop: Header=BB109_55 Depth=1
	v_add_nc_u64_e32 v[92:93], v[82:83], v[52:53]
	v_add_nc_u64_e32 v[94:95], v[84:85], v[52:53]
	global_load_u16 v3, v[92:93], off
	global_load_u16 v13, v[94:95], off
	s_wait_loadcnt 0x0
	v_dual_lshlrev_b32 v5, 16, v3 :: v_dual_lshlrev_b32 v13, 16, v13
.LBB109_64:                             ;   in Loop: Header=BB109_55 Depth=1
	s_or_b32 exec_lo, exec_lo, s2
	v_add_nc_u64_e32 v[92:93], 2, v[88:89]
	s_mov_b32 s2, exec_lo
	s_delay_alu instid0(VALU_DEP_1)
	v_cmpx_gt_i64_e64 s[4:5], v[92:93]
	s_cbranch_execz .LBB109_66
; %bb.65:                               ;   in Loop: Header=BB109_55 Depth=1
	v_add_nc_u64_e32 v[92:93], v[78:79], v[52:53]
	v_add_nc_u64_e32 v[94:95], v[80:81], v[52:53]
	global_load_u16 v3, v[92:93], off
	global_load_u16 v14, v[94:95], off
	s_wait_loadcnt 0x0
	v_dual_lshlrev_b32 v6, 16, v3 :: v_dual_lshlrev_b32 v14, 16, v14
.LBB109_66:                             ;   in Loop: Header=BB109_55 Depth=1
	s_or_b32 exec_lo, exec_lo, s2
	v_add_nc_u64_e32 v[92:93], 3, v[88:89]
	s_mov_b32 s2, exec_lo
	s_delay_alu instid0(VALU_DEP_1)
	v_cmpx_gt_i64_e64 s[4:5], v[92:93]
	s_cbranch_execz .LBB109_68
; %bb.67:                               ;   in Loop: Header=BB109_55 Depth=1
	v_add_nc_u64_e32 v[92:93], v[74:75], v[52:53]
	v_add_nc_u64_e32 v[94:95], v[76:77], v[52:53]
	global_load_u16 v3, v[92:93], off
	global_load_u16 v15, v[94:95], off
	s_wait_loadcnt 0x1
	v_lshlrev_b32_e32 v7, 16, v3
	s_wait_loadcnt 0x0
	v_lshlrev_b32_e32 v15, 16, v15
.LBB109_68:                             ;   in Loop: Header=BB109_55 Depth=1
	s_or_b32 exec_lo, exec_lo, s2
	v_add_nc_u64_e32 v[92:93], 4, v[88:89]
	s_mov_b32 s2, exec_lo
	s_delay_alu instid0(VALU_DEP_1)
	v_cmpx_gt_i64_e64 s[4:5], v[92:93]
	s_cbranch_execz .LBB109_70
; %bb.69:                               ;   in Loop: Header=BB109_55 Depth=1
	v_add_nc_u64_e32 v[92:93], v[70:71], v[52:53]
	v_add_nc_u64_e32 v[94:95], v[72:73], v[52:53]
	global_load_u16 v3, v[92:93], off
	global_load_u16 v16, v[94:95], off
	s_wait_loadcnt 0x0
	v_dual_lshlrev_b32 v8, 16, v3 :: v_dual_lshlrev_b32 v16, 16, v16
.LBB109_70:                             ;   in Loop: Header=BB109_55 Depth=1
	s_or_b32 exec_lo, exec_lo, s2
	v_add_nc_u64_e32 v[92:93], 5, v[88:89]
	s_mov_b32 s2, exec_lo
	s_delay_alu instid0(VALU_DEP_1)
	v_cmpx_gt_i64_e64 s[4:5], v[92:93]
	s_cbranch_execz .LBB109_72
; %bb.71:                               ;   in Loop: Header=BB109_55 Depth=1
	v_add_nc_u64_e32 v[92:93], v[66:67], v[52:53]
	v_add_nc_u64_e32 v[94:95], v[68:69], v[52:53]
	global_load_u16 v3, v[92:93], off
	global_load_u16 v17, v[94:95], off
	s_wait_loadcnt 0x0
	v_dual_lshlrev_b32 v9, 16, v3 :: v_dual_lshlrev_b32 v17, 16, v17
.LBB109_72:                             ;   in Loop: Header=BB109_55 Depth=1
	;; [unrolled: 14-line block ×3, first 2 shown]
	s_or_b32 exec_lo, exec_lo, s2
	v_add_nc_u64_e32 v[92:93], 7, v[88:89]
	s_mov_b32 s2, exec_lo
	s_delay_alu instid0(VALU_DEP_1)
	v_cmpx_gt_i64_e64 s[4:5], v[92:93]
	s_cbranch_execz .LBB109_76
; %bb.75:                               ;   in Loop: Header=BB109_55 Depth=1
	v_add_nc_u64_e32 v[92:93], v[58:59], v[52:53]
	v_add_nc_u64_e32 v[94:95], v[60:61], v[52:53]
	global_load_u16 v3, v[92:93], off
	global_load_u16 v19, v[94:95], off
	s_wait_loadcnt 0x1
	v_lshlrev_b32_e32 v11, 16, v3
	s_wait_loadcnt 0x0
	v_lshlrev_b32_e32 v19, 16, v19
.LBB109_76:                             ;   in Loop: Header=BB109_55 Depth=1
	s_or_b32 exec_lo, exec_lo, s2
	s_wait_loadcnt 0x1
	ds_bpermute_b32 v3, v2, v23
	ds_bpermute_b32 v91, v2, v23 offset:4
	ds_bpermute_b32 v93, v2, v23 offset:8
	s_wait_loadcnt 0x0
	ds_bpermute_b32 v94, v2, v22
	ds_bpermute_b32 v95, v2, v23 offset:12
	ds_bpermute_b32 v96, v2, v22 offset:4
	;; [unrolled: 1-line block ×10, first 2 shown]
	s_mov_b32 s2, 0
	s_wait_dscnt 0xd
	v_dual_mov_b32 v92, v6 :: v_dual_sub_f32 v3, v12, v3
	s_wait_dscnt 0xc
	v_dual_mov_b32 v12, v4 :: v_dual_sub_f32 v13, v13, v91
	s_wait_dscnt 0x9
	v_sub_f32_e32 v15, v15, v95
	v_dual_mul_f32 v3, v4, v3 :: v_dual_mov_b32 v4, v5
	v_sub_f32_e32 v14, v14, v93
	s_wait_dscnt 0x6
	v_dual_mul_f32 v5, v5, v13 :: v_dual_sub_f32 v16, v16, v100
	s_delay_alu instid0(VALU_DEP_3) | instskip(SKIP_4) | instid1(VALU_DEP_3)
	v_mul_f32_e32 v13, v3, v94
	ds_bpermute_b32 v3, v2, v23 offset:28
	v_dual_mul_f32 v14, v6, v14 :: v_dual_mul_f32 v5, v5, v96
	v_mov_b32_e32 v6, v7
	v_pk_add_f32 v[12:13], v[86:87], v[12:13]
	v_dual_mul_f32 v7, v7, v15 :: v_dual_mul_f32 v93, v14, v97
	ds_bpermute_b32 v14, v2, v22 offset:28
	v_mul_f32_e32 v15, v8, v16
	v_pk_add_f32 v[4:5], v[4:5], v[12:13]
	s_wait_dscnt 0x6
	v_sub_f32_e32 v13, v17, v102
	v_dual_mul_f32 v7, v7, v98 :: v_dual_mov_b32 v12, v8
	s_wait_dscnt 0x4
	v_sub_f32_e32 v8, v18, v104
	v_pk_add_f32 v[4:5], v[92:93], v[4:5]
	v_dual_mul_f32 v16, v9, v13 :: v_dual_mul_f32 v13, v15, v99
	s_delay_alu instid0(VALU_DEP_2) | instskip(SKIP_2) | instid1(VALU_DEP_3)
	v_pk_add_f32 v[4:5], v[6:7], v[4:5]
	s_wait_dscnt 0x1
	v_dual_mov_b32 v6, v9 :: v_dual_sub_f32 v3, v19, v3
	v_dual_mul_f32 v9, v10, v8 :: v_dual_mul_f32 v7, v16, v101
	v_mov_b32_e32 v8, v10
	v_pk_add_f32 v[4:5], v[12:13], v[4:5]
	s_delay_alu instid0(VALU_DEP_4) | instskip(NEXT) | instid1(VALU_DEP_2)
	v_mul_f32_e32 v3, v11, v3
	v_pk_add_f32 v[4:5], v[6:7], v[4:5]
	v_dual_mov_b32 v6, v11 :: v_dual_mul_f32 v9, v9, v103
	s_wait_dscnt 0x0
	s_delay_alu instid0(VALU_DEP_3) | instskip(NEXT) | instid1(VALU_DEP_2)
	v_mul_f32_e32 v7, v3, v14
	v_pk_add_f32 v[4:5], v[8:9], v[4:5]
	s_delay_alu instid0(VALU_DEP_1)
	v_pk_add_f32 v[22:23], v[6:7], v[4:5]
.LBB109_77:                             ;   in Loop: Header=BB109_55 Depth=1
	s_and_b32 vcc_lo, exec_lo, s2
	s_cbranch_vccz .LBB109_54
; %bb.78:                               ;   in Loop: Header=BB109_55 Depth=1
	s_load_b32 s2, s[20:21], 0x0
	v_mov_b32_e32 v6, 0
	s_wait_kmcnt 0x0
	s_cmp_lt_u32 s16, s2
	s_cselect_b32 s2, 12, 18
	s_delay_alu instid0(SALU_CYCLE_1) | instskip(SKIP_4) | instid1(VALU_DEP_1)
	s_add_nc_u64 s[26:27], s[20:21], s[2:3]
	s_load_u16 s2, s[26:27], 0x0
	s_wait_kmcnt 0x0
	v_mad_u32_u24 v3, v1, s2, v90
	s_mov_b32 s2, exec_lo
	v_dual_mov_b32 v3, 0 :: v_dual_bitop2_b32 v4, 31, v3 bitop3:0x40
	s_delay_alu instid0(VALU_DEP_1)
	v_cmpx_gt_u32_e32 8, v4
	s_cbranch_execz .LBB109_53
; %bb.79:                               ;   in Loop: Header=BB109_55 Depth=1
	v_dual_mov_b32 v5, v2 :: v_dual_mov_b32 v3, 0
	v_mov_b32_e32 v6, 0
	s_mov_b32 s17, exec_lo
	s_delay_alu instid0(VALU_DEP_2) | instskip(NEXT) | instid1(VALU_DEP_1)
	v_add_nc_u64_e32 v[4:5], v[88:89], v[4:5]
	v_cmpx_gt_i64_e64 s[4:5], v[4:5]
	s_cbranch_execz .LBB109_52
; %bb.80:                               ;   in Loop: Header=BB109_55 Depth=1
	v_lshlrev_b64_e32 v[4:5], 2, v[4:5]
	s_delay_alu instid0(VALU_DEP_1)
	v_add_nc_u64_e32 v[8:9], s[12:13], v[4:5]
	v_add_nc_u64_e32 v[4:5], s[14:15], v[4:5]
	global_load_b32 v3, v[8:9], off
	global_load_b32 v6, v[4:5], off
	s_branch .LBB109_52
.LBB109_81:
	s_mov_b32 s17, 0
	s_delay_alu instid0(SALU_CYCLE_1) | instskip(NEXT) | instid1(SALU_CYCLE_1)
	s_lshl_b64 s[2:3], s[16:17], 5
	v_and_or_b32 v2, 0x3ff, v0, s2
	v_mov_b32_e32 v3, s3
	s_mov_b32 s2, exec_lo
	s_delay_alu instid0(VALU_DEP_1)
	v_cmpx_gt_i64_e64 s[6:7], v[2:3]
	s_cbranch_execz .LBB109_86
; %bb.82:
	s_load_u16 s2, s[0:1], 0x4e
	v_bfe_u32 v0, v0, 10, 10
	v_mov_b32_e32 v1, 0
	s_wait_kmcnt 0x0
	s_delay_alu instid0(VALU_DEP_1) | instskip(SKIP_1) | instid1(VALU_DEP_1)
	v_mad_nc_u64_u32 v[0:1], s2, s33, v[0:1]
	s_load_b128 s[0:3], s[0:1], 0x30
	v_mul_u64_e32 v[0:1], s[6:7], v[0:1]
	s_wait_kmcnt 0x0
	s_cmp_eq_u64 s[0:1], 0
	s_cbranch_scc1 .LBB109_84
; %bb.83:
	v_bfe_u32 v4, v23, 16, 1
	v_cmp_o_f32_e32 vcc_lo, v23, v23
	s_delay_alu instid0(VALU_DEP_2) | instskip(NEXT) | instid1(VALU_DEP_1)
	v_add3_u32 v4, v23, v4, 0x7fff
	v_lshrrev_b32_e32 v6, 16, v4
	v_lshl_add_u64 v[4:5], v[0:1], 1, s[0:1]
	s_delay_alu instid0(VALU_DEP_2) | instskip(NEXT) | instid1(VALU_DEP_2)
	v_cndmask_b32_e32 v6, 0x7fc0, v6, vcc_lo
	v_lshl_add_u64 v[4:5], v[2:3], 1, v[4:5]
	global_store_b16 v[4:5], v6, off
.LBB109_84:
	s_cmp_eq_u64 s[2:3], 0
	s_cbranch_scc1 .LBB109_86
; %bb.85:
	s_wait_xcnt 0x0
	v_bfe_u32 v4, v22, 16, 1
	s_delay_alu instid0(VALU_DEP_2) | instskip(SKIP_1) | instid1(VALU_DEP_3)
	v_lshl_add_u64 v[0:1], v[0:1], 1, s[2:3]
	v_cmp_o_f32_e32 vcc_lo, v22, v22
	v_add3_u32 v4, v22, v4, 0x7fff
	s_delay_alu instid0(VALU_DEP_3) | instskip(NEXT) | instid1(VALU_DEP_2)
	v_lshl_add_u64 v[0:1], v[2:3], 1, v[0:1]
	v_lshrrev_b32_e32 v4, 16, v4
	s_delay_alu instid0(VALU_DEP_1)
	v_cndmask_b32_e32 v4, 0x7fc0, v4, vcc_lo
	global_store_b16 v[0:1], v4, off
.LBB109_86:
	s_sendmsg sendmsg(MSG_DEALLOC_VGPRS)
	s_endpgm
	.section	.rodata,"a",@progbits
	.p2align	6, 0x0
	.amdhsa_kernel _ZN2at6native12_GLOBAL__N_135GammaBetaBackwardCUDAKernelTemplateIN3c108BFloat16EfLj32ELj1ELj8ELb1ELb0ELb0EEEvllPKT_S7_PKT0_SA_PS5_SB_
		.amdhsa_group_segment_fixed_size 0
		.amdhsa_private_segment_fixed_size 0
		.amdhsa_kernarg_size 320
		.amdhsa_user_sgpr_count 2
		.amdhsa_user_sgpr_dispatch_ptr 0
		.amdhsa_user_sgpr_queue_ptr 0
		.amdhsa_user_sgpr_kernarg_segment_ptr 1
		.amdhsa_user_sgpr_dispatch_id 0
		.amdhsa_user_sgpr_kernarg_preload_length 0
		.amdhsa_user_sgpr_kernarg_preload_offset 0
		.amdhsa_user_sgpr_private_segment_size 0
		.amdhsa_wavefront_size32 1
		.amdhsa_uses_dynamic_stack 0
		.amdhsa_enable_private_segment 0
		.amdhsa_system_sgpr_workgroup_id_x 1
		.amdhsa_system_sgpr_workgroup_id_y 1
		.amdhsa_system_sgpr_workgroup_id_z 0
		.amdhsa_system_sgpr_workgroup_info 0
		.amdhsa_system_vgpr_workitem_id 1
		.amdhsa_next_free_vgpr 106
		.amdhsa_next_free_sgpr 36
		.amdhsa_named_barrier_count 0
		.amdhsa_reserve_vcc 1
		.amdhsa_float_round_mode_32 0
		.amdhsa_float_round_mode_16_64 0
		.amdhsa_float_denorm_mode_32 3
		.amdhsa_float_denorm_mode_16_64 3
		.amdhsa_fp16_overflow 0
		.amdhsa_memory_ordered 1
		.amdhsa_forward_progress 1
		.amdhsa_inst_pref_size 52
		.amdhsa_round_robin_scheduling 0
		.amdhsa_exception_fp_ieee_invalid_op 0
		.amdhsa_exception_fp_denorm_src 0
		.amdhsa_exception_fp_ieee_div_zero 0
		.amdhsa_exception_fp_ieee_overflow 0
		.amdhsa_exception_fp_ieee_underflow 0
		.amdhsa_exception_fp_ieee_inexact 0
		.amdhsa_exception_int_div_zero 0
	.end_amdhsa_kernel
	.section	.text._ZN2at6native12_GLOBAL__N_135GammaBetaBackwardCUDAKernelTemplateIN3c108BFloat16EfLj32ELj1ELj8ELb1ELb0ELb0EEEvllPKT_S7_PKT0_SA_PS5_SB_,"axG",@progbits,_ZN2at6native12_GLOBAL__N_135GammaBetaBackwardCUDAKernelTemplateIN3c108BFloat16EfLj32ELj1ELj8ELb1ELb0ELb0EEEvllPKT_S7_PKT0_SA_PS5_SB_,comdat
.Lfunc_end109:
	.size	_ZN2at6native12_GLOBAL__N_135GammaBetaBackwardCUDAKernelTemplateIN3c108BFloat16EfLj32ELj1ELj8ELb1ELb0ELb0EEEvllPKT_S7_PKT0_SA_PS5_SB_, .Lfunc_end109-_ZN2at6native12_GLOBAL__N_135GammaBetaBackwardCUDAKernelTemplateIN3c108BFloat16EfLj32ELj1ELj8ELb1ELb0ELb0EEEvllPKT_S7_PKT0_SA_PS5_SB_
                                        ; -- End function
	.set _ZN2at6native12_GLOBAL__N_135GammaBetaBackwardCUDAKernelTemplateIN3c108BFloat16EfLj32ELj1ELj8ELb1ELb0ELb0EEEvllPKT_S7_PKT0_SA_PS5_SB_.num_vgpr, 106
	.set _ZN2at6native12_GLOBAL__N_135GammaBetaBackwardCUDAKernelTemplateIN3c108BFloat16EfLj32ELj1ELj8ELb1ELb0ELb0EEEvllPKT_S7_PKT0_SA_PS5_SB_.num_agpr, 0
	.set _ZN2at6native12_GLOBAL__N_135GammaBetaBackwardCUDAKernelTemplateIN3c108BFloat16EfLj32ELj1ELj8ELb1ELb0ELb0EEEvllPKT_S7_PKT0_SA_PS5_SB_.numbered_sgpr, 36
	.set _ZN2at6native12_GLOBAL__N_135GammaBetaBackwardCUDAKernelTemplateIN3c108BFloat16EfLj32ELj1ELj8ELb1ELb0ELb0EEEvllPKT_S7_PKT0_SA_PS5_SB_.num_named_barrier, 0
	.set _ZN2at6native12_GLOBAL__N_135GammaBetaBackwardCUDAKernelTemplateIN3c108BFloat16EfLj32ELj1ELj8ELb1ELb0ELb0EEEvllPKT_S7_PKT0_SA_PS5_SB_.private_seg_size, 0
	.set _ZN2at6native12_GLOBAL__N_135GammaBetaBackwardCUDAKernelTemplateIN3c108BFloat16EfLj32ELj1ELj8ELb1ELb0ELb0EEEvllPKT_S7_PKT0_SA_PS5_SB_.uses_vcc, 1
	.set _ZN2at6native12_GLOBAL__N_135GammaBetaBackwardCUDAKernelTemplateIN3c108BFloat16EfLj32ELj1ELj8ELb1ELb0ELb0EEEvllPKT_S7_PKT0_SA_PS5_SB_.uses_flat_scratch, 0
	.set _ZN2at6native12_GLOBAL__N_135GammaBetaBackwardCUDAKernelTemplateIN3c108BFloat16EfLj32ELj1ELj8ELb1ELb0ELb0EEEvllPKT_S7_PKT0_SA_PS5_SB_.has_dyn_sized_stack, 0
	.set _ZN2at6native12_GLOBAL__N_135GammaBetaBackwardCUDAKernelTemplateIN3c108BFloat16EfLj32ELj1ELj8ELb1ELb0ELb0EEEvllPKT_S7_PKT0_SA_PS5_SB_.has_recursion, 0
	.set _ZN2at6native12_GLOBAL__N_135GammaBetaBackwardCUDAKernelTemplateIN3c108BFloat16EfLj32ELj1ELj8ELb1ELb0ELb0EEEvllPKT_S7_PKT0_SA_PS5_SB_.has_indirect_call, 0
	.section	.AMDGPU.csdata,"",@progbits
; Kernel info:
; codeLenInByte = 6536
; TotalNumSgprs: 38
; NumVgprs: 106
; ScratchSize: 0
; MemoryBound: 0
; FloatMode: 240
; IeeeMode: 1
; LDSByteSize: 0 bytes/workgroup (compile time only)
; SGPRBlocks: 0
; VGPRBlocks: 6
; NumSGPRsForWavesPerEU: 38
; NumVGPRsForWavesPerEU: 106
; NamedBarCnt: 0
; Occupancy: 9
; WaveLimiterHint : 0
; COMPUTE_PGM_RSRC2:SCRATCH_EN: 0
; COMPUTE_PGM_RSRC2:USER_SGPR: 2
; COMPUTE_PGM_RSRC2:TRAP_HANDLER: 0
; COMPUTE_PGM_RSRC2:TGID_X_EN: 1
; COMPUTE_PGM_RSRC2:TGID_Y_EN: 1
; COMPUTE_PGM_RSRC2:TGID_Z_EN: 0
; COMPUTE_PGM_RSRC2:TIDIG_COMP_CNT: 1
	.section	.text._ZN2at6native12_GLOBAL__N_135GammaBetaBackwardCUDAKernelTemplateIN3c108BFloat16EfLj32ELj8ELj64ELb0ELb1ELb0EEEvllPKT_S7_PKT0_SA_PS5_SB_,"axG",@progbits,_ZN2at6native12_GLOBAL__N_135GammaBetaBackwardCUDAKernelTemplateIN3c108BFloat16EfLj32ELj8ELj64ELb0ELb1ELb0EEEvllPKT_S7_PKT0_SA_PS5_SB_,comdat
	.globl	_ZN2at6native12_GLOBAL__N_135GammaBetaBackwardCUDAKernelTemplateIN3c108BFloat16EfLj32ELj8ELj64ELb0ELb1ELb0EEEvllPKT_S7_PKT0_SA_PS5_SB_ ; -- Begin function _ZN2at6native12_GLOBAL__N_135GammaBetaBackwardCUDAKernelTemplateIN3c108BFloat16EfLj32ELj8ELj64ELb0ELb1ELb0EEEvllPKT_S7_PKT0_SA_PS5_SB_
	.p2align	8
	.type	_ZN2at6native12_GLOBAL__N_135GammaBetaBackwardCUDAKernelTemplateIN3c108BFloat16EfLj32ELj8ELj64ELb0ELb1ELb0EEEvllPKT_S7_PKT0_SA_PS5_SB_,@function
_ZN2at6native12_GLOBAL__N_135GammaBetaBackwardCUDAKernelTemplateIN3c108BFloat16EfLj32ELj8ELj64ELb0ELb1ELb0EEEvllPKT_S7_PKT0_SA_PS5_SB_: ; @_ZN2at6native12_GLOBAL__N_135GammaBetaBackwardCUDAKernelTemplateIN3c108BFloat16EfLj32ELj8ELj64ELb0ELb1ELb0EEEvllPKT_S7_PKT0_SA_PS5_SB_
; %bb.0:
	s_load_b128 s[12:15], s[0:1], 0x0
	s_bfe_u32 s2, ttmp6, 0x40010
	s_bfe_u32 s4, ttmp6, 0x40004
	s_add_co_i32 s2, s2, 1
	s_getreg_b32 s3, hwreg(HW_REG_IB_STS2, 6, 4)
	s_mul_i32 s2, ttmp7, s2
	s_mov_b32 s17, 0
	s_add_co_i32 s4, s4, s2
	s_cmp_eq_u32 s3, 0
	v_bfe_u32 v11, v0, 10, 10
	s_cselect_b32 s2, ttmp7, s4
	s_delay_alu instid0(SALU_CYCLE_1)
	s_lshl_b32 s16, s2, 6
	s_wait_kmcnt 0x0
	v_cmp_gt_i64_e64 s2, s[12:13], s[16:17]
	s_and_b32 vcc_lo, exec_lo, s2
	s_cbranch_vccnz .LBB110_2
; %bb.1:
	v_bfe_u32 v1, v0, 10, 10
	s_mov_b32 s2, s17
	s_branch .LBB110_3
.LBB110_2:
	s_mov_b32 s2, -1
                                        ; implicit-def: $vgpr1
.LBB110_3:
	v_mov_b32_e32 v9, 0
	v_and_b32_e32 v10, 0x3ff, v0
	s_and_not1_b32 vcc_lo, exec_lo, s2
	s_delay_alu instid0(VALU_DEP_2)
	v_mov_b32_e32 v8, v9
	s_cbranch_vccnz .LBB110_11
; %bb.4:
	v_dual_mov_b32 v1, 0 :: v_dual_lshlrev_b32 v0, 3, v11
	s_load_b32 s2, s[0:1], 0x4c
	s_bfe_u32 s21, ttmp6, 0x4000c
	s_clause 0x1
	s_load_b32 s18, s[0:1], 0x44
	s_load_b256 s[4:11], s[0:1], 0x10
	s_add_co_i32 s21, s21, 1
	v_add_nc_u64_e32 v[2:3], s[16:17], v[0:1]
	s_and_b32 s20, ttmp6, 15
	s_mul_i32 s21, ttmp9, s21
	v_dual_mov_b32 v13, 12 :: v_dual_mov_b32 v5, v1
	s_add_co_i32 s20, s20, s21
	s_mov_b32 s19, 0
	s_delay_alu instid0(VALU_DEP_2)
	v_mul_u64_e32 v[6:7], s[14:15], v[2:3]
	v_dual_mov_b32 v0, 8 :: v_dual_mov_b32 v12, 4
	v_dual_mov_b32 v14, 16 :: v_dual_mov_b32 v15, 20
	;; [unrolled: 1-line block ×3, first 2 shown]
	s_wait_kmcnt 0x0
	s_and_b32 s2, s2, 0xffff
	s_cmp_eq_u32 s3, 0
	v_mad_u32_u24 v4, v11, s2, v10
	v_mov_b32_e32 v9, v1
	s_cselect_b32 s2, ttmp9, s20
	s_lshl_b32 s18, s18, 6
	v_lshl_add_u32 v8, s2, 5, v10
	v_and_b32_e32 v4, 31, v4
	s_mul_u64 s[22:23], s[14:15], s[18:19]
	s_lshl_b64 s[20:21], s[18:19], 2
	s_lshl_b64 s[22:23], s[22:23], 1
	v_lshlrev_b64_e32 v[18:19], 1, v[8:9]
	v_add_nc_u64_e32 v[2:3], v[2:3], v[4:5]
	v_cmp_gt_u32_e64 s2, 8, v4
	v_mov_b32_e32 v8, 0
	s_lshl_b64 s[14:15], s[14:15], 1
	v_lshlrev_b64_e32 v[4:5], 2, v[2:3]
	v_lshl_add_u64 v[6:7], v[6:7], 1, v[18:19]
	s_branch .LBB110_7
.LBB110_5:                              ;   in Loop: Header=BB110_7 Depth=1
	s_wait_xcnt 0x0
	s_or_b32 exec_lo, exec_lo, s25
.LBB110_6:                              ;   in Loop: Header=BB110_7 Depth=1
	s_delay_alu instid0(SALU_CYCLE_1)
	s_or_b32 exec_lo, exec_lo, s24
	v_add_nc_u64_e32 v[20:21], s[6:7], v[6:7]
	v_add_nc_u64_e32 v[22:23], s[4:5], v[6:7]
	s_wait_loadcnt 0x1
	ds_bpermute_b32 v43, v0, v19
	ds_bpermute_b32 v45, v13, v19
	s_wait_loadcnt 0x0
	ds_bpermute_b32 v42, v0, v18
	ds_bpermute_b32 v46, v14, v19
	;; [unrolled: 1-line block ×3, first 2 shown]
	v_add_nc_u64_e32 v[24:25], s[14:15], v[20:21]
	v_add_nc_u64_e32 v[26:27], s[14:15], v[22:23]
	global_load_u16 v28, v[20:21], off
	global_load_u16 v29, v[22:23], off
	ds_bpermute_b32 v47, v15, v18
	ds_bpermute_b32 v48, v16, v18
	s_add_nc_u64 s[16:17], s[16:17], s[18:19]
	s_wait_xcnt 0x1
	v_add_nc_u64_e32 v[20:21], s[14:15], v[24:25]
	s_wait_xcnt 0x0
	v_add_nc_u64_e32 v[22:23], s[14:15], v[26:27]
	global_load_u16 v30, v[24:25], off
	global_load_u16 v31, v[26:27], off
	v_cmp_lt_i64_e64 s24, s[16:17], s[12:13]
	v_add_nc_u64_e32 v[4:5], s[20:21], v[4:5]
	v_add_nc_u64_e32 v[2:3], s[18:19], v[2:3]
	;; [unrolled: 1-line block ×3, first 2 shown]
	s_wait_xcnt 0x1
	v_add_nc_u64_e32 v[24:25], s[14:15], v[20:21]
	s_wait_xcnt 0x0
	v_add_nc_u64_e32 v[26:27], s[14:15], v[22:23]
	global_load_u16 v32, v[20:21], off
	global_load_u16 v33, v[22:23], off
	s_and_b32 vcc_lo, exec_lo, s24
	global_load_u16 v34, v[24:25], off
	global_load_u16 v35, v[26:27], off
	s_wait_xcnt 0x3
	v_add_nc_u64_e32 v[20:21], s[14:15], v[24:25]
	s_wait_xcnt 0x2
	v_add_nc_u64_e32 v[22:23], s[14:15], v[26:27]
	s_wait_xcnt 0x1
	s_delay_alu instid0(VALU_DEP_2)
	v_add_nc_u64_e32 v[24:25], s[14:15], v[20:21]
	global_load_u16 v26, v[20:21], off
	s_wait_xcnt 0x0
	v_add_nc_u64_e32 v[20:21], s[14:15], v[22:23]
	global_load_u16 v27, v[22:23], off
	global_load_u16 v36, v[24:25], off
	;; [unrolled: 1-line block ×3, first 2 shown]
	s_wait_xcnt 0x2
	v_add_nc_u64_e32 v[22:23], s[14:15], v[24:25]
	global_load_u16 v38, v[22:23], off
	s_wait_xcnt 0x2
	v_add_nc_u64_e32 v[24:25], s[14:15], v[20:21]
	s_wait_xcnt 0x1
	v_add_nc_u64_e32 v[20:21], s[14:15], v[22:23]
	s_wait_xcnt 0x0
	s_delay_alu instid0(VALU_DEP_2)
	v_add_nc_u64_e32 v[22:23], s[14:15], v[24:25]
	global_load_u16 v39, v[24:25], off
	global_load_u16 v40, v[20:21], off
	;; [unrolled: 1-line block ×3, first 2 shown]
	s_wait_xcnt 0x1
	ds_bpermute_b32 v21, v1, v19
	s_wait_xcnt 0x0
	ds_bpermute_b32 v23, v12, v19
	ds_bpermute_b32 v24, v1, v18
	;; [unrolled: 1-line block ×3, first 2 shown]
	s_wait_loadcnt 0xe
	v_dual_lshlrev_b32 v22, 16, v28 :: v_dual_lshlrev_b32 v20, 16, v29
	ds_bpermute_b32 v28, v14, v18
	s_wait_loadcnt_dscnt 0xd04
	v_dual_sub_f32 v21, v22, v21 :: v_dual_lshlrev_b32 v29, 16, v30
	ds_bpermute_b32 v30, v15, v19
	s_wait_loadcnt 0xc
	v_dual_mul_f32 v21, v21, v20 :: v_dual_lshlrev_b32 v22, 16, v31
	s_wait_dscnt 0x4
	v_sub_f32_e32 v23, v29, v23
	ds_bpermute_b32 v29, v16, v19
	s_wait_loadcnt 0xb
	v_lshlrev_b32_e32 v31, 16, v32
	ds_bpermute_b32 v32, v17, v19
	s_wait_dscnt 0x5
	v_dual_mul_f32 v21, v21, v24 :: v_dual_mul_f32 v19, v23, v22
	s_wait_loadcnt 0xa
	v_dual_sub_f32 v31, v31, v43 :: v_dual_lshlrev_b32 v24, 16, v33
	s_wait_loadcnt 0x9
	v_lshlrev_b32_e32 v33, 16, v34
	v_pk_add_f32 v[8:9], v[8:9], v[20:21]
	s_wait_loadcnt_dscnt 0x804
	v_dual_mul_f32 v23, v19, v25 :: v_dual_lshlrev_b32 v20, 16, v35
	s_delay_alu instid0(VALU_DEP_3) | instskip(NEXT) | instid1(VALU_DEP_2)
	v_dual_mul_f32 v19, v31, v24 :: v_dual_sub_f32 v21, v33, v45
	v_pk_add_f32 v[8:9], v[8:9], v[22:23]
	s_wait_loadcnt 0x7
	v_lshlrev_b32_e32 v26, 16, v26
	s_wait_loadcnt 0x6
	v_dual_mul_f32 v25, v19, v42 :: v_dual_lshlrev_b32 v22, 16, v27
	s_delay_alu instid0(VALU_DEP_2)
	v_dual_mul_f32 v19, v21, v20 :: v_dual_sub_f32 v23, v26, v46
	s_wait_loadcnt 0x5
	v_lshlrev_b32_e32 v27, 16, v36
	ds_bpermute_b32 v26, v17, v18
	v_pk_add_f32 v[8:9], v[8:9], v[24:25]
	s_wait_loadcnt 0x4
	v_dual_mul_f32 v21, v19, v44 :: v_dual_lshlrev_b32 v18, 16, v37
	v_mul_f32_e32 v19, v23, v22
	s_wait_dscnt 0x3
	v_sub_f32_e32 v24, v27, v30
	s_delay_alu instid0(VALU_DEP_3) | instskip(SKIP_3) | instid1(VALU_DEP_1)
	v_pk_add_f32 v[8:9], v[8:9], v[20:21]
	s_wait_loadcnt 0x3
	v_dual_lshlrev_b32 v25, 16, v38 :: v_dual_mul_f32 v23, v19, v28
	s_wait_dscnt 0x2
	v_sub_f32_e32 v21, v25, v29
	s_delay_alu instid0(VALU_DEP_2) | instskip(SKIP_4) | instid1(VALU_DEP_2)
	v_pk_add_f32 v[8:9], v[8:9], v[22:23]
	s_wait_loadcnt 0x2
	v_dual_mul_f32 v19, v24, v18 :: v_dual_lshlrev_b32 v20, 16, v39
	s_wait_loadcnt 0x0
	v_dual_lshlrev_b32 v24, 16, v40 :: v_dual_lshlrev_b32 v22, 16, v41
	v_dual_mul_f32 v21, v21, v20 :: v_dual_mul_f32 v19, v19, v47
	s_wait_dscnt 0x1
	s_delay_alu instid0(VALU_DEP_2) | instskip(NEXT) | instid1(VALU_DEP_2)
	v_sub_f32_e32 v23, v24, v32
	v_mul_f32_e32 v21, v21, v48
	s_delay_alu instid0(VALU_DEP_3) | instskip(NEXT) | instid1(VALU_DEP_3)
	v_pk_add_f32 v[8:9], v[8:9], v[18:19]
	v_mul_f32_e32 v18, v23, v22
	s_delay_alu instid0(VALU_DEP_2) | instskip(SKIP_1) | instid1(VALU_DEP_2)
	v_pk_add_f32 v[8:9], v[8:9], v[20:21]
	s_wait_dscnt 0x0
	v_mul_f32_e32 v23, v18, v26
	s_delay_alu instid0(VALU_DEP_1)
	v_pk_add_f32 v[8:9], v[8:9], v[22:23]
	s_cbranch_vccz .LBB110_10
.LBB110_7:                              ; =>This Inner Loop Header: Depth=1
	v_dual_mov_b32 v18, 0 :: v_dual_mov_b32 v19, 0
	s_and_saveexec_b32 s24, s2
	s_cbranch_execz .LBB110_6
; %bb.8:                                ;   in Loop: Header=BB110_7 Depth=1
	v_dual_mov_b32 v19, 0 :: v_dual_mov_b32 v18, 0
	s_mov_b32 s25, exec_lo
	v_cmpx_gt_i64_e64 s[12:13], v[2:3]
	s_cbranch_execz .LBB110_5
; %bb.9:                                ;   in Loop: Header=BB110_7 Depth=1
	v_add_nc_u64_e32 v[20:21], s[8:9], v[4:5]
	v_add_nc_u64_e32 v[22:23], s[10:11], v[4:5]
	global_load_b32 v19, v[20:21], off
	global_load_b32 v18, v[22:23], off
	s_branch .LBB110_5
.LBB110_10:
	v_mov_b32_e32 v1, v11
.LBB110_11:
	s_load_b128 s[4:7], s[0:1], 0x30
	s_delay_alu instid0(VALU_DEP_1) | instskip(SKIP_3) | instid1(VALU_DEP_2)
	v_mad_u32_u24 v0, v1, 33, v10
	v_lshrrev_b32_e32 v2, 5, v10
	s_wait_xcnt 0x0
	s_mov_b32 s0, exec_lo
	v_lshl_add_u32 v3, v0, 2, 0
	s_delay_alu instid0(VALU_DEP_2)
	v_add_nc_u32_e32 v0, v2, v1
	ds_store_b32 v3, v9
	ds_store_b32 v3, v8 offset:1056
	s_wait_dscnt 0x0
	s_barrier_signal -1
	s_barrier_wait -1
	v_cmpx_gt_u32_e32 32, v0
	s_cbranch_execz .LBB110_43
; %bb.12:
	v_and_b32_e32 v1, 31, v10
                                        ; implicit-def: $vgpr2
	s_delay_alu instid0(VALU_DEP_1)
	v_cmp_lt_u32_e64 s2, 7, v1
	v_cmp_gt_u32_e64 s0, 8, v1
	v_mul_u32_u24_e32 v6, 33, v1
	s_and_saveexec_b32 s1, s0
	s_cbranch_execz .LBB110_14
; %bb.13:
	s_delay_alu instid0(VALU_DEP_1) | instskip(NEXT) | instid1(VALU_DEP_1)
	v_add_nc_u32_e32 v1, v0, v6
	v_lshl_add_u32 v1, v1, 2, 0
	ds_load_b32 v3, v1
	ds_load_b32 v2, v1 offset:1056
.LBB110_14:
	s_or_b32 exec_lo, exec_lo, s1
	v_mbcnt_lo_u32_b32 v1, -1, 0
	s_bfe_u32 s1, ttmp6, 0x4000c
	s_and_b32 s8, ttmp6, 15
	s_add_co_i32 s1, s1, 1
	s_mov_b32 s9, 0
	v_xor_b32_e32 v8, 2, v1
	v_xor_b32_e32 v4, 4, v1
	s_mul_i32 s1, ttmp9, s1
	v_xor_b32_e32 v9, 1, v1
	s_add_co_i32 s8, s8, s1
	s_cmp_eq_u32 s3, 0
	v_cmp_gt_i32_e32 vcc_lo, 32, v4
	s_cselect_b32 s8, ttmp9, s8
	v_cmp_eq_u32_e64 s1, 0, v10
	s_lshl_b64 s[8:9], s[8:9], 5
	s_wait_kmcnt 0x0
	s_cmp_lg_u64 s[4:5], 0
	v_cndmask_b32_e32 v4, v1, v4, vcc_lo
	v_cmp_gt_i32_e32 vcc_lo, 32, v8
	s_cselect_b32 s10, -1, 0
	s_cmp_lg_u64 s[6:7], 0
	s_cselect_b32 s3, -1, 0
	v_cndmask_b32_e32 v8, v1, v8, vcc_lo
	v_cmp_gt_i32_e32 vcc_lo, 32, v9
	v_lshlrev_b32_e32 v7, 2, v4
	s_delay_alu instid0(VALU_DEP_3)
	v_dual_cndmask_b32 v1, v1, v9 :: v_dual_lshlrev_b32 v8, 2, v8
	s_wait_dscnt 0x1
	ds_bpermute_b32 v5, v7, v3
	s_wait_dscnt 0x1
	ds_bpermute_b32 v4, v7, v2
	v_dual_lshlrev_b32 v9, 2, v1 :: v_dual_mov_b32 v1, 0
	s_wait_dscnt 0x0
	v_pk_add_f32 v[2:3], v[2:3], v[4:5]
	ds_bpermute_b32 v5, v8, v3
	ds_bpermute_b32 v4, v8, v2
	s_wait_dscnt 0x0
	v_pk_add_f32 v[2:3], v[2:3], v[4:5]
	ds_bpermute_b32 v5, v9, v3
	ds_bpermute_b32 v4, v9, v2
	s_wait_dscnt 0x0
	v_pk_add_f32 v[2:3], v[2:3], v[4:5]
	s_and_saveexec_b32 s11, s1
	s_cbranch_execz .LBB110_19
; %bb.15:
	v_dual_mov_b32 v5, s9 :: v_dual_bitop2_b32 v4, s8, v0 bitop3:0x54
	s_and_not1_b32 vcc_lo, exec_lo, s10
	s_cbranch_vccnz .LBB110_17
; %bb.16:
	v_bfe_u32 v10, v3, 16, 1
	v_cmp_o_f32_e32 vcc_lo, v3, v3
	s_delay_alu instid0(VALU_DEP_2) | instskip(NEXT) | instid1(VALU_DEP_1)
	v_add3_u32 v10, v3, v10, 0x7fff
	v_lshrrev_b32_e32 v10, 16, v10
	s_delay_alu instid0(VALU_DEP_1)
	v_cndmask_b32_e32 v12, 0x7fc0, v10, vcc_lo
	v_lshl_add_u64 v[10:11], v[4:5], 1, s[4:5]
	global_store_b16 v[10:11], v12, off
.LBB110_17:
	s_and_not1_b32 vcc_lo, exec_lo, s3
	s_cbranch_vccnz .LBB110_19
; %bb.18:
	s_wait_xcnt 0x0
	v_bfe_u32 v10, v2, 16, 1
	v_cmp_o_f32_e32 vcc_lo, v2, v2
	v_lshl_add_u64 v[4:5], v[4:5], 1, s[6:7]
	s_delay_alu instid0(VALU_DEP_3) | instskip(NEXT) | instid1(VALU_DEP_1)
	v_add3_u32 v10, v2, v10, 0x7fff
	v_lshrrev_b32_e32 v10, 16, v10
	s_delay_alu instid0(VALU_DEP_1)
	v_cndmask_b32_e32 v10, 0x7fc0, v10, vcc_lo
	global_store_b16 v[4:5], v10, off
.LBB110_19:
	s_wait_xcnt 0x0
	s_or_b32 exec_lo, exec_lo, s11
	v_cmp_gt_u32_e32 vcc_lo, 24, v0
	s_and_b32 exec_lo, exec_lo, vcc_lo
	s_cbranch_execz .LBB110_43
; %bb.20:
	s_and_saveexec_b32 s11, s2
	s_delay_alu instid0(SALU_CYCLE_1) | instskip(NEXT) | instid1(SALU_CYCLE_1)
	s_xor_b32 s11, exec_lo, s11
	s_and_not1_saveexec_b32 s11, s11
	s_cbranch_execz .LBB110_22
; %bb.21:
	v_add_nc_u32_e32 v2, v0, v6
	s_delay_alu instid0(VALU_DEP_1)
	v_lshl_add_u32 v2, v2, 2, 0
	ds_load_b32 v3, v2 offset:32
	ds_load_b32 v2, v2 offset:1088
.LBB110_22:
	s_or_b32 exec_lo, exec_lo, s11
	s_wait_dscnt 0x1
	ds_bpermute_b32 v5, v7, v3
	s_wait_dscnt 0x1
	ds_bpermute_b32 v4, v7, v2
	s_wait_dscnt 0x0
	v_pk_add_f32 v[2:3], v[2:3], v[4:5]
	ds_bpermute_b32 v5, v8, v3
	ds_bpermute_b32 v4, v8, v2
	s_wait_dscnt 0x0
	v_pk_add_f32 v[2:3], v[2:3], v[4:5]
	ds_bpermute_b32 v5, v9, v3
	ds_bpermute_b32 v4, v9, v2
	s_wait_dscnt 0x0
	v_pk_add_f32 v[2:3], v[2:3], v[4:5]
	s_and_saveexec_b32 s11, s1
	s_cbranch_execz .LBB110_27
; %bb.23:
	s_and_not1_b32 vcc_lo, exec_lo, s10
	s_cbranch_vccnz .LBB110_25
; %bb.24:
	v_bfe_u32 v4, v3, 16, 1
	v_cmp_o_f32_e32 vcc_lo, v3, v3
	s_delay_alu instid0(VALU_DEP_2) | instskip(SKIP_1) | instid1(VALU_DEP_2)
	v_add3_u32 v10, v3, v4, 0x7fff
	v_add_nc_u64_e32 v[4:5], s[8:9], v[0:1]
	v_lshrrev_b32_e32 v10, 16, v10
	s_delay_alu instid0(VALU_DEP_2) | instskip(NEXT) | instid1(VALU_DEP_2)
	v_lshl_add_u64 v[4:5], v[4:5], 1, s[4:5]
	v_cndmask_b32_e32 v10, 0x7fc0, v10, vcc_lo
	global_store_b16 v[4:5], v10, off offset:16
.LBB110_25:
	s_and_not1_b32 vcc_lo, exec_lo, s3
	s_cbranch_vccnz .LBB110_27
; %bb.26:
	s_wait_xcnt 0x0
	v_bfe_u32 v4, v2, 16, 1
	v_cmp_o_f32_e32 vcc_lo, v2, v2
	s_delay_alu instid0(VALU_DEP_2) | instskip(SKIP_1) | instid1(VALU_DEP_2)
	v_add3_u32 v10, v2, v4, 0x7fff
	v_add_nc_u64_e32 v[4:5], s[8:9], v[0:1]
	v_lshrrev_b32_e32 v10, 16, v10
	s_delay_alu instid0(VALU_DEP_2) | instskip(NEXT) | instid1(VALU_DEP_2)
	v_lshl_add_u64 v[4:5], v[4:5], 1, s[6:7]
	v_cndmask_b32_e32 v10, 0x7fc0, v10, vcc_lo
	global_store_b16 v[4:5], v10, off offset:16
.LBB110_27:
	s_wait_xcnt 0x0
	s_or_b32 exec_lo, exec_lo, s11
	v_cmp_gt_u32_e32 vcc_lo, 16, v0
	s_and_b32 exec_lo, exec_lo, vcc_lo
	s_cbranch_execz .LBB110_43
; %bb.28:
	s_and_saveexec_b32 s11, s2
	s_delay_alu instid0(SALU_CYCLE_1) | instskip(NEXT) | instid1(SALU_CYCLE_1)
	s_xor_b32 s2, exec_lo, s11
	s_and_not1_saveexec_b32 s2, s2
	s_cbranch_execz .LBB110_30
; %bb.29:
	v_add_nc_u32_e32 v2, v0, v6
	s_delay_alu instid0(VALU_DEP_1)
	v_lshl_add_u32 v2, v2, 2, 0
	ds_load_b32 v3, v2 offset:64
	ds_load_b32 v2, v2 offset:1120
.LBB110_30:
	s_or_b32 exec_lo, exec_lo, s2
	s_wait_dscnt 0x1
	ds_bpermute_b32 v5, v7, v3
	s_wait_dscnt 0x1
	ds_bpermute_b32 v4, v7, v2
	s_wait_dscnt 0x0
	v_pk_add_f32 v[2:3], v[2:3], v[4:5]
	ds_bpermute_b32 v5, v8, v3
	ds_bpermute_b32 v4, v8, v2
	s_wait_dscnt 0x0
	v_pk_add_f32 v[2:3], v[2:3], v[4:5]
	ds_bpermute_b32 v5, v9, v3
	ds_bpermute_b32 v4, v9, v2
	s_wait_dscnt 0x0
	v_pk_add_f32 v[2:3], v[2:3], v[4:5]
	s_and_saveexec_b32 s2, s1
	s_cbranch_execz .LBB110_35
; %bb.31:
	s_and_not1_b32 vcc_lo, exec_lo, s10
	s_cbranch_vccnz .LBB110_33
; %bb.32:
	v_bfe_u32 v4, v3, 16, 1
	v_cmp_o_f32_e32 vcc_lo, v3, v3
	s_delay_alu instid0(VALU_DEP_2) | instskip(SKIP_1) | instid1(VALU_DEP_2)
	v_add3_u32 v10, v3, v4, 0x7fff
	v_add_nc_u64_e32 v[4:5], s[8:9], v[0:1]
	v_lshrrev_b32_e32 v10, 16, v10
	s_delay_alu instid0(VALU_DEP_2) | instskip(NEXT) | instid1(VALU_DEP_2)
	v_lshl_add_u64 v[4:5], v[4:5], 1, s[4:5]
	v_cndmask_b32_e32 v10, 0x7fc0, v10, vcc_lo
	global_store_b16 v[4:5], v10, off offset:32
.LBB110_33:
	s_and_not1_b32 vcc_lo, exec_lo, s3
	s_cbranch_vccnz .LBB110_35
; %bb.34:
	s_wait_xcnt 0x0
	v_bfe_u32 v4, v2, 16, 1
	v_cmp_o_f32_e32 vcc_lo, v2, v2
	s_delay_alu instid0(VALU_DEP_2) | instskip(SKIP_1) | instid1(VALU_DEP_2)
	v_add3_u32 v10, v2, v4, 0x7fff
	v_add_nc_u64_e32 v[4:5], s[8:9], v[0:1]
	v_lshrrev_b32_e32 v10, 16, v10
	s_delay_alu instid0(VALU_DEP_2) | instskip(NEXT) | instid1(VALU_DEP_2)
	v_lshl_add_u64 v[4:5], v[4:5], 1, s[6:7]
	v_cndmask_b32_e32 v10, 0x7fc0, v10, vcc_lo
	global_store_b16 v[4:5], v10, off offset:32
.LBB110_35:
	s_wait_xcnt 0x0
	s_or_b32 exec_lo, exec_lo, s2
	v_cmp_gt_u32_e32 vcc_lo, 8, v0
	s_and_b32 exec_lo, exec_lo, vcc_lo
	s_cbranch_execz .LBB110_43
; %bb.36:
	s_and_saveexec_b32 s2, s0
	s_cbranch_execz .LBB110_38
; %bb.37:
	v_add_nc_u32_e32 v2, v0, v6
	s_delay_alu instid0(VALU_DEP_1)
	v_lshl_add_u32 v2, v2, 2, 0
	ds_load_b32 v3, v2 offset:96
	ds_load_b32 v2, v2 offset:1152
.LBB110_38:
	s_or_b32 exec_lo, exec_lo, s2
	s_wait_dscnt 0x1
	ds_bpermute_b32 v4, v7, v3
	s_wait_dscnt 0x1
	ds_bpermute_b32 v5, v7, v2
	s_wait_dscnt 0x0
	v_dual_add_f32 v3, v3, v4 :: v_dual_add_f32 v2, v2, v5
	ds_bpermute_b32 v4, v8, v3
	ds_bpermute_b32 v5, v8, v2
	s_wait_dscnt 0x0
	v_dual_add_f32 v4, v3, v4 :: v_dual_add_f32 v2, v2, v5
	ds_bpermute_b32 v5, v9, v4
	ds_bpermute_b32 v3, v9, v2
	s_and_b32 exec_lo, exec_lo, s1
	s_cbranch_execz .LBB110_43
; %bb.39:
	v_add_nc_u64_e32 v[0:1], s[8:9], v[0:1]
	s_and_not1_b32 vcc_lo, exec_lo, s10
	s_cbranch_vccnz .LBB110_41
; %bb.40:
	s_wait_dscnt 0x1
	v_add_f32_e32 v4, v4, v5
	s_delay_alu instid0(VALU_DEP_1) | instskip(NEXT) | instid1(VALU_DEP_1)
	v_bfe_u32 v5, v4, 16, 1
	v_add3_u32 v5, v4, v5, 0x7fff
	s_delay_alu instid0(VALU_DEP_1) | instskip(SKIP_1) | instid1(VALU_DEP_2)
	v_lshrrev_b32_e32 v5, 16, v5
	v_cmp_o_f32_e32 vcc_lo, v4, v4
	v_cndmask_b32_e32 v6, 0x7fc0, v5, vcc_lo
	v_lshl_add_u64 v[4:5], v[0:1], 1, s[4:5]
	global_store_b16 v[4:5], v6, off offset:48
.LBB110_41:
	s_and_not1_b32 vcc_lo, exec_lo, s3
	s_cbranch_vccnz .LBB110_43
; %bb.42:
	s_wait_dscnt 0x0
	v_add_f32_e32 v2, v2, v3
	v_lshl_add_u64 v[0:1], v[0:1], 1, s[6:7]
	s_delay_alu instid0(VALU_DEP_2) | instskip(NEXT) | instid1(VALU_DEP_1)
	v_bfe_u32 v3, v2, 16, 1
	v_add3_u32 v3, v2, v3, 0x7fff
	s_delay_alu instid0(VALU_DEP_1) | instskip(SKIP_1) | instid1(VALU_DEP_2)
	v_lshrrev_b32_e32 v3, 16, v3
	v_cmp_o_f32_e32 vcc_lo, v2, v2
	v_cndmask_b32_e32 v2, 0x7fc0, v3, vcc_lo
	global_store_b16 v[0:1], v2, off offset:48
.LBB110_43:
	s_endpgm
	.section	.rodata,"a",@progbits
	.p2align	6, 0x0
	.amdhsa_kernel _ZN2at6native12_GLOBAL__N_135GammaBetaBackwardCUDAKernelTemplateIN3c108BFloat16EfLj32ELj8ELj64ELb0ELb1ELb0EEEvllPKT_S7_PKT0_SA_PS5_SB_
		.amdhsa_group_segment_fixed_size 0
		.amdhsa_private_segment_fixed_size 0
		.amdhsa_kernarg_size 320
		.amdhsa_user_sgpr_count 2
		.amdhsa_user_sgpr_dispatch_ptr 0
		.amdhsa_user_sgpr_queue_ptr 0
		.amdhsa_user_sgpr_kernarg_segment_ptr 1
		.amdhsa_user_sgpr_dispatch_id 0
		.amdhsa_user_sgpr_kernarg_preload_length 0
		.amdhsa_user_sgpr_kernarg_preload_offset 0
		.amdhsa_user_sgpr_private_segment_size 0
		.amdhsa_wavefront_size32 1
		.amdhsa_uses_dynamic_stack 0
		.amdhsa_enable_private_segment 0
		.amdhsa_system_sgpr_workgroup_id_x 1
		.amdhsa_system_sgpr_workgroup_id_y 1
		.amdhsa_system_sgpr_workgroup_id_z 0
		.amdhsa_system_sgpr_workgroup_info 0
		.amdhsa_system_vgpr_workitem_id 1
		.amdhsa_next_free_vgpr 49
		.amdhsa_next_free_sgpr 26
		.amdhsa_named_barrier_count 0
		.amdhsa_reserve_vcc 1
		.amdhsa_float_round_mode_32 0
		.amdhsa_float_round_mode_16_64 0
		.amdhsa_float_denorm_mode_32 3
		.amdhsa_float_denorm_mode_16_64 3
		.amdhsa_fp16_overflow 0
		.amdhsa_memory_ordered 1
		.amdhsa_forward_progress 1
		.amdhsa_inst_pref_size 23
		.amdhsa_round_robin_scheduling 0
		.amdhsa_exception_fp_ieee_invalid_op 0
		.amdhsa_exception_fp_denorm_src 0
		.amdhsa_exception_fp_ieee_div_zero 0
		.amdhsa_exception_fp_ieee_overflow 0
		.amdhsa_exception_fp_ieee_underflow 0
		.amdhsa_exception_fp_ieee_inexact 0
		.amdhsa_exception_int_div_zero 0
	.end_amdhsa_kernel
	.section	.text._ZN2at6native12_GLOBAL__N_135GammaBetaBackwardCUDAKernelTemplateIN3c108BFloat16EfLj32ELj8ELj64ELb0ELb1ELb0EEEvllPKT_S7_PKT0_SA_PS5_SB_,"axG",@progbits,_ZN2at6native12_GLOBAL__N_135GammaBetaBackwardCUDAKernelTemplateIN3c108BFloat16EfLj32ELj8ELj64ELb0ELb1ELb0EEEvllPKT_S7_PKT0_SA_PS5_SB_,comdat
.Lfunc_end110:
	.size	_ZN2at6native12_GLOBAL__N_135GammaBetaBackwardCUDAKernelTemplateIN3c108BFloat16EfLj32ELj8ELj64ELb0ELb1ELb0EEEvllPKT_S7_PKT0_SA_PS5_SB_, .Lfunc_end110-_ZN2at6native12_GLOBAL__N_135GammaBetaBackwardCUDAKernelTemplateIN3c108BFloat16EfLj32ELj8ELj64ELb0ELb1ELb0EEEvllPKT_S7_PKT0_SA_PS5_SB_
                                        ; -- End function
	.set _ZN2at6native12_GLOBAL__N_135GammaBetaBackwardCUDAKernelTemplateIN3c108BFloat16EfLj32ELj8ELj64ELb0ELb1ELb0EEEvllPKT_S7_PKT0_SA_PS5_SB_.num_vgpr, 49
	.set _ZN2at6native12_GLOBAL__N_135GammaBetaBackwardCUDAKernelTemplateIN3c108BFloat16EfLj32ELj8ELj64ELb0ELb1ELb0EEEvllPKT_S7_PKT0_SA_PS5_SB_.num_agpr, 0
	.set _ZN2at6native12_GLOBAL__N_135GammaBetaBackwardCUDAKernelTemplateIN3c108BFloat16EfLj32ELj8ELj64ELb0ELb1ELb0EEEvllPKT_S7_PKT0_SA_PS5_SB_.numbered_sgpr, 26
	.set _ZN2at6native12_GLOBAL__N_135GammaBetaBackwardCUDAKernelTemplateIN3c108BFloat16EfLj32ELj8ELj64ELb0ELb1ELb0EEEvllPKT_S7_PKT0_SA_PS5_SB_.num_named_barrier, 0
	.set _ZN2at6native12_GLOBAL__N_135GammaBetaBackwardCUDAKernelTemplateIN3c108BFloat16EfLj32ELj8ELj64ELb0ELb1ELb0EEEvllPKT_S7_PKT0_SA_PS5_SB_.private_seg_size, 0
	.set _ZN2at6native12_GLOBAL__N_135GammaBetaBackwardCUDAKernelTemplateIN3c108BFloat16EfLj32ELj8ELj64ELb0ELb1ELb0EEEvllPKT_S7_PKT0_SA_PS5_SB_.uses_vcc, 1
	.set _ZN2at6native12_GLOBAL__N_135GammaBetaBackwardCUDAKernelTemplateIN3c108BFloat16EfLj32ELj8ELj64ELb0ELb1ELb0EEEvllPKT_S7_PKT0_SA_PS5_SB_.uses_flat_scratch, 0
	.set _ZN2at6native12_GLOBAL__N_135GammaBetaBackwardCUDAKernelTemplateIN3c108BFloat16EfLj32ELj8ELj64ELb0ELb1ELb0EEEvllPKT_S7_PKT0_SA_PS5_SB_.has_dyn_sized_stack, 0
	.set _ZN2at6native12_GLOBAL__N_135GammaBetaBackwardCUDAKernelTemplateIN3c108BFloat16EfLj32ELj8ELj64ELb0ELb1ELb0EEEvllPKT_S7_PKT0_SA_PS5_SB_.has_recursion, 0
	.set _ZN2at6native12_GLOBAL__N_135GammaBetaBackwardCUDAKernelTemplateIN3c108BFloat16EfLj32ELj8ELj64ELb0ELb1ELb0EEEvllPKT_S7_PKT0_SA_PS5_SB_.has_indirect_call, 0
	.section	.AMDGPU.csdata,"",@progbits
; Kernel info:
; codeLenInByte = 2844
; TotalNumSgprs: 28
; NumVgprs: 49
; ScratchSize: 0
; MemoryBound: 0
; FloatMode: 240
; IeeeMode: 1
; LDSByteSize: 0 bytes/workgroup (compile time only)
; SGPRBlocks: 0
; VGPRBlocks: 3
; NumSGPRsForWavesPerEU: 28
; NumVGPRsForWavesPerEU: 49
; NamedBarCnt: 0
; Occupancy: 16
; WaveLimiterHint : 0
; COMPUTE_PGM_RSRC2:SCRATCH_EN: 0
; COMPUTE_PGM_RSRC2:USER_SGPR: 2
; COMPUTE_PGM_RSRC2:TRAP_HANDLER: 0
; COMPUTE_PGM_RSRC2:TGID_X_EN: 1
; COMPUTE_PGM_RSRC2:TGID_Y_EN: 1
; COMPUTE_PGM_RSRC2:TGID_Z_EN: 0
; COMPUTE_PGM_RSRC2:TIDIG_COMP_CNT: 1
	.section	.text._ZN2at6native12_GLOBAL__N_135GammaBetaBackwardCUDAKernelTemplateIN3c108BFloat16EfLj32ELj8ELj64ELb0ELb0ELb0EEEvllPKT_S7_PKT0_SA_PS5_SB_,"axG",@progbits,_ZN2at6native12_GLOBAL__N_135GammaBetaBackwardCUDAKernelTemplateIN3c108BFloat16EfLj32ELj8ELj64ELb0ELb0ELb0EEEvllPKT_S7_PKT0_SA_PS5_SB_,comdat
	.globl	_ZN2at6native12_GLOBAL__N_135GammaBetaBackwardCUDAKernelTemplateIN3c108BFloat16EfLj32ELj8ELj64ELb0ELb0ELb0EEEvllPKT_S7_PKT0_SA_PS5_SB_ ; -- Begin function _ZN2at6native12_GLOBAL__N_135GammaBetaBackwardCUDAKernelTemplateIN3c108BFloat16EfLj32ELj8ELj64ELb0ELb0ELb0EEEvllPKT_S7_PKT0_SA_PS5_SB_
	.p2align	8
	.type	_ZN2at6native12_GLOBAL__N_135GammaBetaBackwardCUDAKernelTemplateIN3c108BFloat16EfLj32ELj8ELj64ELb0ELb0ELb0EEEvllPKT_S7_PKT0_SA_PS5_SB_,@function
_ZN2at6native12_GLOBAL__N_135GammaBetaBackwardCUDAKernelTemplateIN3c108BFloat16EfLj32ELj8ELj64ELb0ELb0ELb0EEEvllPKT_S7_PKT0_SA_PS5_SB_: ; @_ZN2at6native12_GLOBAL__N_135GammaBetaBackwardCUDAKernelTemplateIN3c108BFloat16EfLj32ELj8ELj64ELb0ELb0ELb0EEEvllPKT_S7_PKT0_SA_PS5_SB_
; %bb.0:
	s_load_b256 s[4:11], s[0:1], 0x0
	s_bfe_u32 s3, ttmp6, 0x4000c
	s_bfe_u32 s12, ttmp6, 0x40010
	s_add_co_i32 s3, s3, 1
	s_add_co_i32 s12, s12, 1
	s_and_b32 s2, ttmp6, 15
	s_bfe_u32 s13, ttmp6, 0x40004
	s_mul_i32 s3, ttmp9, s3
	s_mul_i32 s12, ttmp7, s12
	s_getreg_b32 s14, hwreg(HW_REG_IB_STS2, 6, 4)
	s_add_co_i32 s2, s2, s3
	s_add_co_i32 s3, s13, s12
	s_cmp_eq_u32 s14, 0
	s_mov_b32 s19, 0
	s_cselect_b32 s16, ttmp9, s2
	s_cselect_b32 s2, ttmp7, s3
	s_lshl_b32 s3, s16, 5
	s_load_b128 s[12:15], s[0:1], 0x20
	s_or_b32 s18, s3, 31
	s_wait_kmcnt 0x0
	v_cmp_le_i64_e64 s20, s[6:7], s[18:19]
	s_lshl_b32 s18, s2, 6
	s_delay_alu instid0(SALU_CYCLE_1) | instskip(SKIP_2) | instid1(VALU_DEP_1)
	v_cmp_gt_i64_e64 s17, s[4:5], s[18:19]
	s_and_b32 vcc_lo, exec_lo, s20
	v_cndmask_b32_e64 v1, 0, 1, s17
	v_cmp_ne_u32_e64 s2, 1, v1
	s_cbranch_vccz .LBB111_48
; %bb.1:
	v_mov_b32_e32 v33, 0
	s_and_b32 vcc_lo, exec_lo, s2
	s_delay_alu instid0(VALU_DEP_1)
	v_mov_b32_e32 v32, v33
	s_cbranch_vccnz .LBB111_49
; %bb.2:
	v_bfe_u32 v1, v0, 10, 10
	v_mov_b32_e32 v2, 0
	v_and_b32_e32 v62, 0x3ff, v0
	s_load_b32 s20, s[0:1], 0x44
	s_mov_b32 s21, 0
	s_delay_alu instid0(VALU_DEP_2) | instskip(NEXT) | instid1(VALU_DEP_2)
	v_dual_mov_b32 v21, v2 :: v_dual_lshlrev_b32 v20, 3, v1
	v_dual_mov_b32 v19, v2 :: v_dual_add_nc_u32 v18, s3, v62
	v_mov_b32_e32 v32, 0
	s_mov_b32 s37, s21
	s_delay_alu instid0(VALU_DEP_3)
	v_add_nc_u64_e32 v[4:5], s[18:19], v[20:21]
	v_mov_b32_e32 v33, v2
	v_cmp_gt_i64_e64 s2, s[6:7], v[18:19]
	v_lshlrev_b64_e32 v[22:23], 1, v[18:19]
	s_add_nc_u64 s[22:23], s[0:1], 64
	s_mov_b64 s[24:25], 0xffffffffffffffc1
	s_mov_b64 s[26:27], 0xffffffffffffffc2
	v_mul_u64_e32 v[6:7], s[6:7], v[4:5]
	v_add_nc_u64_e32 v[8:9], 7, v[4:5]
	v_add_nc_u64_e32 v[10:11], 6, v[4:5]
	;; [unrolled: 1-line block ×6, first 2 shown]
	s_wait_kmcnt 0x0
	s_lshl_b32 s36, s20, 6
	v_mul_u64_e32 v[8:9], s[6:7], v[8:9]
	v_mul_u64_e32 v[10:11], s[6:7], v[10:11]
	;; [unrolled: 1-line block ×6, first 2 shown]
	s_mul_u64 s[44:45], s[6:7], s[36:37]
	s_mov_b64 s[28:29], 0xffffffffffffffc3
	s_mov_b64 s[30:31], 0xffffffffffffffc4
	;; [unrolled: 1-line block ×6, first 2 shown]
	s_lshl_b64 s[44:45], s[44:45], 1
	s_add_nc_u64 s[46:47], s[18:19], 63
	s_mov_b64 s[48:49], s[18:19]
	v_lshlrev_b64_e32 v[26:27], 1, v[6:7]
	v_add_nc_u64_e32 v[6:7], s[6:7], v[6:7]
	s_delay_alu instid0(VALU_DEP_2)
	v_add_nc_u64_e32 v[24:25], s[8:9], v[26:27]
	v_lshlrev_b64_e32 v[8:9], 1, v[8:9]
	v_lshlrev_b64_e32 v[10:11], 1, v[10:11]
	;; [unrolled: 1-line block ×7, first 2 shown]
	v_add_nc_u64_e32 v[26:27], s[10:11], v[26:27]
	v_add_nc_u64_e32 v[28:29], s[8:9], v[8:9]
	;; [unrolled: 1-line block ×15, first 2 shown]
	s_branch .LBB111_5
.LBB111_3:                              ;   in Loop: Header=BB111_5 Depth=1
	s_or_b32 exec_lo, exec_lo, s20
	s_wait_loadcnt 0x1
	ds_bpermute_b32 v3, v2, v60
	ds_bpermute_b32 v59, v2, v60 offset:4
	ds_bpermute_b32 v63, v2, v60 offset:8
	s_wait_loadcnt 0x0
	ds_bpermute_b32 v64, v2, v61
	ds_bpermute_b32 v65, v2, v60 offset:12
	ds_bpermute_b32 v66, v2, v61 offset:4
	ds_bpermute_b32 v67, v2, v61 offset:8
	ds_bpermute_b32 v69, v2, v60 offset:16
	ds_bpermute_b32 v68, v2, v61 offset:12
	ds_bpermute_b32 v72, v2, v60 offset:20
	ds_bpermute_b32 v70, v2, v61 offset:16
	ds_bpermute_b32 v73, v2, v60 offset:24
	ds_bpermute_b32 v71, v2, v61 offset:20
	s_wait_dscnt 0xc
	v_dual_mov_b32 v58, v5 :: v_dual_sub_f32 v3, v12, v3
	s_wait_dscnt 0xb
	v_dual_mov_b32 v12, v4 :: v_dual_sub_f32 v13, v13, v59
	s_wait_dscnt 0xa
	v_sub_f32_e32 v59, v14, v63
	v_dual_mul_f32 v3, v4, v3 :: v_dual_mov_b32 v4, v6
	s_delay_alu instid0(VALU_DEP_3) | instskip(SKIP_1) | instid1(VALU_DEP_2)
	v_dual_mul_f32 v5, v5, v13 :: v_dual_mov_b32 v14, v7
	s_wait_dscnt 0x9
	v_dual_mul_f32 v6, v6, v59 :: v_dual_mul_f32 v13, v3, v64
	s_wait_dscnt 0x7
	s_delay_alu instid0(VALU_DEP_2) | instskip(SKIP_1) | instid1(VALU_DEP_2)
	v_dual_sub_f32 v3, v15, v65 :: v_dual_mul_f32 v59, v5, v66
	s_wait_dscnt 0x6
	v_mul_f32_e32 v5, v6, v67
	v_pk_add_f32 v[12:13], v[32:33], v[12:13]
	ds_bpermute_b32 v32, v2, v61 offset:24
	s_wait_dscnt 0x6
	v_dual_sub_f32 v15, v16, v69 :: v_dual_mul_f32 v3, v7, v3
	v_pk_add_f32 v[6:7], v[58:59], v[12:13]
	s_wait_dscnt 0x4
	v_dual_mov_b32 v12, v8 :: v_dual_sub_f32 v13, v17, v72
	s_delay_alu instid0(VALU_DEP_3) | instskip(NEXT) | instid1(VALU_DEP_3)
	v_dual_mul_f32 v8, v8, v15 :: v_dual_mul_f32 v15, v3, v68
	v_pk_add_f32 v[4:5], v[4:5], v[6:7]
	ds_bpermute_b32 v3, v2, v61 offset:28
	s_wait_dscnt 0x3
	v_sub_f32_e32 v16, v18, v73
	v_dual_mul_f32 v17, v9, v13 :: v_dual_mul_f32 v13, v8, v70
	v_pk_add_f32 v[6:7], v[14:15], v[4:5]
	ds_bpermute_b32 v4, v2, v60 offset:28
	v_dual_mov_b32 v8, v9 :: v_dual_mul_f32 v5, v10, v16
	s_wait_dscnt 0x3
	v_mul_f32_e32 v9, v17, v71
	v_pk_add_f32 v[6:7], v[12:13], v[6:7]
	s_wait_dscnt 0x2
	v_dual_mov_b32 v12, v10 :: v_dual_mul_f32 v13, v5, v32
	s_delay_alu instid0(VALU_DEP_2) | instskip(NEXT) | instid1(VALU_DEP_1)
	v_pk_add_f32 v[6:7], v[8:9], v[6:7]
	v_pk_add_f32 v[60:61], v[12:13], v[6:7]
.LBB111_4:                              ;   in Loop: Header=BB111_5 Depth=1
	s_wait_dscnt 0x0
	v_sub_f32_e32 v5, v19, v4
	v_mov_b32_e32 v4, v11
	s_add_nc_u64 s[48:49], s[48:49], s[36:37]
	v_add_nc_u64_e32 v[24:25], s[44:45], v[24:25]
	v_cmp_lt_i64_e64 s20, s[48:49], s[4:5]
	v_mul_f32_e32 v5, v11, v5
	v_add_nc_u64_e32 v[26:27], s[44:45], v[26:27]
	v_add_nc_u64_e32 v[28:29], s[44:45], v[28:29]
	;; [unrolled: 1-line block ×4, first 2 shown]
	v_mul_f32_e32 v5, v5, v3
	v_add_nc_u64_e32 v[36:37], s[44:45], v[36:37]
	v_add_nc_u64_e32 v[38:39], s[44:45], v[38:39]
	;; [unrolled: 1-line block ×11, first 2 shown]
	v_pk_add_f32 v[32:33], v[60:61], v[4:5]
	s_and_b32 vcc_lo, exec_lo, s20
	s_add_nc_u64 s[46:47], s[46:47], s[36:37]
	s_cbranch_vccz .LBB111_49
.LBB111_5:                              ; =>This Inner Loop Header: Depth=1
	v_cmp_ge_i64_e64 s20, s[46:47], s[4:5]
	v_add_nc_u64_e32 v[58:59], s[46:47], v[20:21]
                                        ; implicit-def: $vgpr4_vgpr5_vgpr6_vgpr7_vgpr8_vgpr9_vgpr10_vgpr11
                                        ; implicit-def: $vgpr60_vgpr61
                                        ; implicit-def: $vgpr3
                                        ; implicit-def: $vgpr12_vgpr13_vgpr14_vgpr15_vgpr16_vgpr17_vgpr18_vgpr19
                                        ; implicit-def: $vgpr4
	s_and_b32 vcc_lo, exec_lo, s20
	s_mov_b32 s20, -1
	s_cbranch_vccz .LBB111_27
; %bb.6:                                ;   in Loop: Header=BB111_5 Depth=1
	s_load_b32 s20, s[22:23], 0xc
	v_dual_mov_b32 v60, 0 :: v_dual_mov_b32 v61, 0
	s_wait_kmcnt 0x0
	s_and_b32 s20, s20, 0xffff
	s_delay_alu instid0(SALU_CYCLE_1) | instskip(SKIP_1) | instid1(VALU_DEP_1)
	v_mad_u32_u24 v3, v1, s20, v62
	s_mov_b32 s20, exec_lo
	v_and_b32_e32 v4, 31, v3
	s_delay_alu instid0(VALU_DEP_1)
	v_cmpx_gt_u32_e32 8, v4
	s_cbranch_execz .LBB111_10
; %bb.7:                                ;   in Loop: Header=BB111_5 Depth=1
	v_dual_mov_b32 v5, v2 :: v_dual_mov_b32 v60, 0
	v_mov_b32_e32 v61, 0
	s_mov_b32 s33, exec_lo
	s_delay_alu instid0(VALU_DEP_2) | instskip(NEXT) | instid1(VALU_DEP_1)
	v_add_nc_u64_e32 v[4:5], v[58:59], v[4:5]
	v_add_nc_u64_e32 v[4:5], s[24:25], v[4:5]
	s_delay_alu instid0(VALU_DEP_1)
	v_cmpx_gt_i64_e64 s[4:5], v[4:5]
	s_cbranch_execz .LBB111_9
; %bb.8:                                ;   in Loop: Header=BB111_5 Depth=1
	v_lshlrev_b64_e32 v[4:5], 2, v[4:5]
	s_delay_alu instid0(VALU_DEP_1)
	v_add_nc_u64_e32 v[6:7], s[12:13], v[4:5]
	v_add_nc_u64_e32 v[4:5], s[14:15], v[4:5]
	global_load_b32 v60, v[6:7], off
	global_load_b32 v61, v[4:5], off
.LBB111_9:                              ;   in Loop: Header=BB111_5 Depth=1
	s_wait_xcnt 0x0
	s_or_b32 exec_lo, exec_lo, s33
.LBB111_10:                             ;   in Loop: Header=BB111_5 Depth=1
	s_delay_alu instid0(SALU_CYCLE_1)
	s_or_b32 exec_lo, exec_lo, s20
	v_add_nc_u64_e32 v[10:11], s[24:25], v[58:59]
	v_dual_mov_b32 v7, v2 :: v_dual_mov_b32 v8, v2
	v_dual_mov_b32 v9, v2 :: v_dual_mov_b32 v3, v2
	;; [unrolled: 1-line block ×3, first 2 shown]
	v_mov_b32_e32 v6, v2
	v_cmp_gt_i64_e32 vcc_lo, s[4:5], v[10:11]
	s_delay_alu instid0(VALU_DEP_4)
	v_mov_b64_e32 v[18:19], v[8:9]
	v_mov_b64_e32 v[12:13], v[2:3]
	;; [unrolled: 1-line block ×8, first 2 shown]
	s_and_b32 s33, s2, vcc_lo
	s_delay_alu instid0(SALU_CYCLE_1)
	s_and_saveexec_b32 s20, s33
	s_cbranch_execz .LBB111_12
; %bb.11:                               ;   in Loop: Header=BB111_5 Depth=1
	v_add_nc_u64_e32 v[4:5], v[24:25], v[22:23]
	v_add_nc_u64_e32 v[6:7], v[26:27], v[22:23]
	v_dual_mov_b32 v9, v2 :: v_dual_mov_b32 v10, v2
	v_dual_mov_b32 v11, v2 :: v_dual_mov_b32 v13, v2
	;; [unrolled: 1-line block ×3, first 2 shown]
	global_load_u16 v3, v[4:5], off
	global_load_u16 v12, v[6:7], off
	s_wait_xcnt 0x0
	v_dual_mov_b32 v5, v2 :: v_dual_mov_b32 v6, v2
	v_dual_mov_b32 v7, v2 :: v_dual_mov_b32 v8, v2
	v_dual_mov_b32 v16, v2 :: v_dual_mov_b32 v17, v2
	v_dual_mov_b32 v18, v2 :: v_dual_mov_b32 v19, v2
	s_wait_loadcnt 0x0
	v_dual_lshlrev_b32 v4, 16, v3 :: v_dual_lshlrev_b32 v12, 16, v12
.LBB111_12:                             ;   in Loop: Header=BB111_5 Depth=1
	s_or_b32 exec_lo, exec_lo, s20
	v_add_nc_u64_e32 v[64:65], s[26:27], v[58:59]
	s_delay_alu instid0(VALU_DEP_1) | instskip(SKIP_1) | instid1(SALU_CYCLE_1)
	v_cmp_gt_i64_e32 vcc_lo, s[4:5], v[64:65]
	s_and_b32 s33, s2, vcc_lo
	s_and_saveexec_b32 s20, s33
	s_cbranch_execz .LBB111_14
; %bb.13:                               ;   in Loop: Header=BB111_5 Depth=1
	v_add_nc_u64_e32 v[64:65], v[54:55], v[22:23]
	v_add_nc_u64_e32 v[66:67], v[56:57], v[22:23]
	global_load_u16 v3, v[64:65], off
	global_load_u16 v13, v[66:67], off
	s_wait_loadcnt 0x0
	v_dual_lshlrev_b32 v5, 16, v3 :: v_dual_lshlrev_b32 v13, 16, v13
.LBB111_14:                             ;   in Loop: Header=BB111_5 Depth=1
	s_or_b32 exec_lo, exec_lo, s20
	v_add_nc_u64_e32 v[64:65], s[28:29], v[58:59]
	s_delay_alu instid0(VALU_DEP_1) | instskip(SKIP_1) | instid1(SALU_CYCLE_1)
	v_cmp_gt_i64_e32 vcc_lo, s[4:5], v[64:65]
	s_and_b32 s33, s2, vcc_lo
	s_and_saveexec_b32 s20, s33
	s_cbranch_execz .LBB111_16
; %bb.15:                               ;   in Loop: Header=BB111_5 Depth=1
	v_add_nc_u64_e32 v[64:65], v[50:51], v[22:23]
	v_add_nc_u64_e32 v[66:67], v[52:53], v[22:23]
	global_load_u16 v3, v[64:65], off
	global_load_u16 v14, v[66:67], off
	s_wait_loadcnt 0x0
	v_dual_lshlrev_b32 v6, 16, v3 :: v_dual_lshlrev_b32 v14, 16, v14
.LBB111_16:                             ;   in Loop: Header=BB111_5 Depth=1
	s_or_b32 exec_lo, exec_lo, s20
	v_add_nc_u64_e32 v[64:65], s[30:31], v[58:59]
	s_delay_alu instid0(VALU_DEP_1) | instskip(SKIP_1) | instid1(SALU_CYCLE_1)
	v_cmp_gt_i64_e32 vcc_lo, s[4:5], v[64:65]
	s_and_b32 s33, s2, vcc_lo
	s_and_saveexec_b32 s20, s33
	s_cbranch_execz .LBB111_18
; %bb.17:                               ;   in Loop: Header=BB111_5 Depth=1
	v_add_nc_u64_e32 v[64:65], v[46:47], v[22:23]
	v_add_nc_u64_e32 v[66:67], v[48:49], v[22:23]
	global_load_u16 v3, v[64:65], off
	global_load_u16 v15, v[66:67], off
	s_wait_loadcnt 0x1
	v_lshlrev_b32_e32 v7, 16, v3
	s_wait_loadcnt 0x0
	v_lshlrev_b32_e32 v15, 16, v15
.LBB111_18:                             ;   in Loop: Header=BB111_5 Depth=1
	s_or_b32 exec_lo, exec_lo, s20
	v_add_nc_u64_e32 v[64:65], s[34:35], v[58:59]
	s_delay_alu instid0(VALU_DEP_1) | instskip(SKIP_1) | instid1(SALU_CYCLE_1)
	v_cmp_gt_i64_e32 vcc_lo, s[4:5], v[64:65]
	s_and_b32 s33, s2, vcc_lo
	s_and_saveexec_b32 s20, s33
	s_cbranch_execz .LBB111_20
; %bb.19:                               ;   in Loop: Header=BB111_5 Depth=1
	v_add_nc_u64_e32 v[64:65], v[42:43], v[22:23]
	v_add_nc_u64_e32 v[66:67], v[44:45], v[22:23]
	global_load_u16 v3, v[64:65], off
	global_load_u16 v16, v[66:67], off
	s_wait_loadcnt 0x0
	v_dual_lshlrev_b32 v8, 16, v3 :: v_dual_lshlrev_b32 v16, 16, v16
.LBB111_20:                             ;   in Loop: Header=BB111_5 Depth=1
	s_or_b32 exec_lo, exec_lo, s20
	v_add_nc_u64_e32 v[64:65], s[38:39], v[58:59]
	s_delay_alu instid0(VALU_DEP_1) | instskip(SKIP_1) | instid1(SALU_CYCLE_1)
	v_cmp_gt_i64_e32 vcc_lo, s[4:5], v[64:65]
	s_and_b32 s33, s2, vcc_lo
	s_and_saveexec_b32 s20, s33
	s_cbranch_execz .LBB111_22
; %bb.21:                               ;   in Loop: Header=BB111_5 Depth=1
	v_add_nc_u64_e32 v[64:65], v[38:39], v[22:23]
	v_add_nc_u64_e32 v[66:67], v[40:41], v[22:23]
	global_load_u16 v3, v[64:65], off
	global_load_u16 v17, v[66:67], off
	s_wait_loadcnt 0x0
	v_dual_lshlrev_b32 v9, 16, v3 :: v_dual_lshlrev_b32 v17, 16, v17
.LBB111_22:                             ;   in Loop: Header=BB111_5 Depth=1
	;; [unrolled: 15-line block ×3, first 2 shown]
	s_or_b32 exec_lo, exec_lo, s20
	v_add_nc_u64_e32 v[64:65], s[42:43], v[58:59]
	s_delay_alu instid0(VALU_DEP_1) | instskip(SKIP_1) | instid1(SALU_CYCLE_1)
	v_cmp_gt_i64_e32 vcc_lo, s[4:5], v[64:65]
	s_and_b32 s33, s2, vcc_lo
	s_and_saveexec_b32 s20, s33
	s_cbranch_execz .LBB111_26
; %bb.25:                               ;   in Loop: Header=BB111_5 Depth=1
	v_add_nc_u64_e32 v[64:65], v[28:29], v[22:23]
	v_add_nc_u64_e32 v[66:67], v[30:31], v[22:23]
	global_load_u16 v3, v[64:65], off
	global_load_u16 v19, v[66:67], off
	s_wait_loadcnt 0x1
	v_lshlrev_b32_e32 v11, 16, v3
	s_wait_loadcnt 0x0
	v_lshlrev_b32_e32 v19, 16, v19
.LBB111_26:                             ;   in Loop: Header=BB111_5 Depth=1
	s_or_b32 exec_lo, exec_lo, s20
	s_wait_loadcnt 0x1
	ds_bpermute_b32 v3, v2, v60
	ds_bpermute_b32 v63, v2, v60 offset:4
	ds_bpermute_b32 v65, v2, v60 offset:8
	s_wait_loadcnt 0x0
	ds_bpermute_b32 v66, v2, v61
	ds_bpermute_b32 v67, v2, v60 offset:12
	ds_bpermute_b32 v68, v2, v61 offset:4
	;; [unrolled: 1-line block ×8, first 2 shown]
	s_mov_b32 s20, 0
	s_wait_dscnt 0xb
	v_dual_mov_b32 v64, v5 :: v_dual_sub_f32 v3, v12, v3
	s_wait_dscnt 0xa
	v_dual_mov_b32 v12, v4 :: v_dual_sub_f32 v13, v13, v63
	ds_bpermute_b32 v63, v2, v60 offset:24
	v_dual_mul_f32 v3, v4, v3 :: v_dual_mov_b32 v4, v6
	s_wait_dscnt 0xa
	v_sub_f32_e32 v65, v14, v65
	v_dual_mul_f32 v5, v5, v13 :: v_dual_mov_b32 v14, v7
	s_wait_dscnt 0x9
	v_mul_f32_e32 v13, v3, v66
	s_wait_dscnt 0x8
	v_dual_sub_f32 v3, v15, v67 :: v_dual_mul_f32 v6, v6, v65
	s_wait_dscnt 0x5
	v_dual_mul_f32 v65, v5, v68 :: v_dual_sub_f32 v15, v16, v71
	v_pk_add_f32 v[12:13], v[32:33], v[12:13]
	ds_bpermute_b32 v66, v2, v61 offset:24
	v_dual_mul_f32 v3, v7, v3 :: v_dual_mul_f32 v5, v6, v69
	v_pk_add_f32 v[6:7], v[64:65], v[12:13]
	s_wait_dscnt 0x4
	v_dual_mov_b32 v12, v8 :: v_dual_sub_f32 v13, v17, v74
	s_delay_alu instid0(VALU_DEP_3) | instskip(NEXT) | instid1(VALU_DEP_3)
	v_dual_mul_f32 v8, v8, v15 :: v_dual_mul_f32 v15, v3, v70
	v_pk_add_f32 v[4:5], v[4:5], v[6:7]
	ds_bpermute_b32 v3, v2, v61 offset:28
	s_wait_dscnt 0x2
	v_dual_sub_f32 v16, v18, v63 :: v_dual_mul_f32 v17, v9, v13
	v_dual_mul_f32 v13, v8, v72 :: v_dual_mov_b32 v8, v9
	v_pk_add_f32 v[6:7], v[14:15], v[4:5]
	ds_bpermute_b32 v4, v2, v60 offset:28
	v_dual_mul_f32 v5, v10, v16 :: v_dual_mul_f32 v9, v17, v73
	v_pk_add_f32 v[6:7], v[12:13], v[6:7]
	s_wait_dscnt 0x2
	s_delay_alu instid0(VALU_DEP_2) | instskip(NEXT) | instid1(VALU_DEP_2)
	v_dual_mov_b32 v12, v10 :: v_dual_mul_f32 v13, v5, v66
	v_pk_add_f32 v[6:7], v[8:9], v[6:7]
	s_delay_alu instid0(VALU_DEP_1)
	v_pk_add_f32 v[60:61], v[12:13], v[6:7]
.LBB111_27:                             ;   in Loop: Header=BB111_5 Depth=1
	s_and_b32 vcc_lo, exec_lo, s20
	s_cbranch_vccz .LBB111_4
; %bb.28:                               ;   in Loop: Header=BB111_5 Depth=1
	s_load_b32 s20, s[22:23], 0x0
	v_dual_mov_b32 v60, 0 :: v_dual_mov_b32 v61, 0
	s_wait_kmcnt 0x0
	s_cmp_lt_u32 s16, s20
	s_cselect_b32 s20, 12, 18
	s_delay_alu instid0(SALU_CYCLE_1)
	s_add_nc_u64 s[50:51], s[22:23], s[20:21]
	s_load_u16 s20, s[50:51], 0x0
	s_wait_dscnt 0x1
	s_wait_kmcnt 0x0
	v_mad_u32_u24 v3, v1, s20, v62
	s_mov_b32 s20, exec_lo
	s_wait_dscnt 0x0
	s_delay_alu instid0(VALU_DEP_1) | instskip(NEXT) | instid1(VALU_DEP_1)
	v_and_b32_e32 v4, 31, v3
	v_cmpx_gt_u32_e32 8, v4
	s_cbranch_execz .LBB111_32
; %bb.29:                               ;   in Loop: Header=BB111_5 Depth=1
	v_dual_mov_b32 v5, v2 :: v_dual_mov_b32 v60, 0
	v_mov_b32_e32 v61, 0
	s_mov_b32 s33, exec_lo
	s_delay_alu instid0(VALU_DEP_2) | instskip(NEXT) | instid1(VALU_DEP_1)
	v_add_nc_u64_e32 v[4:5], v[58:59], v[4:5]
	v_add_nc_u64_e32 v[4:5], s[24:25], v[4:5]
	s_delay_alu instid0(VALU_DEP_1)
	v_cmpx_gt_i64_e64 s[4:5], v[4:5]
	s_cbranch_execz .LBB111_31
; %bb.30:                               ;   in Loop: Header=BB111_5 Depth=1
	v_lshlrev_b64_e32 v[4:5], 2, v[4:5]
	s_delay_alu instid0(VALU_DEP_1)
	v_add_nc_u64_e32 v[6:7], s[12:13], v[4:5]
	v_add_nc_u64_e32 v[4:5], s[14:15], v[4:5]
	global_load_b32 v60, v[6:7], off
	global_load_b32 v61, v[4:5], off
.LBB111_31:                             ;   in Loop: Header=BB111_5 Depth=1
	s_wait_xcnt 0x0
	s_or_b32 exec_lo, exec_lo, s33
.LBB111_32:                             ;   in Loop: Header=BB111_5 Depth=1
	s_delay_alu instid0(SALU_CYCLE_1) | instskip(SKIP_4) | instid1(VALU_DEP_3)
	s_or_b32 exec_lo, exec_lo, s20
	v_dual_mov_b32 v7, v2 :: v_dual_mov_b32 v8, v2
	v_dual_mov_b32 v9, v2 :: v_dual_mov_b32 v3, v2
	;; [unrolled: 1-line block ×3, first 2 shown]
	v_mov_b32_e32 v6, v2
	v_mov_b64_e32 v[18:19], v[8:9]
	s_delay_alu instid0(VALU_DEP_4) | instskip(NEXT) | instid1(VALU_DEP_4)
	v_mov_b64_e32 v[12:13], v[2:3]
	v_mov_b64_e32 v[14:15], v[4:5]
	s_delay_alu instid0(VALU_DEP_4)
	v_mov_b64_e32 v[16:17], v[6:7]
	v_mov_b64_e32 v[10:11], v[8:9]
	;; [unrolled: 1-line block ×5, first 2 shown]
	s_and_saveexec_b32 s20, s2
	s_cbranch_execnz .LBB111_40
; %bb.33:                               ;   in Loop: Header=BB111_5 Depth=1
	s_or_b32 exec_lo, exec_lo, s20
	s_and_saveexec_b32 s20, s2
	s_cbranch_execnz .LBB111_41
.LBB111_34:                             ;   in Loop: Header=BB111_5 Depth=1
	s_or_b32 exec_lo, exec_lo, s20
	s_and_saveexec_b32 s20, s2
	s_cbranch_execnz .LBB111_42
.LBB111_35:                             ;   in Loop: Header=BB111_5 Depth=1
	s_or_b32 exec_lo, exec_lo, s20
	s_and_saveexec_b32 s20, s2
	s_cbranch_execnz .LBB111_43
.LBB111_36:                             ;   in Loop: Header=BB111_5 Depth=1
	s_or_b32 exec_lo, exec_lo, s20
	s_and_saveexec_b32 s20, s2
	s_cbranch_execnz .LBB111_44
.LBB111_37:                             ;   in Loop: Header=BB111_5 Depth=1
	s_or_b32 exec_lo, exec_lo, s20
	s_and_saveexec_b32 s20, s2
	s_cbranch_execnz .LBB111_45
.LBB111_38:                             ;   in Loop: Header=BB111_5 Depth=1
	s_or_b32 exec_lo, exec_lo, s20
	s_and_saveexec_b32 s20, s2
	s_cbranch_execnz .LBB111_46
.LBB111_39:                             ;   in Loop: Header=BB111_5 Depth=1
	s_or_b32 exec_lo, exec_lo, s20
	s_and_saveexec_b32 s20, s2
	s_cbranch_execz .LBB111_3
	s_branch .LBB111_47
.LBB111_40:                             ;   in Loop: Header=BB111_5 Depth=1
	v_add_nc_u64_e32 v[4:5], v[24:25], v[22:23]
	v_add_nc_u64_e32 v[6:7], v[26:27], v[22:23]
	v_dual_mov_b32 v9, v2 :: v_dual_mov_b32 v10, v2
	v_dual_mov_b32 v11, v2 :: v_dual_mov_b32 v13, v2
	v_dual_mov_b32 v14, v2 :: v_dual_mov_b32 v15, v2
	global_load_u16 v3, v[4:5], off
	global_load_u16 v12, v[6:7], off
	s_wait_xcnt 0x0
	v_dual_mov_b32 v5, v2 :: v_dual_mov_b32 v6, v2
	v_dual_mov_b32 v7, v2 :: v_dual_mov_b32 v8, v2
	;; [unrolled: 1-line block ×4, first 2 shown]
	s_wait_loadcnt 0x0
	v_dual_lshlrev_b32 v4, 16, v3 :: v_dual_lshlrev_b32 v12, 16, v12
	s_or_b32 exec_lo, exec_lo, s20
	s_and_saveexec_b32 s20, s2
	s_cbranch_execz .LBB111_34
.LBB111_41:                             ;   in Loop: Header=BB111_5 Depth=1
	v_add_nc_u64_e32 v[58:59], v[54:55], v[22:23]
	v_add_nc_u64_e32 v[64:65], v[56:57], v[22:23]
	global_load_u16 v3, v[58:59], off
	global_load_u16 v13, v[64:65], off
	s_wait_loadcnt 0x0
	v_dual_lshlrev_b32 v5, 16, v3 :: v_dual_lshlrev_b32 v13, 16, v13
	s_or_b32 exec_lo, exec_lo, s20
	s_and_saveexec_b32 s20, s2
	s_cbranch_execz .LBB111_35
.LBB111_42:                             ;   in Loop: Header=BB111_5 Depth=1
	v_add_nc_u64_e32 v[58:59], v[50:51], v[22:23]
	v_add_nc_u64_e32 v[64:65], v[52:53], v[22:23]
	global_load_u16 v3, v[58:59], off
	global_load_u16 v14, v[64:65], off
	s_wait_loadcnt 0x0
	v_dual_lshlrev_b32 v6, 16, v3 :: v_dual_lshlrev_b32 v14, 16, v14
	s_or_b32 exec_lo, exec_lo, s20
	s_and_saveexec_b32 s20, s2
	s_cbranch_execz .LBB111_36
.LBB111_43:                             ;   in Loop: Header=BB111_5 Depth=1
	v_add_nc_u64_e32 v[58:59], v[46:47], v[22:23]
	v_add_nc_u64_e32 v[64:65], v[48:49], v[22:23]
	global_load_u16 v3, v[58:59], off
	global_load_u16 v15, v[64:65], off
	s_wait_loadcnt 0x1
	v_lshlrev_b32_e32 v7, 16, v3
	s_wait_loadcnt 0x0
	v_lshlrev_b32_e32 v15, 16, v15
	s_or_b32 exec_lo, exec_lo, s20
	s_and_saveexec_b32 s20, s2
	s_cbranch_execz .LBB111_37
.LBB111_44:                             ;   in Loop: Header=BB111_5 Depth=1
	v_add_nc_u64_e32 v[58:59], v[42:43], v[22:23]
	v_add_nc_u64_e32 v[64:65], v[44:45], v[22:23]
	global_load_u16 v3, v[58:59], off
	global_load_u16 v16, v[64:65], off
	s_wait_loadcnt 0x0
	v_dual_lshlrev_b32 v8, 16, v3 :: v_dual_lshlrev_b32 v16, 16, v16
	s_or_b32 exec_lo, exec_lo, s20
	s_and_saveexec_b32 s20, s2
	s_cbranch_execz .LBB111_38
.LBB111_45:                             ;   in Loop: Header=BB111_5 Depth=1
	v_add_nc_u64_e32 v[58:59], v[38:39], v[22:23]
	v_add_nc_u64_e32 v[64:65], v[40:41], v[22:23]
	global_load_u16 v3, v[58:59], off
	global_load_u16 v17, v[64:65], off
	s_wait_loadcnt 0x0
	v_dual_lshlrev_b32 v9, 16, v3 :: v_dual_lshlrev_b32 v17, 16, v17
	s_or_b32 exec_lo, exec_lo, s20
	s_and_saveexec_b32 s20, s2
	s_cbranch_execz .LBB111_39
.LBB111_46:                             ;   in Loop: Header=BB111_5 Depth=1
	v_add_nc_u64_e32 v[58:59], v[34:35], v[22:23]
	v_add_nc_u64_e32 v[64:65], v[36:37], v[22:23]
	global_load_u16 v3, v[58:59], off
	global_load_u16 v18, v[64:65], off
	s_wait_loadcnt 0x0
	v_dual_lshlrev_b32 v10, 16, v3 :: v_dual_lshlrev_b32 v18, 16, v18
	s_or_b32 exec_lo, exec_lo, s20
	s_and_saveexec_b32 s20, s2
	s_cbranch_execz .LBB111_3
.LBB111_47:                             ;   in Loop: Header=BB111_5 Depth=1
	v_add_nc_u64_e32 v[58:59], v[28:29], v[22:23]
	v_add_nc_u64_e32 v[64:65], v[30:31], v[22:23]
	global_load_u16 v3, v[58:59], off
	global_load_u16 v19, v[64:65], off
	s_wait_loadcnt 0x1
	v_lshlrev_b32_e32 v11, 16, v3
	s_wait_loadcnt 0x0
	v_lshlrev_b32_e32 v19, 16, v19
	s_branch .LBB111_3
.LBB111_48:
                                        ; implicit-def: $vgpr33
	s_branch .LBB111_50
.LBB111_49:
	s_cbranch_execnz .LBB111_81
.LBB111_50:
	v_mov_b32_e32 v33, 0
	s_and_not1_b32 vcc_lo, exec_lo, s17
	s_delay_alu instid0(VALU_DEP_1)
	v_mov_b32_e32 v32, v33
	s_cbranch_vccnz .LBB111_81
; %bb.51:
	v_bfe_u32 v1, v0, 10, 10
	v_mov_b32_e32 v2, 0
	v_and_b32_e32 v90, 0x3ff, v0
	s_load_b32 s2, s[0:1], 0x44
	s_mov_b64 s[22:23], 0xffffffffffffffc3
	s_delay_alu instid0(VALU_DEP_2) | instskip(SKIP_3) | instid1(VALU_DEP_2)
	v_dual_mov_b32 v5, v2 :: v_dual_lshlrev_b32 v4, 4, v1
	v_dual_mov_b32 v21, v2 :: v_dual_lshlrev_b32 v20, 3, v1
	s_mov_b64 s[24:25], 0xffffffffffffffc4
	s_mov_b64 s[26:27], 0xffffffffffffffc5
	v_lshl_add_u64 v[4:5], s[18:19], 1, v[4:5]
	s_mov_b64 s[28:29], 0xffffffffffffffc6
	v_add_nc_u64_e32 v[8:9], s[18:19], v[20:21]
	s_mov_b64 s[30:31], 0xffffffffffffffc7
	s_mov_b64 s[34:35], 0xffffffffffffffc8
	v_add_nc_u64_e32 v[6:7], 2, v[4:5]
	v_add_nc_u64_e32 v[10:11], 4, v[4:5]
	;; [unrolled: 1-line block ×4, first 2 shown]
	v_mul_u64_e32 v[32:33], s[6:7], v[8:9]
	v_add_nc_u64_e32 v[44:45], 4, v[8:9]
	v_add_nc_u64_e32 v[16:17], 10, v[4:5]
	v_mad_nc_u64_u32 v[22:23], s6, v6, s[8:9]
	v_mul_lo_u32 v3, s6, v7
	v_mul_lo_u32 v42, s7, v6
	v_mad_nc_u64_u32 v[34:35], s6, v6, s[10:11]
	v_add_nc_u64_e32 v[6:7], 7, v[8:9]
	v_mad_nc_u64_u32 v[24:25], s6, v10, s[8:9]
	v_mul_lo_u32 v43, s6, v11
	v_mul_lo_u32 v46, s7, v10
	v_mad_nc_u64_u32 v[36:37], s6, v10, s[10:11]
	v_mad_nc_u64_u32 v[26:27], s6, v12, s[8:9]
	v_mul_lo_u32 v52, s6, v13
	v_mul_lo_u32 v53, s7, v12
	v_mad_nc_u64_u32 v[40:41], s6, v12, s[10:11]
	v_add_nc_u64_e32 v[10:11], 6, v[8:9]
	v_mul_u64_e32 v[6:7], s[6:7], v[6:7]
	v_add_nc_u64_e32 v[12:13], 5, v[8:9]
	v_mad_nc_u64_u32 v[28:29], s6, v14, s[8:9]
	v_mul_lo_u32 v54, s6, v15
	v_mul_lo_u32 v55, s7, v14
	v_add3_u32 v23, v42, v23, v3
	v_add3_u32 v25, v46, v25, v43
	;; [unrolled: 1-line block ×3, first 2 shown]
	v_mul_u64_e32 v[10:11], s[6:7], v[10:11]
	v_add3_u32 v37, v46, v37, v43
	v_mad_nc_u64_u32 v[42:43], s6, v14, s[10:11]
	v_add_nc_u64_e32 v[14:15], 3, v[8:9]
	v_add_nc_u64_e32 v[8:9], 2, v[8:9]
	v_mul_u64_e32 v[12:13], s[6:7], v[12:13]
	v_mul_u64_e32 v[62:63], s[6:7], v[44:45]
	v_add_nc_u64_e32 v[18:19], 12, v[4:5]
	v_add_nc_u64_e32 v[4:5], 14, v[4:5]
	v_mad_nc_u64_u32 v[30:31], s6, v16, s[8:9]
	v_mul_u64_e32 v[14:15], s[6:7], v[14:15]
	v_mul_u64_e32 v[8:9], s[6:7], v[8:9]
	v_mul_lo_u32 v17, s6, v17
	v_mul_lo_u32 v56, s7, v16
	v_mad_nc_u64_u32 v[44:45], s6, v16, s[10:11]
	v_mad_nc_u64_u32 v[46:47], s6, v4, s[8:9]
	v_mul_lo_u32 v3, s6, v5
	v_mul_lo_u32 v16, s7, v4
	v_mad_nc_u64_u32 v[50:51], s6, v4, s[10:11]
	v_dual_mov_b32 v5, v2 :: v_dual_add_nc_u32 v4, s3, v90
	v_add3_u32 v27, v53, v27, v52
	v_add3_u32 v41, v53, v41, v52
	v_mad_nc_u64_u32 v[38:39], s6, v18, s[8:9]
	v_lshlrev_b64_e32 v[6:7], 1, v[6:7]
	v_add3_u32 v31, v56, v31, v17
	v_add3_u32 v45, v56, v45, v17
	v_mul_lo_u32 v19, s6, v19
	v_add3_u32 v47, v16, v47, v3
	v_add3_u32 v51, v16, v51, v3
	v_lshlrev_b64_e32 v[16:17], 1, v[32:33]
	v_add_nc_u64_e32 v[58:59], s[8:9], v[6:7]
	v_add_nc_u64_e32 v[60:61], s[10:11], v[6:7]
	v_mul_lo_u32 v57, s7, v18
	v_mad_nc_u64_u32 v[48:49], s6, v18, s[10:11]
	s_mov_b32 s3, 0
	v_add3_u32 v29, v55, v29, v54
	v_lshlrev_b64_e32 v[6:7], 1, v[12:13]
	v_add_nc_u64_e32 v[12:13], s[6:7], v[32:33]
	v_mov_b32_e32 v32, 0
	v_lshlrev_b64_e32 v[52:53], 1, v[4:5]
	v_lshlrev_b64_e32 v[4:5], 1, v[10:11]
	v_lshlrev_b64_e32 v[10:11], 1, v[62:63]
	v_lshlrev_b64_e32 v[8:9], 1, v[8:9]
	v_add_nc_u64_e32 v[66:67], s[8:9], v[6:7]
	v_add_nc_u64_e32 v[68:69], s[10:11], v[6:7]
	v_lshlrev_b64_e32 v[6:7], 1, v[12:13]
	v_add3_u32 v43, v55, v43, v54
	v_add_nc_u64_e32 v[62:63], s[8:9], v[4:5]
	v_add_nc_u64_e32 v[64:65], s[10:11], v[4:5]
	v_lshlrev_b64_e32 v[4:5], 1, v[14:15]
	v_add3_u32 v39, v57, v39, v19
	v_add3_u32 v49, v57, v49, v19
	v_add_nc_u64_e32 v[54:55], s[8:9], v[16:17]
	v_add_nc_u64_e32 v[56:57], s[10:11], v[16:17]
	;; [unrolled: 1-line block ×10, first 2 shown]
	s_wait_kmcnt 0x0
	s_lshl_b32 s20, s2, 6
	s_mov_b32 s21, s3
	v_mov_b32_e32 v33, v2
	s_mul_u64 s[38:39], s[6:7], s[20:21]
	s_mov_b64 s[8:9], 0xffffffffffffffc1
	s_mov_b64 s[10:11], 0xffffffffffffffc2
	s_add_nc_u64 s[36:37], s[0:1], 64
	s_lshl_b64 s[38:39], s[38:39], 1
	s_add_nc_u64 s[40:41], s[18:19], 63
	s_branch .LBB111_55
.LBB111_52:                             ;   in Loop: Header=BB111_55 Depth=1
	s_wait_xcnt 0x0
	s_or_b32 exec_lo, exec_lo, s17
.LBB111_53:                             ;   in Loop: Header=BB111_55 Depth=1
	s_delay_alu instid0(SALU_CYCLE_1)
	s_or_b32 exec_lo, exec_lo, s2
	v_add_nc_u64_e32 v[4:5], v[54:55], v[52:53]
	v_add_nc_u64_e32 v[8:9], v[56:57], v[52:53]
	v_add_nc_u64_e32 v[10:11], v[22:23], v[52:53]
	v_add_nc_u64_e32 v[12:13], v[34:35], v[52:53]
	v_add_nc_u64_e32 v[14:15], v[24:25], v[52:53]
	s_wait_loadcnt 0x1
	ds_bpermute_b32 v98, v2, v3 offset:12
	s_wait_loadcnt 0x0
	ds_bpermute_b32 v96, v2, v6 offset:8
	global_load_u16 v7, v[4:5], off
	global_load_u16 v16, v[8:9], off
	;; [unrolled: 1-line block ×3, first 2 shown]
	s_wait_xcnt 0x2
	v_add_nc_u64_e32 v[4:5], v[36:37], v[52:53]
	s_wait_xcnt 0x1
	v_add_nc_u64_e32 v[8:9], v[26:27], v[52:53]
	global_load_u16 v18, v[12:13], off
	global_load_u16 v19, v[14:15], off
	s_wait_xcnt 0x2
	v_add_nc_u64_e32 v[10:11], v[40:41], v[52:53]
	s_wait_xcnt 0x1
	v_add_nc_u64_e32 v[12:13], v[28:29], v[52:53]
	;; [unrolled: 2-line block ×3, first 2 shown]
	global_load_u16 v32, v[4:5], off
	global_load_u16 v33, v[8:9], off
	;; [unrolled: 1-line block ×3, first 2 shown]
	s_wait_xcnt 0x2
	v_add_nc_u64_e32 v[4:5], v[30:31], v[52:53]
	global_load_u16 v89, v[12:13], off
	global_load_u16 v91, v[14:15], off
	s_wait_xcnt 0x3
	v_add_nc_u64_e32 v[8:9], v[44:45], v[52:53]
	s_wait_xcnt 0x2
	v_add_nc_u64_e32 v[10:11], v[46:47], v[52:53]
	s_wait_xcnt 0x1
	ds_bpermute_b32 v12, v2, v3 offset:4
	s_wait_xcnt 0x0
	ds_bpermute_b32 v14, v2, v3 offset:8
	global_load_u16 v13, v[4:5], off
	s_wait_xcnt 0x0
	v_add_nc_u64_e32 v[4:5], v[48:49], v[52:53]
	ds_bpermute_b32 v97, v2, v6 offset:12
	global_load_u16 v15, v[8:9], off
	s_wait_xcnt 0x0
	v_add_nc_u64_e32 v[8:9], v[38:39], v[52:53]
	ds_bpermute_b32 v99, v2, v6 offset:16
	ds_bpermute_b32 v100, v2, v3 offset:16
	;; [unrolled: 1-line block ×3, first 2 shown]
	global_load_u16 v92, v[4:5], off
	s_wait_xcnt 0x0
	v_add_nc_u64_e32 v[4:5], v[50:51], v[52:53]
	global_load_u16 v93, v[8:9], off
	global_load_u16 v94, v[4:5], off
	;; [unrolled: 1-line block ×3, first 2 shown]
	s_wait_xcnt 0x2
	ds_bpermute_b32 v9, v2, v3
	s_wait_xcnt 0x1
	ds_bpermute_b32 v5, v2, v6
	s_wait_xcnt 0x0
	ds_bpermute_b32 v11, v2, v6 offset:4
	ds_bpermute_b32 v103, v2, v6 offset:24
	;; [unrolled: 1-line block ×6, first 2 shown]
	s_wait_loadcnt 0xe
	v_dual_lshlrev_b32 v4, 16, v7 :: v_dual_lshlrev_b32 v10, 16, v16
	s_wait_loadcnt 0xc
	v_dual_lshlrev_b32 v6, 16, v17 :: v_dual_lshlrev_b32 v7, 16, v18
	s_wait_loadcnt_dscnt 0xb07
	s_delay_alu instid0(VALU_DEP_2) | instskip(SKIP_3) | instid1(VALU_DEP_3)
	v_dual_sub_f32 v9, v10, v9 :: v_dual_lshlrev_b32 v8, 16, v19
	s_wait_loadcnt 0x9
	v_dual_lshlrev_b32 v16, 16, v32 :: v_dual_lshlrev_b32 v10, 16, v33
	v_sub_f32_e32 v7, v7, v12
	v_mul_f32_e32 v9, v9, v4
	s_wait_loadcnt 0x7
	v_dual_lshlrev_b32 v17, 16, v88 :: v_dual_lshlrev_b32 v12, 16, v89
	s_wait_loadcnt 0x6
	v_dual_lshlrev_b32 v18, 16, v91 :: v_dual_sub_f32 v16, v16, v14
	s_wait_dscnt 0x6
	v_dual_mul_f32 v7, v7, v6 :: v_dual_mul_f32 v5, v9, v5
	s_wait_loadcnt 0x5
	v_dual_sub_f32 v9, v17, v98 :: v_dual_lshlrev_b32 v14, 16, v13
	s_wait_dscnt 0x5
	s_delay_alu instid0(VALU_DEP_2)
	v_dual_mul_f32 v13, v16, v8 :: v_dual_mul_f32 v7, v7, v11
	v_pk_add_f32 v[4:5], v[86:87], v[4:5]
	s_wait_loadcnt 0x4
	v_dual_lshlrev_b32 v11, 16, v15 :: v_dual_sub_f32 v15, v18, v100
	v_mul_f32_e32 v16, v9, v10
	v_mul_f32_e32 v9, v13, v96
	v_pk_add_f32 v[4:5], v[4:5], v[6:7]
	s_wait_loadcnt_dscnt 0x302
	v_dual_lshlrev_b32 v7, 16, v92 :: v_dual_sub_f32 v13, v11, v102
	v_dual_mul_f32 v15, v15, v12 :: v_dual_mul_f32 v11, v16, v97
	s_delay_alu instid0(VALU_DEP_3) | instskip(SKIP_1) | instid1(VALU_DEP_3)
	v_pk_add_f32 v[4:5], v[4:5], v[8:9]
	s_wait_loadcnt_dscnt 0x201
	v_dual_sub_f32 v7, v7, v104 :: v_dual_lshlrev_b32 v6, 16, v93
	s_delay_alu instid0(VALU_DEP_3) | instskip(NEXT) | instid1(VALU_DEP_3)
	v_dual_mul_f32 v9, v13, v14 :: v_dual_mul_f32 v13, v15, v99
	v_pk_add_f32 v[4:5], v[4:5], v[10:11]
	s_wait_loadcnt 0x0
	v_dual_lshlrev_b32 v10, 16, v94 :: v_dual_lshlrev_b32 v8, 16, v95
	s_delay_alu instid0(VALU_DEP_3) | instskip(NEXT) | instid1(VALU_DEP_3)
	v_dual_mul_f32 v7, v7, v6 :: v_dual_mul_f32 v15, v9, v101
	v_pk_add_f32 v[4:5], v[4:5], v[12:13]
	s_wait_dscnt 0x0
	s_delay_alu instid0(VALU_DEP_3) | instskip(NEXT) | instid1(VALU_DEP_3)
	v_sub_f32_e32 v3, v10, v3
	v_mul_f32_e32 v7, v7, v103
	s_delay_alu instid0(VALU_DEP_3) | instskip(NEXT) | instid1(VALU_DEP_3)
	v_pk_add_f32 v[4:5], v[4:5], v[14:15]
	v_mul_f32_e32 v3, v3, v8
	s_delay_alu instid0(VALU_DEP_2) | instskip(NEXT) | instid1(VALU_DEP_2)
	v_pk_add_f32 v[4:5], v[4:5], v[6:7]
	v_mul_f32_e32 v9, v3, v105
	s_delay_alu instid0(VALU_DEP_1)
	v_pk_add_f32 v[32:33], v[4:5], v[8:9]
.LBB111_54:                             ;   in Loop: Header=BB111_55 Depth=1
	s_add_nc_u64 s[18:19], s[18:19], s[20:21]
	v_add_nc_u64_e32 v[54:55], s[38:39], v[54:55]
	v_cmp_ge_i64_e64 s2, s[18:19], s[4:5]
	v_add_nc_u64_e32 v[56:57], s[38:39], v[56:57]
	v_add_nc_u64_e32 v[22:23], s[38:39], v[22:23]
	;; [unrolled: 1-line block ×29, first 2 shown]
	s_and_b32 vcc_lo, exec_lo, s2
	s_add_nc_u64 s[40:41], s[40:41], s[20:21]
	s_cbranch_vccnz .LBB111_81
.LBB111_55:                             ; =>This Inner Loop Header: Depth=1
	v_cmp_ge_i64_e64 s2, s[40:41], s[4:5]
	v_add_nc_u64_e32 v[88:89], s[40:41], v[20:21]
	v_dual_mov_b32 v86, v32 :: v_dual_mov_b32 v87, v33
                                        ; implicit-def: $vgpr33
	s_and_b32 vcc_lo, exec_lo, s2
	s_mov_b32 s2, -1
	s_cbranch_vccz .LBB111_77
; %bb.56:                               ;   in Loop: Header=BB111_55 Depth=1
	s_load_b32 s2, s[36:37], 0xc
	v_dual_mov_b32 v33, 0 :: v_dual_mov_b32 v32, 0
	s_wait_kmcnt 0x0
	s_and_b32 s2, s2, 0xffff
	s_delay_alu instid0(SALU_CYCLE_1) | instskip(SKIP_1) | instid1(VALU_DEP_1)
	v_mad_u32_u24 v3, v1, s2, v90
	s_mov_b32 s2, exec_lo
	v_and_b32_e32 v4, 31, v3
	s_delay_alu instid0(VALU_DEP_1)
	v_cmpx_gt_u32_e32 8, v4
	s_cbranch_execz .LBB111_60
; %bb.57:                               ;   in Loop: Header=BB111_55 Depth=1
	v_dual_mov_b32 v5, v2 :: v_dual_mov_b32 v33, 0
	v_mov_b32_e32 v32, 0
	s_mov_b32 s17, exec_lo
	s_delay_alu instid0(VALU_DEP_2) | instskip(NEXT) | instid1(VALU_DEP_1)
	v_add_nc_u64_e32 v[4:5], v[88:89], v[4:5]
	v_add_nc_u64_e32 v[4:5], s[8:9], v[4:5]
	s_delay_alu instid0(VALU_DEP_1)
	v_cmpx_gt_i64_e64 s[4:5], v[4:5]
	s_cbranch_execz .LBB111_59
; %bb.58:                               ;   in Loop: Header=BB111_55 Depth=1
	v_lshlrev_b64_e32 v[4:5], 2, v[4:5]
	s_delay_alu instid0(VALU_DEP_1)
	v_add_nc_u64_e32 v[6:7], s[12:13], v[4:5]
	v_add_nc_u64_e32 v[4:5], s[14:15], v[4:5]
	global_load_b32 v33, v[6:7], off
	global_load_b32 v32, v[4:5], off
.LBB111_59:                             ;   in Loop: Header=BB111_55 Depth=1
	s_wait_xcnt 0x0
	s_or_b32 exec_lo, exec_lo, s17
.LBB111_60:                             ;   in Loop: Header=BB111_55 Depth=1
	s_delay_alu instid0(SALU_CYCLE_1)
	s_or_b32 exec_lo, exec_lo, s2
	v_add_nc_u64_e32 v[10:11], s[8:9], v[88:89]
	v_dual_mov_b32 v7, v2 :: v_dual_mov_b32 v8, v2
	v_dual_mov_b32 v9, v2 :: v_dual_mov_b32 v3, v2
	;; [unrolled: 1-line block ×3, first 2 shown]
	v_mov_b32_e32 v6, v2
	s_delay_alu instid0(VALU_DEP_3)
	v_mov_b64_e32 v[18:19], v[8:9]
	v_cmp_gt_i64_e32 vcc_lo, s[4:5], v[10:11]
	v_mov_b64_e32 v[12:13], v[2:3]
	v_mov_b64_e32 v[14:15], v[4:5]
	;; [unrolled: 1-line block ×7, first 2 shown]
	s_and_saveexec_b32 s2, vcc_lo
	s_cbranch_execz .LBB111_62
; %bb.61:                               ;   in Loop: Header=BB111_55 Depth=1
	v_add_nc_u64_e32 v[4:5], v[54:55], v[52:53]
	v_add_nc_u64_e32 v[6:7], v[56:57], v[52:53]
	v_dual_mov_b32 v9, v2 :: v_dual_mov_b32 v10, v2
	v_dual_mov_b32 v11, v2 :: v_dual_mov_b32 v13, v2
	;; [unrolled: 1-line block ×3, first 2 shown]
	global_load_u16 v3, v[4:5], off
	global_load_u16 v12, v[6:7], off
	s_wait_xcnt 0x0
	v_dual_mov_b32 v5, v2 :: v_dual_mov_b32 v6, v2
	v_dual_mov_b32 v7, v2 :: v_dual_mov_b32 v8, v2
	;; [unrolled: 1-line block ×4, first 2 shown]
	s_wait_loadcnt 0x0
	v_dual_lshlrev_b32 v4, 16, v3 :: v_dual_lshlrev_b32 v12, 16, v12
.LBB111_62:                             ;   in Loop: Header=BB111_55 Depth=1
	s_or_b32 exec_lo, exec_lo, s2
	v_add_nc_u64_e32 v[92:93], s[10:11], v[88:89]
	s_mov_b32 s2, exec_lo
	s_delay_alu instid0(VALU_DEP_1)
	v_cmpx_gt_i64_e64 s[4:5], v[92:93]
	s_cbranch_execz .LBB111_64
; %bb.63:                               ;   in Loop: Header=BB111_55 Depth=1
	v_add_nc_u64_e32 v[92:93], v[82:83], v[52:53]
	v_add_nc_u64_e32 v[94:95], v[84:85], v[52:53]
	global_load_u16 v3, v[92:93], off
	global_load_u16 v13, v[94:95], off
	s_wait_loadcnt 0x0
	v_dual_lshlrev_b32 v5, 16, v3 :: v_dual_lshlrev_b32 v13, 16, v13
.LBB111_64:                             ;   in Loop: Header=BB111_55 Depth=1
	s_or_b32 exec_lo, exec_lo, s2
	v_add_nc_u64_e32 v[92:93], s[22:23], v[88:89]
	s_mov_b32 s2, exec_lo
	s_delay_alu instid0(VALU_DEP_1)
	v_cmpx_gt_i64_e64 s[4:5], v[92:93]
	s_cbranch_execz .LBB111_66
; %bb.65:                               ;   in Loop: Header=BB111_55 Depth=1
	v_add_nc_u64_e32 v[92:93], v[78:79], v[52:53]
	v_add_nc_u64_e32 v[94:95], v[80:81], v[52:53]
	global_load_u16 v3, v[92:93], off
	global_load_u16 v14, v[94:95], off
	s_wait_loadcnt 0x0
	v_dual_lshlrev_b32 v6, 16, v3 :: v_dual_lshlrev_b32 v14, 16, v14
.LBB111_66:                             ;   in Loop: Header=BB111_55 Depth=1
	s_or_b32 exec_lo, exec_lo, s2
	v_add_nc_u64_e32 v[92:93], s[24:25], v[88:89]
	s_mov_b32 s2, exec_lo
	s_delay_alu instid0(VALU_DEP_1)
	v_cmpx_gt_i64_e64 s[4:5], v[92:93]
	s_cbranch_execz .LBB111_68
; %bb.67:                               ;   in Loop: Header=BB111_55 Depth=1
	v_add_nc_u64_e32 v[92:93], v[74:75], v[52:53]
	v_add_nc_u64_e32 v[94:95], v[76:77], v[52:53]
	global_load_u16 v3, v[92:93], off
	global_load_u16 v15, v[94:95], off
	s_wait_loadcnt 0x1
	v_lshlrev_b32_e32 v7, 16, v3
	s_wait_loadcnt 0x0
	v_lshlrev_b32_e32 v15, 16, v15
.LBB111_68:                             ;   in Loop: Header=BB111_55 Depth=1
	s_or_b32 exec_lo, exec_lo, s2
	v_add_nc_u64_e32 v[92:93], s[26:27], v[88:89]
	s_mov_b32 s2, exec_lo
	s_delay_alu instid0(VALU_DEP_1)
	v_cmpx_gt_i64_e64 s[4:5], v[92:93]
	s_cbranch_execz .LBB111_70
; %bb.69:                               ;   in Loop: Header=BB111_55 Depth=1
	v_add_nc_u64_e32 v[92:93], v[70:71], v[52:53]
	v_add_nc_u64_e32 v[94:95], v[72:73], v[52:53]
	global_load_u16 v3, v[92:93], off
	global_load_u16 v16, v[94:95], off
	s_wait_loadcnt 0x0
	v_dual_lshlrev_b32 v8, 16, v3 :: v_dual_lshlrev_b32 v16, 16, v16
.LBB111_70:                             ;   in Loop: Header=BB111_55 Depth=1
	s_or_b32 exec_lo, exec_lo, s2
	v_add_nc_u64_e32 v[92:93], s[28:29], v[88:89]
	s_mov_b32 s2, exec_lo
	s_delay_alu instid0(VALU_DEP_1)
	v_cmpx_gt_i64_e64 s[4:5], v[92:93]
	s_cbranch_execz .LBB111_72
; %bb.71:                               ;   in Loop: Header=BB111_55 Depth=1
	v_add_nc_u64_e32 v[92:93], v[66:67], v[52:53]
	v_add_nc_u64_e32 v[94:95], v[68:69], v[52:53]
	global_load_u16 v3, v[92:93], off
	global_load_u16 v17, v[94:95], off
	s_wait_loadcnt 0x0
	v_dual_lshlrev_b32 v9, 16, v3 :: v_dual_lshlrev_b32 v17, 16, v17
.LBB111_72:                             ;   in Loop: Header=BB111_55 Depth=1
	;; [unrolled: 14-line block ×3, first 2 shown]
	s_or_b32 exec_lo, exec_lo, s2
	v_add_nc_u64_e32 v[92:93], s[34:35], v[88:89]
	s_mov_b32 s2, exec_lo
	s_delay_alu instid0(VALU_DEP_1)
	v_cmpx_gt_i64_e64 s[4:5], v[92:93]
	s_cbranch_execz .LBB111_76
; %bb.75:                               ;   in Loop: Header=BB111_55 Depth=1
	v_add_nc_u64_e32 v[92:93], v[58:59], v[52:53]
	v_add_nc_u64_e32 v[94:95], v[60:61], v[52:53]
	global_load_u16 v3, v[92:93], off
	global_load_u16 v19, v[94:95], off
	s_wait_loadcnt 0x1
	v_lshlrev_b32_e32 v11, 16, v3
	s_wait_loadcnt 0x0
	v_lshlrev_b32_e32 v19, 16, v19
.LBB111_76:                             ;   in Loop: Header=BB111_55 Depth=1
	s_or_b32 exec_lo, exec_lo, s2
	s_wait_loadcnt 0x1
	ds_bpermute_b32 v3, v2, v33
	ds_bpermute_b32 v91, v2, v33 offset:4
	ds_bpermute_b32 v93, v2, v33 offset:8
	s_wait_loadcnt 0x0
	ds_bpermute_b32 v94, v2, v32
	ds_bpermute_b32 v95, v2, v33 offset:12
	ds_bpermute_b32 v96, v2, v32 offset:4
	;; [unrolled: 1-line block ×10, first 2 shown]
	s_mov_b32 s2, 0
	s_wait_dscnt 0xd
	v_dual_mov_b32 v92, v6 :: v_dual_sub_f32 v3, v12, v3
	s_wait_dscnt 0xc
	v_dual_mov_b32 v12, v4 :: v_dual_sub_f32 v13, v13, v91
	s_wait_dscnt 0x9
	v_sub_f32_e32 v15, v15, v95
	v_dual_mul_f32 v3, v4, v3 :: v_dual_mov_b32 v4, v5
	v_sub_f32_e32 v14, v14, v93
	s_wait_dscnt 0x6
	v_dual_mul_f32 v5, v5, v13 :: v_dual_sub_f32 v16, v16, v100
	s_delay_alu instid0(VALU_DEP_3) | instskip(SKIP_4) | instid1(VALU_DEP_3)
	v_mul_f32_e32 v13, v3, v94
	ds_bpermute_b32 v3, v2, v33 offset:28
	v_dual_mul_f32 v14, v6, v14 :: v_dual_mul_f32 v5, v5, v96
	v_mov_b32_e32 v6, v7
	v_pk_add_f32 v[12:13], v[86:87], v[12:13]
	v_dual_mul_f32 v7, v7, v15 :: v_dual_mul_f32 v93, v14, v97
	ds_bpermute_b32 v14, v2, v32 offset:28
	v_mul_f32_e32 v15, v8, v16
	v_pk_add_f32 v[4:5], v[4:5], v[12:13]
	s_wait_dscnt 0x6
	v_sub_f32_e32 v13, v17, v102
	v_dual_mul_f32 v7, v7, v98 :: v_dual_mov_b32 v12, v8
	s_wait_dscnt 0x4
	v_sub_f32_e32 v8, v18, v104
	v_pk_add_f32 v[4:5], v[92:93], v[4:5]
	v_dual_mul_f32 v16, v9, v13 :: v_dual_mul_f32 v13, v15, v99
	s_delay_alu instid0(VALU_DEP_2) | instskip(SKIP_2) | instid1(VALU_DEP_3)
	v_pk_add_f32 v[4:5], v[6:7], v[4:5]
	s_wait_dscnt 0x1
	v_dual_mov_b32 v6, v9 :: v_dual_sub_f32 v3, v19, v3
	v_dual_mul_f32 v9, v10, v8 :: v_dual_mul_f32 v7, v16, v101
	v_mov_b32_e32 v8, v10
	v_pk_add_f32 v[4:5], v[12:13], v[4:5]
	s_delay_alu instid0(VALU_DEP_4) | instskip(NEXT) | instid1(VALU_DEP_2)
	v_mul_f32_e32 v3, v11, v3
	v_pk_add_f32 v[4:5], v[6:7], v[4:5]
	v_dual_mov_b32 v6, v11 :: v_dual_mul_f32 v9, v9, v103
	s_wait_dscnt 0x0
	s_delay_alu instid0(VALU_DEP_3) | instskip(NEXT) | instid1(VALU_DEP_2)
	v_mul_f32_e32 v7, v3, v14
	v_pk_add_f32 v[4:5], v[8:9], v[4:5]
	s_delay_alu instid0(VALU_DEP_1)
	v_pk_add_f32 v[32:33], v[6:7], v[4:5]
.LBB111_77:                             ;   in Loop: Header=BB111_55 Depth=1
	s_and_b32 vcc_lo, exec_lo, s2
	s_cbranch_vccz .LBB111_54
; %bb.78:                               ;   in Loop: Header=BB111_55 Depth=1
	s_load_b32 s2, s[36:37], 0x0
	v_mov_b32_e32 v6, 0
	s_wait_kmcnt 0x0
	s_cmp_lt_u32 s16, s2
	s_cselect_b32 s2, 12, 18
	s_delay_alu instid0(SALU_CYCLE_1) | instskip(SKIP_4) | instid1(VALU_DEP_1)
	s_add_nc_u64 s[42:43], s[36:37], s[2:3]
	s_load_u16 s2, s[42:43], 0x0
	s_wait_kmcnt 0x0
	v_mad_u32_u24 v3, v1, s2, v90
	s_mov_b32 s2, exec_lo
	v_dual_mov_b32 v3, 0 :: v_dual_bitop2_b32 v4, 31, v3 bitop3:0x40
	s_delay_alu instid0(VALU_DEP_1)
	v_cmpx_gt_u32_e32 8, v4
	s_cbranch_execz .LBB111_53
; %bb.79:                               ;   in Loop: Header=BB111_55 Depth=1
	v_dual_mov_b32 v5, v2 :: v_dual_mov_b32 v3, 0
	v_mov_b32_e32 v6, 0
	s_mov_b32 s17, exec_lo
	s_delay_alu instid0(VALU_DEP_2) | instskip(NEXT) | instid1(VALU_DEP_1)
	v_add_nc_u64_e32 v[4:5], v[88:89], v[4:5]
	v_add_nc_u64_e32 v[4:5], s[8:9], v[4:5]
	s_delay_alu instid0(VALU_DEP_1)
	v_cmpx_gt_i64_e64 s[4:5], v[4:5]
	s_cbranch_execz .LBB111_52
; %bb.80:                               ;   in Loop: Header=BB111_55 Depth=1
	v_lshlrev_b64_e32 v[4:5], 2, v[4:5]
	s_delay_alu instid0(VALU_DEP_1)
	v_add_nc_u64_e32 v[8:9], s[12:13], v[4:5]
	v_add_nc_u64_e32 v[4:5], s[14:15], v[4:5]
	global_load_b32 v3, v[8:9], off
	global_load_b32 v6, v[4:5], off
	s_branch .LBB111_52
.LBB111_81:
	v_and_b32_e32 v1, 0x3ff, v0
	v_bfe_u32 v2, v0, 10, 10
	v_bfe_u32 v0, v0, 5, 5
	s_mov_b32 s2, exec_lo
	s_delay_alu instid0(VALU_DEP_2) | instskip(NEXT) | instid1(VALU_DEP_2)
	v_mad_u32_u24 v3, v2, 33, v1
	v_add_nc_u32_e32 v0, v0, v2
	s_delay_alu instid0(VALU_DEP_2)
	v_lshl_add_u32 v2, v3, 2, 0
	ds_store_b32 v2, v33
	ds_store_b32 v2, v32 offset:1056
	s_wait_dscnt 0x0
	s_barrier_signal -1
	s_barrier_wait -1
	v_cmpx_gt_u32_e32 32, v0
	s_cbranch_execz .LBB111_113
; %bb.82:
	s_load_b128 s[8:11], s[0:1], 0x30
	v_and_b32_e32 v2, 31, v1
	s_delay_alu instid0(VALU_DEP_1)
	v_cmp_lt_u32_e64 s2, 7, v2
	s_wait_xcnt 0x0
	v_cmp_gt_u32_e64 s0, 8, v2
	v_mul_u32_u24_e32 v6, 33, v2
                                        ; implicit-def: $vgpr2
	s_and_saveexec_b32 s1, s0
	s_cbranch_execz .LBB111_84
; %bb.83:
	s_delay_alu instid0(VALU_DEP_1) | instskip(NEXT) | instid1(VALU_DEP_1)
	v_add_nc_u32_e32 v2, v0, v6
	v_lshl_add_u32 v2, v2, 2, 0
	ds_load_b32 v3, v2
	ds_load_b32 v2, v2 offset:1056
.LBB111_84:
	s_or_b32 exec_lo, exec_lo, s1
	v_mbcnt_lo_u32_b32 v9, -1, 0
	s_mov_b32 s17, 0
	v_cmp_eq_u32_e64 s1, 0, v1
	s_lshl_b64 s[4:5], s[16:17], 5
	s_wait_kmcnt 0x0
	s_cmp_lg_u64 s[8:9], 0
	v_xor_b32_e32 v8, 2, v9
	v_xor_b32_e32 v4, 4, v9
	s_cselect_b32 s12, -1, 0
	s_cmp_lg_u64 s[10:11], 0
	v_xor_b32_e32 v10, 1, v9
	s_cselect_b32 s3, -1, 0
	v_cmp_gt_i32_e32 vcc_lo, 32, v4
	v_dual_mov_b32 v1, 0 :: v_dual_cndmask_b32 v4, v9, v4
	v_cmp_gt_i32_e32 vcc_lo, 32, v8
	v_cndmask_b32_e32 v8, v9, v8, vcc_lo
	v_cmp_gt_i32_e32 vcc_lo, 32, v10
	s_delay_alu instid0(VALU_DEP_4) | instskip(NEXT) | instid1(VALU_DEP_3)
	v_lshlrev_b32_e32 v7, 2, v4
	v_dual_cndmask_b32 v9, v9, v10 :: v_dual_lshlrev_b32 v8, 2, v8
	s_wait_dscnt 0x1
	ds_bpermute_b32 v5, v7, v3
	s_wait_dscnt 0x1
	ds_bpermute_b32 v4, v7, v2
	v_lshlrev_b32_e32 v9, 2, v9
	s_wait_dscnt 0x0
	v_pk_add_f32 v[2:3], v[2:3], v[4:5]
	ds_bpermute_b32 v5, v8, v3
	ds_bpermute_b32 v4, v8, v2
	s_wait_dscnt 0x0
	v_pk_add_f32 v[2:3], v[2:3], v[4:5]
	v_dual_mov_b32 v5, s5 :: v_dual_bitop2_b32 v4, s4, v0 bitop3:0x54
	ds_bpermute_b32 v11, v9, v3
	ds_bpermute_b32 v10, v9, v2
	v_cmp_gt_i64_e32 vcc_lo, s[6:7], v[4:5]
	s_and_b32 s14, s1, vcc_lo
	s_wait_dscnt 0x0
	v_pk_add_f32 v[2:3], v[2:3], v[10:11]
	s_and_saveexec_b32 s13, s14
	s_cbranch_execz .LBB111_89
; %bb.85:
	s_and_not1_b32 vcc_lo, exec_lo, s12
	s_cbranch_vccnz .LBB111_87
; %bb.86:
	v_bfe_u32 v10, v3, 16, 1
	v_cmp_o_f32_e32 vcc_lo, v3, v3
	s_delay_alu instid0(VALU_DEP_2) | instskip(NEXT) | instid1(VALU_DEP_1)
	v_add3_u32 v10, v3, v10, 0x7fff
	v_lshrrev_b32_e32 v10, 16, v10
	s_delay_alu instid0(VALU_DEP_1)
	v_cndmask_b32_e32 v12, 0x7fc0, v10, vcc_lo
	v_lshl_add_u64 v[10:11], v[4:5], 1, s[8:9]
	global_store_b16 v[10:11], v12, off
.LBB111_87:
	s_and_not1_b32 vcc_lo, exec_lo, s3
	s_cbranch_vccnz .LBB111_89
; %bb.88:
	s_wait_xcnt 0x0
	v_bfe_u32 v10, v2, 16, 1
	v_cmp_o_f32_e32 vcc_lo, v2, v2
	v_lshl_add_u64 v[4:5], v[4:5], 1, s[10:11]
	s_delay_alu instid0(VALU_DEP_3) | instskip(NEXT) | instid1(VALU_DEP_1)
	v_add3_u32 v10, v2, v10, 0x7fff
	v_lshrrev_b32_e32 v10, 16, v10
	s_delay_alu instid0(VALU_DEP_1)
	v_cndmask_b32_e32 v10, 0x7fc0, v10, vcc_lo
	global_store_b16 v[4:5], v10, off
.LBB111_89:
	s_wait_xcnt 0x0
	s_or_b32 exec_lo, exec_lo, s13
	v_cmp_gt_u32_e32 vcc_lo, 24, v0
	s_and_b32 exec_lo, exec_lo, vcc_lo
	s_cbranch_execz .LBB111_113
; %bb.90:
	s_and_saveexec_b32 s13, s2
	s_delay_alu instid0(SALU_CYCLE_1) | instskip(NEXT) | instid1(SALU_CYCLE_1)
	s_xor_b32 s13, exec_lo, s13
	s_and_not1_saveexec_b32 s13, s13
	s_cbranch_execz .LBB111_92
; %bb.91:
	v_add_nc_u32_e32 v2, v0, v6
	s_delay_alu instid0(VALU_DEP_1)
	v_lshl_add_u32 v2, v2, 2, 0
	ds_load_b32 v3, v2 offset:32
	ds_load_b32 v2, v2 offset:1088
.LBB111_92:
	s_or_b32 exec_lo, exec_lo, s13
	s_wait_dscnt 0x1
	ds_bpermute_b32 v5, v7, v3
	s_wait_dscnt 0x1
	ds_bpermute_b32 v4, v7, v2
	v_dual_mov_b32 v11, 0 :: v_dual_add_nc_u32 v10, 8, v0
	s_delay_alu instid0(VALU_DEP_1) | instskip(NEXT) | instid1(VALU_DEP_1)
	v_add_nc_u64_e32 v[10:11], s[4:5], v[10:11]
	v_cmp_gt_i64_e32 vcc_lo, s[6:7], v[10:11]
	s_wait_dscnt 0x0
	v_pk_add_f32 v[2:3], v[2:3], v[4:5]
	s_and_b32 s14, s1, vcc_lo
	ds_bpermute_b32 v5, v8, v3
	ds_bpermute_b32 v4, v8, v2
	s_wait_dscnt 0x0
	v_pk_add_f32 v[2:3], v[2:3], v[4:5]
	ds_bpermute_b32 v5, v9, v3
	ds_bpermute_b32 v4, v9, v2
	s_wait_dscnt 0x0
	v_pk_add_f32 v[2:3], v[2:3], v[4:5]
	s_and_saveexec_b32 s13, s14
	s_cbranch_execz .LBB111_97
; %bb.93:
	s_and_not1_b32 vcc_lo, exec_lo, s12
	s_cbranch_vccnz .LBB111_95
; %bb.94:
	v_bfe_u32 v4, v3, 16, 1
	v_cmp_o_f32_e32 vcc_lo, v3, v3
	s_delay_alu instid0(VALU_DEP_2) | instskip(SKIP_1) | instid1(VALU_DEP_2)
	v_add3_u32 v10, v3, v4, 0x7fff
	v_add_nc_u64_e32 v[4:5], s[4:5], v[0:1]
	v_lshrrev_b32_e32 v10, 16, v10
	s_delay_alu instid0(VALU_DEP_2) | instskip(NEXT) | instid1(VALU_DEP_2)
	v_lshl_add_u64 v[4:5], v[4:5], 1, s[8:9]
	v_cndmask_b32_e32 v10, 0x7fc0, v10, vcc_lo
	global_store_b16 v[4:5], v10, off offset:16
.LBB111_95:
	s_and_not1_b32 vcc_lo, exec_lo, s3
	s_cbranch_vccnz .LBB111_97
; %bb.96:
	s_wait_xcnt 0x0
	v_bfe_u32 v4, v2, 16, 1
	v_cmp_o_f32_e32 vcc_lo, v2, v2
	s_delay_alu instid0(VALU_DEP_2) | instskip(SKIP_1) | instid1(VALU_DEP_2)
	v_add3_u32 v10, v2, v4, 0x7fff
	v_add_nc_u64_e32 v[4:5], s[4:5], v[0:1]
	v_lshrrev_b32_e32 v10, 16, v10
	s_delay_alu instid0(VALU_DEP_2) | instskip(NEXT) | instid1(VALU_DEP_2)
	v_lshl_add_u64 v[4:5], v[4:5], 1, s[10:11]
	v_cndmask_b32_e32 v10, 0x7fc0, v10, vcc_lo
	global_store_b16 v[4:5], v10, off offset:16
.LBB111_97:
	s_wait_xcnt 0x0
	s_or_b32 exec_lo, exec_lo, s13
	v_cmp_gt_u32_e32 vcc_lo, 16, v0
	s_and_b32 exec_lo, exec_lo, vcc_lo
	s_cbranch_execz .LBB111_113
; %bb.98:
	s_and_saveexec_b32 s13, s2
	s_delay_alu instid0(SALU_CYCLE_1) | instskip(NEXT) | instid1(SALU_CYCLE_1)
	s_xor_b32 s2, exec_lo, s13
	s_and_not1_saveexec_b32 s2, s2
	s_cbranch_execz .LBB111_100
; %bb.99:
	v_add_nc_u32_e32 v2, v0, v6
	s_delay_alu instid0(VALU_DEP_1)
	v_lshl_add_u32 v2, v2, 2, 0
	ds_load_b32 v3, v2 offset:64
	ds_load_b32 v2, v2 offset:1120
.LBB111_100:
	s_or_b32 exec_lo, exec_lo, s2
	s_wait_dscnt 0x1
	ds_bpermute_b32 v5, v7, v3
	s_wait_dscnt 0x1
	ds_bpermute_b32 v4, v7, v2
	v_dual_mov_b32 v11, s5 :: v_dual_add_nc_u32 v10, 16, v0
	s_delay_alu instid0(VALU_DEP_1) | instskip(NEXT) | instid1(VALU_DEP_1)
	v_or_b32_e32 v10, s4, v10
	v_cmp_gt_i64_e32 vcc_lo, s[6:7], v[10:11]
	s_and_b32 s13, s1, vcc_lo
	s_wait_dscnt 0x0
	v_pk_add_f32 v[2:3], v[2:3], v[4:5]
	ds_bpermute_b32 v5, v8, v3
	ds_bpermute_b32 v4, v8, v2
	s_wait_dscnt 0x0
	v_pk_add_f32 v[2:3], v[2:3], v[4:5]
	ds_bpermute_b32 v5, v9, v3
	ds_bpermute_b32 v4, v9, v2
	s_wait_dscnt 0x0
	v_pk_add_f32 v[2:3], v[2:3], v[4:5]
	s_and_saveexec_b32 s2, s13
	s_cbranch_execz .LBB111_105
; %bb.101:
	s_and_not1_b32 vcc_lo, exec_lo, s12
	s_cbranch_vccnz .LBB111_103
; %bb.102:
	v_bfe_u32 v4, v3, 16, 1
	v_cmp_o_f32_e32 vcc_lo, v3, v3
	s_delay_alu instid0(VALU_DEP_2) | instskip(SKIP_1) | instid1(VALU_DEP_2)
	v_add3_u32 v10, v3, v4, 0x7fff
	v_add_nc_u64_e32 v[4:5], s[4:5], v[0:1]
	v_lshrrev_b32_e32 v10, 16, v10
	s_delay_alu instid0(VALU_DEP_2) | instskip(NEXT) | instid1(VALU_DEP_2)
	v_lshl_add_u64 v[4:5], v[4:5], 1, s[8:9]
	v_cndmask_b32_e32 v10, 0x7fc0, v10, vcc_lo
	global_store_b16 v[4:5], v10, off offset:32
.LBB111_103:
	s_and_not1_b32 vcc_lo, exec_lo, s3
	s_cbranch_vccnz .LBB111_105
; %bb.104:
	s_wait_xcnt 0x0
	v_bfe_u32 v4, v2, 16, 1
	v_cmp_o_f32_e32 vcc_lo, v2, v2
	s_delay_alu instid0(VALU_DEP_2) | instskip(SKIP_1) | instid1(VALU_DEP_2)
	v_add3_u32 v10, v2, v4, 0x7fff
	v_add_nc_u64_e32 v[4:5], s[4:5], v[0:1]
	v_lshrrev_b32_e32 v10, 16, v10
	s_delay_alu instid0(VALU_DEP_2) | instskip(NEXT) | instid1(VALU_DEP_2)
	v_lshl_add_u64 v[4:5], v[4:5], 1, s[10:11]
	v_cndmask_b32_e32 v10, 0x7fc0, v10, vcc_lo
	global_store_b16 v[4:5], v10, off offset:32
.LBB111_105:
	s_wait_xcnt 0x0
	s_or_b32 exec_lo, exec_lo, s2
	v_cmp_gt_u32_e32 vcc_lo, 8, v0
	s_and_b32 exec_lo, exec_lo, vcc_lo
	s_cbranch_execz .LBB111_113
; %bb.106:
	s_and_saveexec_b32 s2, s0
	s_cbranch_execz .LBB111_108
; %bb.107:
	v_add_nc_u32_e32 v2, v0, v6
	s_delay_alu instid0(VALU_DEP_1)
	v_lshl_add_u32 v2, v2, 2, 0
	ds_load_b32 v3, v2 offset:96
	ds_load_b32 v2, v2 offset:1152
.LBB111_108:
	s_or_b32 exec_lo, exec_lo, s2
	s_wait_dscnt 0x1
	ds_bpermute_b32 v4, v7, v3
	s_wait_dscnt 0x1
	ds_bpermute_b32 v5, v7, v2
	v_dual_mov_b32 v7, s5 :: v_dual_add_nc_u32 v6, 24, v0
	s_delay_alu instid0(VALU_DEP_1) | instskip(NEXT) | instid1(VALU_DEP_1)
	v_or_b32_e32 v6, s4, v6
	v_cmp_gt_i64_e32 vcc_lo, s[6:7], v[6:7]
	s_and_b32 s0, s1, vcc_lo
	s_wait_dscnt 0x0
	v_dual_add_f32 v3, v3, v4 :: v_dual_add_f32 v2, v2, v5
	ds_bpermute_b32 v4, v8, v3
	ds_bpermute_b32 v5, v8, v2
	s_wait_dscnt 0x0
	v_dual_add_f32 v4, v3, v4 :: v_dual_add_f32 v2, v2, v5
	ds_bpermute_b32 v5, v9, v4
	ds_bpermute_b32 v3, v9, v2
	s_and_b32 exec_lo, exec_lo, s0
	s_cbranch_execz .LBB111_113
; %bb.109:
	v_add_nc_u64_e32 v[0:1], s[4:5], v[0:1]
	s_and_not1_b32 vcc_lo, exec_lo, s12
	s_cbranch_vccnz .LBB111_111
; %bb.110:
	s_wait_dscnt 0x1
	v_add_f32_e32 v4, v4, v5
	s_delay_alu instid0(VALU_DEP_1) | instskip(NEXT) | instid1(VALU_DEP_1)
	v_bfe_u32 v5, v4, 16, 1
	v_add3_u32 v5, v4, v5, 0x7fff
	s_delay_alu instid0(VALU_DEP_1) | instskip(SKIP_1) | instid1(VALU_DEP_2)
	v_lshrrev_b32_e32 v5, 16, v5
	v_cmp_o_f32_e32 vcc_lo, v4, v4
	v_cndmask_b32_e32 v6, 0x7fc0, v5, vcc_lo
	v_lshl_add_u64 v[4:5], v[0:1], 1, s[8:9]
	global_store_b16 v[4:5], v6, off offset:48
.LBB111_111:
	s_and_not1_b32 vcc_lo, exec_lo, s3
	s_cbranch_vccnz .LBB111_113
; %bb.112:
	s_wait_dscnt 0x0
	v_add_f32_e32 v2, v2, v3
	v_lshl_add_u64 v[0:1], v[0:1], 1, s[10:11]
	s_delay_alu instid0(VALU_DEP_2) | instskip(NEXT) | instid1(VALU_DEP_1)
	v_bfe_u32 v3, v2, 16, 1
	v_add3_u32 v3, v2, v3, 0x7fff
	s_delay_alu instid0(VALU_DEP_1) | instskip(SKIP_1) | instid1(VALU_DEP_2)
	v_lshrrev_b32_e32 v3, 16, v3
	v_cmp_o_f32_e32 vcc_lo, v2, v2
	v_cndmask_b32_e32 v2, 0x7fc0, v3, vcc_lo
	global_store_b16 v[0:1], v2, off offset:48
.LBB111_113:
	s_sendmsg sendmsg(MSG_DEALLOC_VGPRS)
	s_endpgm
	.section	.rodata,"a",@progbits
	.p2align	6, 0x0
	.amdhsa_kernel _ZN2at6native12_GLOBAL__N_135GammaBetaBackwardCUDAKernelTemplateIN3c108BFloat16EfLj32ELj8ELj64ELb0ELb0ELb0EEEvllPKT_S7_PKT0_SA_PS5_SB_
		.amdhsa_group_segment_fixed_size 0
		.amdhsa_private_segment_fixed_size 0
		.amdhsa_kernarg_size 320
		.amdhsa_user_sgpr_count 2
		.amdhsa_user_sgpr_dispatch_ptr 0
		.amdhsa_user_sgpr_queue_ptr 0
		.amdhsa_user_sgpr_kernarg_segment_ptr 1
		.amdhsa_user_sgpr_dispatch_id 0
		.amdhsa_user_sgpr_kernarg_preload_length 0
		.amdhsa_user_sgpr_kernarg_preload_offset 0
		.amdhsa_user_sgpr_private_segment_size 0
		.amdhsa_wavefront_size32 1
		.amdhsa_uses_dynamic_stack 0
		.amdhsa_enable_private_segment 0
		.amdhsa_system_sgpr_workgroup_id_x 1
		.amdhsa_system_sgpr_workgroup_id_y 1
		.amdhsa_system_sgpr_workgroup_id_z 0
		.amdhsa_system_sgpr_workgroup_info 0
		.amdhsa_system_vgpr_workitem_id 1
		.amdhsa_next_free_vgpr 106
		.amdhsa_next_free_sgpr 52
		.amdhsa_named_barrier_count 0
		.amdhsa_reserve_vcc 1
		.amdhsa_float_round_mode_32 0
		.amdhsa_float_round_mode_16_64 0
		.amdhsa_float_denorm_mode_32 3
		.amdhsa_float_denorm_mode_16_64 3
		.amdhsa_fp16_overflow 0
		.amdhsa_memory_ordered 1
		.amdhsa_forward_progress 1
		.amdhsa_inst_pref_size 63
		.amdhsa_round_robin_scheduling 0
		.amdhsa_exception_fp_ieee_invalid_op 0
		.amdhsa_exception_fp_denorm_src 0
		.amdhsa_exception_fp_ieee_div_zero 0
		.amdhsa_exception_fp_ieee_overflow 0
		.amdhsa_exception_fp_ieee_underflow 0
		.amdhsa_exception_fp_ieee_inexact 0
		.amdhsa_exception_int_div_zero 0
	.end_amdhsa_kernel
	.section	.text._ZN2at6native12_GLOBAL__N_135GammaBetaBackwardCUDAKernelTemplateIN3c108BFloat16EfLj32ELj8ELj64ELb0ELb0ELb0EEEvllPKT_S7_PKT0_SA_PS5_SB_,"axG",@progbits,_ZN2at6native12_GLOBAL__N_135GammaBetaBackwardCUDAKernelTemplateIN3c108BFloat16EfLj32ELj8ELj64ELb0ELb0ELb0EEEvllPKT_S7_PKT0_SA_PS5_SB_,comdat
.Lfunc_end111:
	.size	_ZN2at6native12_GLOBAL__N_135GammaBetaBackwardCUDAKernelTemplateIN3c108BFloat16EfLj32ELj8ELj64ELb0ELb0ELb0EEEvllPKT_S7_PKT0_SA_PS5_SB_, .Lfunc_end111-_ZN2at6native12_GLOBAL__N_135GammaBetaBackwardCUDAKernelTemplateIN3c108BFloat16EfLj32ELj8ELj64ELb0ELb0ELb0EEEvllPKT_S7_PKT0_SA_PS5_SB_
                                        ; -- End function
	.set _ZN2at6native12_GLOBAL__N_135GammaBetaBackwardCUDAKernelTemplateIN3c108BFloat16EfLj32ELj8ELj64ELb0ELb0ELb0EEEvllPKT_S7_PKT0_SA_PS5_SB_.num_vgpr, 106
	.set _ZN2at6native12_GLOBAL__N_135GammaBetaBackwardCUDAKernelTemplateIN3c108BFloat16EfLj32ELj8ELj64ELb0ELb0ELb0EEEvllPKT_S7_PKT0_SA_PS5_SB_.num_agpr, 0
	.set _ZN2at6native12_GLOBAL__N_135GammaBetaBackwardCUDAKernelTemplateIN3c108BFloat16EfLj32ELj8ELj64ELb0ELb0ELb0EEEvllPKT_S7_PKT0_SA_PS5_SB_.numbered_sgpr, 52
	.set _ZN2at6native12_GLOBAL__N_135GammaBetaBackwardCUDAKernelTemplateIN3c108BFloat16EfLj32ELj8ELj64ELb0ELb0ELb0EEEvllPKT_S7_PKT0_SA_PS5_SB_.num_named_barrier, 0
	.set _ZN2at6native12_GLOBAL__N_135GammaBetaBackwardCUDAKernelTemplateIN3c108BFloat16EfLj32ELj8ELj64ELb0ELb0ELb0EEEvllPKT_S7_PKT0_SA_PS5_SB_.private_seg_size, 0
	.set _ZN2at6native12_GLOBAL__N_135GammaBetaBackwardCUDAKernelTemplateIN3c108BFloat16EfLj32ELj8ELj64ELb0ELb0ELb0EEEvllPKT_S7_PKT0_SA_PS5_SB_.uses_vcc, 1
	.set _ZN2at6native12_GLOBAL__N_135GammaBetaBackwardCUDAKernelTemplateIN3c108BFloat16EfLj32ELj8ELj64ELb0ELb0ELb0EEEvllPKT_S7_PKT0_SA_PS5_SB_.uses_flat_scratch, 0
	.set _ZN2at6native12_GLOBAL__N_135GammaBetaBackwardCUDAKernelTemplateIN3c108BFloat16EfLj32ELj8ELj64ELb0ELb0ELb0EEEvllPKT_S7_PKT0_SA_PS5_SB_.has_dyn_sized_stack, 0
	.set _ZN2at6native12_GLOBAL__N_135GammaBetaBackwardCUDAKernelTemplateIN3c108BFloat16EfLj32ELj8ELj64ELb0ELb0ELb0EEEvllPKT_S7_PKT0_SA_PS5_SB_.has_recursion, 0
	.set _ZN2at6native12_GLOBAL__N_135GammaBetaBackwardCUDAKernelTemplateIN3c108BFloat16EfLj32ELj8ELj64ELb0ELb0ELb0EEEvllPKT_S7_PKT0_SA_PS5_SB_.has_indirect_call, 0
	.section	.AMDGPU.csdata,"",@progbits
; Kernel info:
; codeLenInByte = 8004
; TotalNumSgprs: 54
; NumVgprs: 106
; ScratchSize: 0
; MemoryBound: 0
; FloatMode: 240
; IeeeMode: 1
; LDSByteSize: 0 bytes/workgroup (compile time only)
; SGPRBlocks: 0
; VGPRBlocks: 6
; NumSGPRsForWavesPerEU: 54
; NumVGPRsForWavesPerEU: 106
; NamedBarCnt: 0
; Occupancy: 9
; WaveLimiterHint : 0
; COMPUTE_PGM_RSRC2:SCRATCH_EN: 0
; COMPUTE_PGM_RSRC2:USER_SGPR: 2
; COMPUTE_PGM_RSRC2:TRAP_HANDLER: 0
; COMPUTE_PGM_RSRC2:TGID_X_EN: 1
; COMPUTE_PGM_RSRC2:TGID_Y_EN: 1
; COMPUTE_PGM_RSRC2:TGID_Z_EN: 0
; COMPUTE_PGM_RSRC2:TIDIG_COMP_CNT: 1
	.section	.text._ZN2at6native12_GLOBAL__N_135GammaBetaBackwardCUDAKernelTemplateIN3c108BFloat16EfLj32ELj16ELj128ELb0ELb1ELb0EEEvllPKT_S7_PKT0_SA_PS5_SB_,"axG",@progbits,_ZN2at6native12_GLOBAL__N_135GammaBetaBackwardCUDAKernelTemplateIN3c108BFloat16EfLj32ELj16ELj128ELb0ELb1ELb0EEEvllPKT_S7_PKT0_SA_PS5_SB_,comdat
	.globl	_ZN2at6native12_GLOBAL__N_135GammaBetaBackwardCUDAKernelTemplateIN3c108BFloat16EfLj32ELj16ELj128ELb0ELb1ELb0EEEvllPKT_S7_PKT0_SA_PS5_SB_ ; -- Begin function _ZN2at6native12_GLOBAL__N_135GammaBetaBackwardCUDAKernelTemplateIN3c108BFloat16EfLj32ELj16ELj128ELb0ELb1ELb0EEEvllPKT_S7_PKT0_SA_PS5_SB_
	.p2align	8
	.type	_ZN2at6native12_GLOBAL__N_135GammaBetaBackwardCUDAKernelTemplateIN3c108BFloat16EfLj32ELj16ELj128ELb0ELb1ELb0EEEvllPKT_S7_PKT0_SA_PS5_SB_,@function
_ZN2at6native12_GLOBAL__N_135GammaBetaBackwardCUDAKernelTemplateIN3c108BFloat16EfLj32ELj16ELj128ELb0ELb1ELb0EEEvllPKT_S7_PKT0_SA_PS5_SB_: ; @_ZN2at6native12_GLOBAL__N_135GammaBetaBackwardCUDAKernelTemplateIN3c108BFloat16EfLj32ELj16ELj128ELb0ELb1ELb0EEEvllPKT_S7_PKT0_SA_PS5_SB_
; %bb.0:
	s_load_b128 s[12:15], s[0:1], 0x0
	s_bfe_u32 s2, ttmp6, 0x40010
	s_bfe_u32 s4, ttmp6, 0x40004
	s_add_co_i32 s2, s2, 1
	s_getreg_b32 s3, hwreg(HW_REG_IB_STS2, 6, 4)
	s_mul_i32 s2, ttmp7, s2
	s_mov_b32 s17, 0
	s_add_co_i32 s4, s4, s2
	s_cmp_eq_u32 s3, 0
	v_bfe_u32 v11, v0, 10, 10
	s_cselect_b32 s2, ttmp7, s4
	s_delay_alu instid0(SALU_CYCLE_1)
	s_lshl_b32 s16, s2, 7
	s_wait_kmcnt 0x0
	v_cmp_gt_i64_e64 s2, s[12:13], s[16:17]
	s_and_b32 vcc_lo, exec_lo, s2
	s_cbranch_vccnz .LBB112_2
; %bb.1:
	v_bfe_u32 v1, v0, 10, 10
	s_mov_b32 s2, s17
	s_branch .LBB112_3
.LBB112_2:
	s_mov_b32 s2, -1
                                        ; implicit-def: $vgpr1
.LBB112_3:
	v_mov_b32_e32 v9, 0
	v_and_b32_e32 v10, 0x3ff, v0
	s_and_not1_b32 vcc_lo, exec_lo, s2
	s_delay_alu instid0(VALU_DEP_2)
	v_mov_b32_e32 v8, v9
	s_cbranch_vccnz .LBB112_11
; %bb.4:
	v_dual_mov_b32 v1, 0 :: v_dual_lshlrev_b32 v0, 3, v11
	s_load_b32 s2, s[0:1], 0x4c
	s_bfe_u32 s21, ttmp6, 0x4000c
	s_clause 0x1
	s_load_b32 s18, s[0:1], 0x44
	s_load_b256 s[4:11], s[0:1], 0x10
	s_add_co_i32 s21, s21, 1
	v_add_nc_u64_e32 v[2:3], s[16:17], v[0:1]
	s_and_b32 s20, ttmp6, 15
	s_mul_i32 s21, ttmp9, s21
	v_dual_mov_b32 v13, 12 :: v_dual_mov_b32 v5, v1
	s_add_co_i32 s20, s20, s21
	s_mov_b32 s19, 0
	s_delay_alu instid0(VALU_DEP_2)
	v_mul_u64_e32 v[6:7], s[14:15], v[2:3]
	v_dual_mov_b32 v0, 8 :: v_dual_mov_b32 v12, 4
	v_dual_mov_b32 v14, 16 :: v_dual_mov_b32 v15, 20
	;; [unrolled: 1-line block ×3, first 2 shown]
	s_wait_kmcnt 0x0
	s_and_b32 s2, s2, 0xffff
	s_cmp_eq_u32 s3, 0
	v_mad_u32_u24 v4, v11, s2, v10
	v_mov_b32_e32 v9, v1
	s_cselect_b32 s2, ttmp9, s20
	s_lshl_b32 s18, s18, 7
	v_lshl_add_u32 v8, s2, 5, v10
	v_and_b32_e32 v4, 31, v4
	s_mul_u64 s[22:23], s[14:15], s[18:19]
	s_lshl_b64 s[20:21], s[18:19], 2
	s_lshl_b64 s[22:23], s[22:23], 1
	v_lshlrev_b64_e32 v[18:19], 1, v[8:9]
	v_add_nc_u64_e32 v[2:3], v[2:3], v[4:5]
	v_cmp_gt_u32_e64 s2, 8, v4
	v_mov_b32_e32 v8, 0
	s_lshl_b64 s[14:15], s[14:15], 1
	v_lshlrev_b64_e32 v[4:5], 2, v[2:3]
	v_lshl_add_u64 v[6:7], v[6:7], 1, v[18:19]
	s_branch .LBB112_7
.LBB112_5:                              ;   in Loop: Header=BB112_7 Depth=1
	s_wait_xcnt 0x0
	s_or_b32 exec_lo, exec_lo, s25
.LBB112_6:                              ;   in Loop: Header=BB112_7 Depth=1
	s_delay_alu instid0(SALU_CYCLE_1)
	s_or_b32 exec_lo, exec_lo, s24
	v_add_nc_u64_e32 v[20:21], s[6:7], v[6:7]
	v_add_nc_u64_e32 v[22:23], s[4:5], v[6:7]
	s_wait_loadcnt 0x1
	ds_bpermute_b32 v43, v0, v19
	ds_bpermute_b32 v45, v13, v19
	s_wait_loadcnt 0x0
	ds_bpermute_b32 v42, v0, v18
	ds_bpermute_b32 v46, v14, v19
	;; [unrolled: 1-line block ×3, first 2 shown]
	v_add_nc_u64_e32 v[24:25], s[14:15], v[20:21]
	v_add_nc_u64_e32 v[26:27], s[14:15], v[22:23]
	global_load_u16 v28, v[20:21], off
	global_load_u16 v29, v[22:23], off
	ds_bpermute_b32 v47, v15, v18
	ds_bpermute_b32 v48, v16, v18
	s_add_nc_u64 s[16:17], s[16:17], s[18:19]
	s_wait_xcnt 0x1
	v_add_nc_u64_e32 v[20:21], s[14:15], v[24:25]
	s_wait_xcnt 0x0
	v_add_nc_u64_e32 v[22:23], s[14:15], v[26:27]
	global_load_u16 v30, v[24:25], off
	global_load_u16 v31, v[26:27], off
	v_cmp_lt_i64_e64 s24, s[16:17], s[12:13]
	v_add_nc_u64_e32 v[4:5], s[20:21], v[4:5]
	v_add_nc_u64_e32 v[2:3], s[18:19], v[2:3]
	;; [unrolled: 1-line block ×3, first 2 shown]
	s_wait_xcnt 0x1
	v_add_nc_u64_e32 v[24:25], s[14:15], v[20:21]
	s_wait_xcnt 0x0
	v_add_nc_u64_e32 v[26:27], s[14:15], v[22:23]
	global_load_u16 v32, v[20:21], off
	global_load_u16 v33, v[22:23], off
	s_and_b32 vcc_lo, exec_lo, s24
	global_load_u16 v34, v[24:25], off
	global_load_u16 v35, v[26:27], off
	s_wait_xcnt 0x3
	v_add_nc_u64_e32 v[20:21], s[14:15], v[24:25]
	s_wait_xcnt 0x2
	v_add_nc_u64_e32 v[22:23], s[14:15], v[26:27]
	s_wait_xcnt 0x1
	s_delay_alu instid0(VALU_DEP_2)
	v_add_nc_u64_e32 v[24:25], s[14:15], v[20:21]
	global_load_u16 v26, v[20:21], off
	s_wait_xcnt 0x0
	v_add_nc_u64_e32 v[20:21], s[14:15], v[22:23]
	global_load_u16 v27, v[22:23], off
	global_load_u16 v36, v[24:25], off
	;; [unrolled: 1-line block ×3, first 2 shown]
	s_wait_xcnt 0x2
	v_add_nc_u64_e32 v[22:23], s[14:15], v[24:25]
	global_load_u16 v38, v[22:23], off
	s_wait_xcnt 0x2
	v_add_nc_u64_e32 v[24:25], s[14:15], v[20:21]
	s_wait_xcnt 0x1
	v_add_nc_u64_e32 v[20:21], s[14:15], v[22:23]
	s_wait_xcnt 0x0
	s_delay_alu instid0(VALU_DEP_2)
	v_add_nc_u64_e32 v[22:23], s[14:15], v[24:25]
	global_load_u16 v39, v[24:25], off
	global_load_u16 v40, v[20:21], off
	;; [unrolled: 1-line block ×3, first 2 shown]
	s_wait_xcnt 0x1
	ds_bpermute_b32 v21, v1, v19
	s_wait_xcnt 0x0
	ds_bpermute_b32 v23, v12, v19
	ds_bpermute_b32 v24, v1, v18
	;; [unrolled: 1-line block ×3, first 2 shown]
	s_wait_loadcnt 0xe
	v_dual_lshlrev_b32 v22, 16, v28 :: v_dual_lshlrev_b32 v20, 16, v29
	ds_bpermute_b32 v28, v14, v18
	s_wait_loadcnt_dscnt 0xd04
	v_dual_sub_f32 v21, v22, v21 :: v_dual_lshlrev_b32 v29, 16, v30
	ds_bpermute_b32 v30, v15, v19
	s_wait_loadcnt 0xc
	v_dual_mul_f32 v21, v21, v20 :: v_dual_lshlrev_b32 v22, 16, v31
	s_wait_dscnt 0x4
	v_sub_f32_e32 v23, v29, v23
	ds_bpermute_b32 v29, v16, v19
	s_wait_loadcnt 0xb
	v_lshlrev_b32_e32 v31, 16, v32
	ds_bpermute_b32 v32, v17, v19
	s_wait_dscnt 0x5
	v_dual_mul_f32 v21, v21, v24 :: v_dual_mul_f32 v19, v23, v22
	s_wait_loadcnt 0xa
	v_dual_sub_f32 v31, v31, v43 :: v_dual_lshlrev_b32 v24, 16, v33
	s_wait_loadcnt 0x9
	v_lshlrev_b32_e32 v33, 16, v34
	v_pk_add_f32 v[8:9], v[8:9], v[20:21]
	s_wait_loadcnt_dscnt 0x804
	v_dual_mul_f32 v23, v19, v25 :: v_dual_lshlrev_b32 v20, 16, v35
	s_delay_alu instid0(VALU_DEP_3) | instskip(NEXT) | instid1(VALU_DEP_2)
	v_dual_mul_f32 v19, v31, v24 :: v_dual_sub_f32 v21, v33, v45
	v_pk_add_f32 v[8:9], v[8:9], v[22:23]
	s_wait_loadcnt 0x7
	v_lshlrev_b32_e32 v26, 16, v26
	s_wait_loadcnt 0x6
	v_dual_mul_f32 v25, v19, v42 :: v_dual_lshlrev_b32 v22, 16, v27
	s_delay_alu instid0(VALU_DEP_2)
	v_dual_mul_f32 v19, v21, v20 :: v_dual_sub_f32 v23, v26, v46
	s_wait_loadcnt 0x5
	v_lshlrev_b32_e32 v27, 16, v36
	ds_bpermute_b32 v26, v17, v18
	v_pk_add_f32 v[8:9], v[8:9], v[24:25]
	s_wait_loadcnt 0x4
	v_dual_mul_f32 v21, v19, v44 :: v_dual_lshlrev_b32 v18, 16, v37
	v_mul_f32_e32 v19, v23, v22
	s_wait_dscnt 0x3
	v_sub_f32_e32 v24, v27, v30
	s_delay_alu instid0(VALU_DEP_3) | instskip(SKIP_3) | instid1(VALU_DEP_1)
	v_pk_add_f32 v[8:9], v[8:9], v[20:21]
	s_wait_loadcnt 0x3
	v_dual_lshlrev_b32 v25, 16, v38 :: v_dual_mul_f32 v23, v19, v28
	s_wait_dscnt 0x2
	v_sub_f32_e32 v21, v25, v29
	s_delay_alu instid0(VALU_DEP_2) | instskip(SKIP_4) | instid1(VALU_DEP_2)
	v_pk_add_f32 v[8:9], v[8:9], v[22:23]
	s_wait_loadcnt 0x2
	v_dual_mul_f32 v19, v24, v18 :: v_dual_lshlrev_b32 v20, 16, v39
	s_wait_loadcnt 0x0
	v_dual_lshlrev_b32 v24, 16, v40 :: v_dual_lshlrev_b32 v22, 16, v41
	v_dual_mul_f32 v21, v21, v20 :: v_dual_mul_f32 v19, v19, v47
	s_wait_dscnt 0x1
	s_delay_alu instid0(VALU_DEP_2) | instskip(NEXT) | instid1(VALU_DEP_2)
	v_sub_f32_e32 v23, v24, v32
	v_mul_f32_e32 v21, v21, v48
	s_delay_alu instid0(VALU_DEP_3) | instskip(NEXT) | instid1(VALU_DEP_3)
	v_pk_add_f32 v[8:9], v[8:9], v[18:19]
	v_mul_f32_e32 v18, v23, v22
	s_delay_alu instid0(VALU_DEP_2) | instskip(SKIP_1) | instid1(VALU_DEP_2)
	v_pk_add_f32 v[8:9], v[8:9], v[20:21]
	s_wait_dscnt 0x0
	v_mul_f32_e32 v23, v18, v26
	s_delay_alu instid0(VALU_DEP_1)
	v_pk_add_f32 v[8:9], v[8:9], v[22:23]
	s_cbranch_vccz .LBB112_10
.LBB112_7:                              ; =>This Inner Loop Header: Depth=1
	v_dual_mov_b32 v18, 0 :: v_dual_mov_b32 v19, 0
	s_and_saveexec_b32 s24, s2
	s_cbranch_execz .LBB112_6
; %bb.8:                                ;   in Loop: Header=BB112_7 Depth=1
	v_dual_mov_b32 v19, 0 :: v_dual_mov_b32 v18, 0
	s_mov_b32 s25, exec_lo
	v_cmpx_gt_i64_e64 s[12:13], v[2:3]
	s_cbranch_execz .LBB112_5
; %bb.9:                                ;   in Loop: Header=BB112_7 Depth=1
	v_add_nc_u64_e32 v[20:21], s[8:9], v[4:5]
	v_add_nc_u64_e32 v[22:23], s[10:11], v[4:5]
	global_load_b32 v19, v[20:21], off
	global_load_b32 v18, v[22:23], off
	s_branch .LBB112_5
.LBB112_10:
	v_mov_b32_e32 v1, v11
.LBB112_11:
	s_load_b128 s[4:7], s[0:1], 0x30
	s_delay_alu instid0(VALU_DEP_1) | instskip(SKIP_3) | instid1(VALU_DEP_2)
	v_mad_u32_u24 v0, v1, 33, v10
	v_lshrrev_b32_e32 v2, 5, v10
	s_wait_xcnt 0x0
	s_mov_b32 s0, exec_lo
	v_lshl_add_u32 v3, v0, 2, 0
	s_delay_alu instid0(VALU_DEP_2)
	v_add_nc_u32_e32 v0, v2, v1
	ds_store_b32 v3, v9
	ds_store_b32 v3, v8 offset:2112
	s_wait_dscnt 0x0
	s_barrier_signal -1
	s_barrier_wait -1
	v_cmpx_gt_u32_e32 32, v0
	s_cbranch_execz .LBB112_27
; %bb.12:
	v_and_b32_e32 v1, 31, v10
                                        ; implicit-def: $vgpr2
	s_delay_alu instid0(VALU_DEP_1)
	v_cmp_gt_u32_e64 s0, 16, v1
	v_mul_u32_u24_e32 v6, 33, v1
	s_and_saveexec_b32 s1, s0
	s_cbranch_execz .LBB112_14
; %bb.13:
	s_delay_alu instid0(VALU_DEP_1) | instskip(NEXT) | instid1(VALU_DEP_1)
	v_add_nc_u32_e32 v1, v0, v6
	v_lshl_add_u32 v1, v1, 2, 0
	ds_load_b32 v3, v1
	ds_load_b32 v2, v1 offset:2112
.LBB112_14:
	s_or_b32 exec_lo, exec_lo, s1
	v_mbcnt_lo_u32_b32 v1, -1, 0
	s_bfe_u32 s1, ttmp6, 0x4000c
	s_and_b32 s2, ttmp6, 15
	s_add_co_i32 s1, s1, 1
	s_delay_alu instid0(SALU_CYCLE_1)
	s_mul_i32 s1, ttmp9, s1
	v_xor_b32_e32 v11, 1, v1
	v_xor_b32_e32 v8, 4, v1
	;; [unrolled: 1-line block ×3, first 2 shown]
	s_add_co_i32 s2, s2, s1
	s_cmp_eq_u32 s3, 0
	s_mov_b32 s3, 0
	s_cselect_b32 s2, ttmp9, s2
	v_cmp_gt_i32_e32 vcc_lo, 32, v4
	s_lshl_b64 s[2:3], s[2:3], 5
	v_xor_b32_e32 v9, 2, v1
	s_wait_kmcnt 0x0
	s_cmp_lg_u64 s[4:5], 0
	v_cmp_eq_u32_e64 s1, 0, v10
	v_cndmask_b32_e32 v4, v1, v4, vcc_lo
	v_cmp_gt_i32_e32 vcc_lo, 32, v8
	s_cselect_b32 s9, -1, 0
	s_cmp_lg_u64 s[6:7], 0
	s_cselect_b32 s8, -1, 0
	v_cndmask_b32_e32 v8, v1, v8, vcc_lo
	v_cmp_gt_i32_e32 vcc_lo, 32, v9
	v_dual_lshlrev_b32 v7, 2, v4 :: v_dual_cndmask_b32 v9, v1, v9, vcc_lo
	s_wait_dscnt 0x1
	ds_bpermute_b32 v5, v7, v3
	s_wait_dscnt 0x1
	ds_bpermute_b32 v4, v7, v2
	v_lshlrev_b32_e32 v8, 2, v8
	v_cmp_gt_i32_e32 vcc_lo, 32, v11
	v_dual_lshlrev_b32 v9, 2, v9 :: v_dual_cndmask_b32 v1, v1, v11, vcc_lo
	s_delay_alu instid0(VALU_DEP_1)
	v_dual_lshlrev_b32 v11, 2, v1 :: v_dual_mov_b32 v1, 0
	s_wait_dscnt 0x0
	v_pk_add_f32 v[2:3], v[2:3], v[4:5]
	ds_bpermute_b32 v5, v8, v3
	ds_bpermute_b32 v4, v8, v2
	s_wait_dscnt 0x0
	v_pk_add_f32 v[2:3], v[2:3], v[4:5]
	ds_bpermute_b32 v5, v9, v3
	ds_bpermute_b32 v4, v9, v2
	;; [unrolled: 4-line block ×3, first 2 shown]
	s_wait_dscnt 0x0
	v_pk_add_f32 v[2:3], v[2:3], v[4:5]
	s_and_saveexec_b32 s10, s1
	s_cbranch_execz .LBB112_19
; %bb.15:
	v_dual_mov_b32 v5, s3 :: v_dual_bitop2_b32 v4, s2, v0 bitop3:0x54
	s_and_not1_b32 vcc_lo, exec_lo, s9
	s_cbranch_vccnz .LBB112_17
; %bb.16:
	v_bfe_u32 v10, v3, 16, 1
	v_cmp_o_f32_e32 vcc_lo, v3, v3
	v_lshl_add_u64 v[12:13], v[4:5], 1, s[4:5]
	s_delay_alu instid0(VALU_DEP_3) | instskip(NEXT) | instid1(VALU_DEP_1)
	v_add3_u32 v10, v3, v10, 0x7fff
	v_lshrrev_b32_e32 v10, 16, v10
	s_delay_alu instid0(VALU_DEP_1)
	v_cndmask_b32_e32 v10, 0x7fc0, v10, vcc_lo
	global_store_b16 v[12:13], v10, off
.LBB112_17:
	s_and_not1_b32 vcc_lo, exec_lo, s8
	s_cbranch_vccnz .LBB112_19
; %bb.18:
	s_wait_xcnt 0x0
	v_bfe_u32 v10, v2, 16, 1
	v_cmp_o_f32_e32 vcc_lo, v2, v2
	v_lshl_add_u64 v[4:5], v[4:5], 1, s[6:7]
	s_delay_alu instid0(VALU_DEP_3) | instskip(NEXT) | instid1(VALU_DEP_1)
	v_add3_u32 v10, v2, v10, 0x7fff
	v_lshrrev_b32_e32 v10, 16, v10
	s_delay_alu instid0(VALU_DEP_1)
	v_cndmask_b32_e32 v10, 0x7fc0, v10, vcc_lo
	global_store_b16 v[4:5], v10, off
.LBB112_19:
	s_wait_xcnt 0x0
	s_or_b32 exec_lo, exec_lo, s10
	v_cmp_gt_u32_e32 vcc_lo, 16, v0
	s_and_b32 exec_lo, exec_lo, vcc_lo
	s_cbranch_execz .LBB112_27
; %bb.20:
	s_and_saveexec_b32 s10, s0
	s_cbranch_execz .LBB112_22
; %bb.21:
	v_add_nc_u32_e32 v2, v0, v6
	s_delay_alu instid0(VALU_DEP_1)
	v_lshl_add_u32 v2, v2, 2, 0
	ds_load_b32 v3, v2 offset:64
	ds_load_b32 v2, v2 offset:2176
.LBB112_22:
	s_or_b32 exec_lo, exec_lo, s10
	s_wait_dscnt 0x1
	ds_bpermute_b32 v4, v7, v3
	s_wait_dscnt 0x1
	ds_bpermute_b32 v5, v7, v2
	s_wait_dscnt 0x0
	v_dual_add_f32 v3, v3, v4 :: v_dual_add_f32 v2, v2, v5
	ds_bpermute_b32 v4, v8, v3
	ds_bpermute_b32 v5, v8, v2
	s_wait_dscnt 0x0
	v_dual_add_f32 v3, v3, v4 :: v_dual_add_f32 v2, v2, v5
	ds_bpermute_b32 v4, v9, v3
	;; [unrolled: 4-line block ×3, first 2 shown]
	ds_bpermute_b32 v3, v11, v2
	s_and_b32 exec_lo, exec_lo, s1
	s_cbranch_execz .LBB112_27
; %bb.23:
	v_add_nc_u64_e32 v[0:1], s[2:3], v[0:1]
	s_and_not1_b32 vcc_lo, exec_lo, s9
	s_cbranch_vccnz .LBB112_25
; %bb.24:
	s_wait_dscnt 0x1
	v_add_f32_e32 v4, v4, v5
	s_delay_alu instid0(VALU_DEP_1) | instskip(NEXT) | instid1(VALU_DEP_1)
	v_bfe_u32 v5, v4, 16, 1
	v_add3_u32 v5, v4, v5, 0x7fff
	s_delay_alu instid0(VALU_DEP_1) | instskip(SKIP_1) | instid1(VALU_DEP_2)
	v_lshrrev_b32_e32 v5, 16, v5
	v_cmp_o_f32_e32 vcc_lo, v4, v4
	v_cndmask_b32_e32 v6, 0x7fc0, v5, vcc_lo
	v_lshl_add_u64 v[4:5], v[0:1], 1, s[4:5]
	global_store_b16 v[4:5], v6, off offset:32
.LBB112_25:
	s_and_not1_b32 vcc_lo, exec_lo, s8
	s_cbranch_vccnz .LBB112_27
; %bb.26:
	s_wait_dscnt 0x0
	v_add_f32_e32 v2, v2, v3
	v_lshl_add_u64 v[0:1], v[0:1], 1, s[6:7]
	s_delay_alu instid0(VALU_DEP_2) | instskip(NEXT) | instid1(VALU_DEP_1)
	v_bfe_u32 v3, v2, 16, 1
	v_add3_u32 v3, v2, v3, 0x7fff
	s_delay_alu instid0(VALU_DEP_1) | instskip(SKIP_1) | instid1(VALU_DEP_2)
	v_lshrrev_b32_e32 v3, 16, v3
	v_cmp_o_f32_e32 vcc_lo, v2, v2
	v_cndmask_b32_e32 v2, 0x7fc0, v3, vcc_lo
	global_store_b16 v[0:1], v2, off offset:32
.LBB112_27:
	s_endpgm
	.section	.rodata,"a",@progbits
	.p2align	6, 0x0
	.amdhsa_kernel _ZN2at6native12_GLOBAL__N_135GammaBetaBackwardCUDAKernelTemplateIN3c108BFloat16EfLj32ELj16ELj128ELb0ELb1ELb0EEEvllPKT_S7_PKT0_SA_PS5_SB_
		.amdhsa_group_segment_fixed_size 0
		.amdhsa_private_segment_fixed_size 0
		.amdhsa_kernarg_size 320
		.amdhsa_user_sgpr_count 2
		.amdhsa_user_sgpr_dispatch_ptr 0
		.amdhsa_user_sgpr_queue_ptr 0
		.amdhsa_user_sgpr_kernarg_segment_ptr 1
		.amdhsa_user_sgpr_dispatch_id 0
		.amdhsa_user_sgpr_kernarg_preload_length 0
		.amdhsa_user_sgpr_kernarg_preload_offset 0
		.amdhsa_user_sgpr_private_segment_size 0
		.amdhsa_wavefront_size32 1
		.amdhsa_uses_dynamic_stack 0
		.amdhsa_enable_private_segment 0
		.amdhsa_system_sgpr_workgroup_id_x 1
		.amdhsa_system_sgpr_workgroup_id_y 1
		.amdhsa_system_sgpr_workgroup_id_z 0
		.amdhsa_system_sgpr_workgroup_info 0
		.amdhsa_system_vgpr_workitem_id 1
		.amdhsa_next_free_vgpr 49
		.amdhsa_next_free_sgpr 26
		.amdhsa_named_barrier_count 0
		.amdhsa_reserve_vcc 1
		.amdhsa_float_round_mode_32 0
		.amdhsa_float_round_mode_16_64 0
		.amdhsa_float_denorm_mode_32 3
		.amdhsa_float_denorm_mode_16_64 3
		.amdhsa_fp16_overflow 0
		.amdhsa_memory_ordered 1
		.amdhsa_forward_progress 1
		.amdhsa_inst_pref_size 18
		.amdhsa_round_robin_scheduling 0
		.amdhsa_exception_fp_ieee_invalid_op 0
		.amdhsa_exception_fp_denorm_src 0
		.amdhsa_exception_fp_ieee_div_zero 0
		.amdhsa_exception_fp_ieee_overflow 0
		.amdhsa_exception_fp_ieee_underflow 0
		.amdhsa_exception_fp_ieee_inexact 0
		.amdhsa_exception_int_div_zero 0
	.end_amdhsa_kernel
	.section	.text._ZN2at6native12_GLOBAL__N_135GammaBetaBackwardCUDAKernelTemplateIN3c108BFloat16EfLj32ELj16ELj128ELb0ELb1ELb0EEEvllPKT_S7_PKT0_SA_PS5_SB_,"axG",@progbits,_ZN2at6native12_GLOBAL__N_135GammaBetaBackwardCUDAKernelTemplateIN3c108BFloat16EfLj32ELj16ELj128ELb0ELb1ELb0EEEvllPKT_S7_PKT0_SA_PS5_SB_,comdat
.Lfunc_end112:
	.size	_ZN2at6native12_GLOBAL__N_135GammaBetaBackwardCUDAKernelTemplateIN3c108BFloat16EfLj32ELj16ELj128ELb0ELb1ELb0EEEvllPKT_S7_PKT0_SA_PS5_SB_, .Lfunc_end112-_ZN2at6native12_GLOBAL__N_135GammaBetaBackwardCUDAKernelTemplateIN3c108BFloat16EfLj32ELj16ELj128ELb0ELb1ELb0EEEvllPKT_S7_PKT0_SA_PS5_SB_
                                        ; -- End function
	.set _ZN2at6native12_GLOBAL__N_135GammaBetaBackwardCUDAKernelTemplateIN3c108BFloat16EfLj32ELj16ELj128ELb0ELb1ELb0EEEvllPKT_S7_PKT0_SA_PS5_SB_.num_vgpr, 49
	.set _ZN2at6native12_GLOBAL__N_135GammaBetaBackwardCUDAKernelTemplateIN3c108BFloat16EfLj32ELj16ELj128ELb0ELb1ELb0EEEvllPKT_S7_PKT0_SA_PS5_SB_.num_agpr, 0
	.set _ZN2at6native12_GLOBAL__N_135GammaBetaBackwardCUDAKernelTemplateIN3c108BFloat16EfLj32ELj16ELj128ELb0ELb1ELb0EEEvllPKT_S7_PKT0_SA_PS5_SB_.numbered_sgpr, 26
	.set _ZN2at6native12_GLOBAL__N_135GammaBetaBackwardCUDAKernelTemplateIN3c108BFloat16EfLj32ELj16ELj128ELb0ELb1ELb0EEEvllPKT_S7_PKT0_SA_PS5_SB_.num_named_barrier, 0
	.set _ZN2at6native12_GLOBAL__N_135GammaBetaBackwardCUDAKernelTemplateIN3c108BFloat16EfLj32ELj16ELj128ELb0ELb1ELb0EEEvllPKT_S7_PKT0_SA_PS5_SB_.private_seg_size, 0
	.set _ZN2at6native12_GLOBAL__N_135GammaBetaBackwardCUDAKernelTemplateIN3c108BFloat16EfLj32ELj16ELj128ELb0ELb1ELb0EEEvllPKT_S7_PKT0_SA_PS5_SB_.uses_vcc, 1
	.set _ZN2at6native12_GLOBAL__N_135GammaBetaBackwardCUDAKernelTemplateIN3c108BFloat16EfLj32ELj16ELj128ELb0ELb1ELb0EEEvllPKT_S7_PKT0_SA_PS5_SB_.uses_flat_scratch, 0
	.set _ZN2at6native12_GLOBAL__N_135GammaBetaBackwardCUDAKernelTemplateIN3c108BFloat16EfLj32ELj16ELj128ELb0ELb1ELb0EEEvllPKT_S7_PKT0_SA_PS5_SB_.has_dyn_sized_stack, 0
	.set _ZN2at6native12_GLOBAL__N_135GammaBetaBackwardCUDAKernelTemplateIN3c108BFloat16EfLj32ELj16ELj128ELb0ELb1ELb0EEEvllPKT_S7_PKT0_SA_PS5_SB_.has_recursion, 0
	.set _ZN2at6native12_GLOBAL__N_135GammaBetaBackwardCUDAKernelTemplateIN3c108BFloat16EfLj32ELj16ELj128ELb0ELb1ELb0EEEvllPKT_S7_PKT0_SA_PS5_SB_.has_indirect_call, 0
	.section	.AMDGPU.csdata,"",@progbits
; Kernel info:
; codeLenInByte = 2256
; TotalNumSgprs: 28
; NumVgprs: 49
; ScratchSize: 0
; MemoryBound: 0
; FloatMode: 240
; IeeeMode: 1
; LDSByteSize: 0 bytes/workgroup (compile time only)
; SGPRBlocks: 0
; VGPRBlocks: 3
; NumSGPRsForWavesPerEU: 28
; NumVGPRsForWavesPerEU: 49
; NamedBarCnt: 0
; Occupancy: 16
; WaveLimiterHint : 0
; COMPUTE_PGM_RSRC2:SCRATCH_EN: 0
; COMPUTE_PGM_RSRC2:USER_SGPR: 2
; COMPUTE_PGM_RSRC2:TRAP_HANDLER: 0
; COMPUTE_PGM_RSRC2:TGID_X_EN: 1
; COMPUTE_PGM_RSRC2:TGID_Y_EN: 1
; COMPUTE_PGM_RSRC2:TGID_Z_EN: 0
; COMPUTE_PGM_RSRC2:TIDIG_COMP_CNT: 1
	.section	.text._ZN2at6native12_GLOBAL__N_135GammaBetaBackwardCUDAKernelTemplateIN3c108BFloat16EfLj32ELj16ELj128ELb0ELb0ELb0EEEvllPKT_S7_PKT0_SA_PS5_SB_,"axG",@progbits,_ZN2at6native12_GLOBAL__N_135GammaBetaBackwardCUDAKernelTemplateIN3c108BFloat16EfLj32ELj16ELj128ELb0ELb0ELb0EEEvllPKT_S7_PKT0_SA_PS5_SB_,comdat
	.globl	_ZN2at6native12_GLOBAL__N_135GammaBetaBackwardCUDAKernelTemplateIN3c108BFloat16EfLj32ELj16ELj128ELb0ELb0ELb0EEEvllPKT_S7_PKT0_SA_PS5_SB_ ; -- Begin function _ZN2at6native12_GLOBAL__N_135GammaBetaBackwardCUDAKernelTemplateIN3c108BFloat16EfLj32ELj16ELj128ELb0ELb0ELb0EEEvllPKT_S7_PKT0_SA_PS5_SB_
	.p2align	8
	.type	_ZN2at6native12_GLOBAL__N_135GammaBetaBackwardCUDAKernelTemplateIN3c108BFloat16EfLj32ELj16ELj128ELb0ELb0ELb0EEEvllPKT_S7_PKT0_SA_PS5_SB_,@function
_ZN2at6native12_GLOBAL__N_135GammaBetaBackwardCUDAKernelTemplateIN3c108BFloat16EfLj32ELj16ELj128ELb0ELb0ELb0EEEvllPKT_S7_PKT0_SA_PS5_SB_: ; @_ZN2at6native12_GLOBAL__N_135GammaBetaBackwardCUDAKernelTemplateIN3c108BFloat16EfLj32ELj16ELj128ELb0ELb0ELb0EEEvllPKT_S7_PKT0_SA_PS5_SB_
; %bb.0:
	s_load_b256 s[4:11], s[0:1], 0x0
	s_bfe_u32 s3, ttmp6, 0x4000c
	s_bfe_u32 s12, ttmp6, 0x40010
	s_add_co_i32 s3, s3, 1
	s_add_co_i32 s12, s12, 1
	s_and_b32 s2, ttmp6, 15
	s_bfe_u32 s13, ttmp6, 0x40004
	s_mul_i32 s3, ttmp9, s3
	s_mul_i32 s12, ttmp7, s12
	s_getreg_b32 s14, hwreg(HW_REG_IB_STS2, 6, 4)
	s_add_co_i32 s2, s2, s3
	s_add_co_i32 s3, s13, s12
	s_cmp_eq_u32 s14, 0
	s_mov_b32 s19, 0
	s_cselect_b32 s16, ttmp9, s2
	s_cselect_b32 s2, ttmp7, s3
	s_lshl_b32 s3, s16, 5
	s_load_b128 s[12:15], s[0:1], 0x20
	s_or_b32 s18, s3, 31
	s_wait_kmcnt 0x0
	v_cmp_le_i64_e64 s20, s[6:7], s[18:19]
	s_lshl_b32 s18, s2, 7
	s_delay_alu instid0(SALU_CYCLE_1) | instskip(SKIP_2) | instid1(VALU_DEP_1)
	v_cmp_gt_i64_e64 s17, s[4:5], s[18:19]
	s_and_b32 vcc_lo, exec_lo, s20
	v_cndmask_b32_e64 v1, 0, 1, s17
	v_cmp_ne_u32_e64 s2, 1, v1
	s_cbranch_vccz .LBB113_48
; %bb.1:
	v_mov_b32_e32 v33, 0
	s_and_b32 vcc_lo, exec_lo, s2
	s_delay_alu instid0(VALU_DEP_1)
	v_mov_b32_e32 v32, v33
	s_cbranch_vccnz .LBB113_49
; %bb.2:
	v_bfe_u32 v1, v0, 10, 10
	v_mov_b32_e32 v2, 0
	v_and_b32_e32 v62, 0x3ff, v0
	s_load_b32 s20, s[0:1], 0x44
	s_mov_b32 s21, 0
	s_delay_alu instid0(VALU_DEP_2) | instskip(NEXT) | instid1(VALU_DEP_2)
	v_dual_mov_b32 v21, v2 :: v_dual_lshlrev_b32 v20, 3, v1
	v_dual_mov_b32 v19, v2 :: v_dual_add_nc_u32 v18, s3, v62
	v_mov_b32_e32 v32, 0
	s_mov_b32 s37, s21
	s_delay_alu instid0(VALU_DEP_3)
	v_add_nc_u64_e32 v[4:5], s[18:19], v[20:21]
	v_mov_b32_e32 v33, v2
	v_cmp_gt_i64_e64 s2, s[6:7], v[18:19]
	v_lshlrev_b64_e32 v[22:23], 1, v[18:19]
	s_add_nc_u64 s[22:23], s[0:1], 64
	s_mov_b64 s[24:25], 0xffffffffffffff81
	s_mov_b64 s[26:27], 0xffffffffffffff82
	v_mul_u64_e32 v[6:7], s[6:7], v[4:5]
	v_add_nc_u64_e32 v[8:9], 7, v[4:5]
	v_add_nc_u64_e32 v[10:11], 6, v[4:5]
	;; [unrolled: 1-line block ×6, first 2 shown]
	s_wait_kmcnt 0x0
	s_lshl_b32 s36, s20, 7
	v_mul_u64_e32 v[8:9], s[6:7], v[8:9]
	v_mul_u64_e32 v[10:11], s[6:7], v[10:11]
	;; [unrolled: 1-line block ×6, first 2 shown]
	s_mul_u64 s[44:45], s[6:7], s[36:37]
	s_mov_b64 s[28:29], 0xffffffffffffff83
	s_mov_b64 s[30:31], 0xffffffffffffff84
	;; [unrolled: 1-line block ×6, first 2 shown]
	s_lshl_b64 s[44:45], s[44:45], 1
	s_add_nc_u64 s[46:47], s[18:19], 0x7f
	s_mov_b64 s[48:49], s[18:19]
	v_lshlrev_b64_e32 v[26:27], 1, v[6:7]
	v_add_nc_u64_e32 v[6:7], s[6:7], v[6:7]
	s_delay_alu instid0(VALU_DEP_2)
	v_add_nc_u64_e32 v[24:25], s[8:9], v[26:27]
	v_lshlrev_b64_e32 v[8:9], 1, v[8:9]
	v_lshlrev_b64_e32 v[10:11], 1, v[10:11]
	v_lshlrev_b64_e32 v[12:13], 1, v[12:13]
	v_lshlrev_b64_e32 v[14:15], 1, v[14:15]
	v_lshlrev_b64_e32 v[16:17], 1, v[16:17]
	v_lshlrev_b64_e32 v[4:5], 1, v[4:5]
	v_lshlrev_b64_e32 v[6:7], 1, v[6:7]
	v_add_nc_u64_e32 v[26:27], s[10:11], v[26:27]
	v_add_nc_u64_e32 v[28:29], s[8:9], v[8:9]
	;; [unrolled: 1-line block ×15, first 2 shown]
	s_branch .LBB113_5
.LBB113_3:                              ;   in Loop: Header=BB113_5 Depth=1
	s_or_b32 exec_lo, exec_lo, s20
	s_wait_loadcnt 0x1
	ds_bpermute_b32 v3, v2, v60
	ds_bpermute_b32 v59, v2, v60 offset:4
	ds_bpermute_b32 v63, v2, v60 offset:8
	s_wait_loadcnt 0x0
	ds_bpermute_b32 v64, v2, v61
	ds_bpermute_b32 v65, v2, v60 offset:12
	ds_bpermute_b32 v66, v2, v61 offset:4
	;; [unrolled: 1-line block ×9, first 2 shown]
	s_wait_dscnt 0xc
	v_dual_mov_b32 v58, v5 :: v_dual_sub_f32 v3, v12, v3
	s_wait_dscnt 0xb
	v_dual_mov_b32 v12, v4 :: v_dual_sub_f32 v13, v13, v59
	s_wait_dscnt 0xa
	v_sub_f32_e32 v59, v14, v63
	v_dual_mul_f32 v3, v4, v3 :: v_dual_mov_b32 v4, v6
	s_delay_alu instid0(VALU_DEP_3) | instskip(SKIP_1) | instid1(VALU_DEP_2)
	v_dual_mul_f32 v5, v5, v13 :: v_dual_mov_b32 v14, v7
	s_wait_dscnt 0x9
	v_dual_mul_f32 v6, v6, v59 :: v_dual_mul_f32 v13, v3, v64
	s_wait_dscnt 0x7
	s_delay_alu instid0(VALU_DEP_2) | instskip(SKIP_1) | instid1(VALU_DEP_2)
	v_dual_sub_f32 v3, v15, v65 :: v_dual_mul_f32 v59, v5, v66
	s_wait_dscnt 0x6
	v_mul_f32_e32 v5, v6, v67
	v_pk_add_f32 v[12:13], v[32:33], v[12:13]
	ds_bpermute_b32 v32, v2, v61 offset:24
	s_wait_dscnt 0x6
	v_dual_sub_f32 v15, v16, v69 :: v_dual_mul_f32 v3, v7, v3
	v_pk_add_f32 v[6:7], v[58:59], v[12:13]
	s_wait_dscnt 0x4
	v_dual_mov_b32 v12, v8 :: v_dual_sub_f32 v13, v17, v72
	s_delay_alu instid0(VALU_DEP_3) | instskip(NEXT) | instid1(VALU_DEP_3)
	v_dual_mul_f32 v8, v8, v15 :: v_dual_mul_f32 v15, v3, v68
	v_pk_add_f32 v[4:5], v[4:5], v[6:7]
	ds_bpermute_b32 v3, v2, v61 offset:28
	s_wait_dscnt 0x3
	v_sub_f32_e32 v16, v18, v73
	v_dual_mul_f32 v17, v9, v13 :: v_dual_mul_f32 v13, v8, v70
	v_pk_add_f32 v[6:7], v[14:15], v[4:5]
	ds_bpermute_b32 v4, v2, v60 offset:28
	v_dual_mov_b32 v8, v9 :: v_dual_mul_f32 v5, v10, v16
	s_wait_dscnt 0x3
	v_mul_f32_e32 v9, v17, v71
	v_pk_add_f32 v[6:7], v[12:13], v[6:7]
	s_wait_dscnt 0x2
	v_dual_mov_b32 v12, v10 :: v_dual_mul_f32 v13, v5, v32
	s_delay_alu instid0(VALU_DEP_2) | instskip(NEXT) | instid1(VALU_DEP_1)
	v_pk_add_f32 v[6:7], v[8:9], v[6:7]
	v_pk_add_f32 v[60:61], v[12:13], v[6:7]
.LBB113_4:                              ;   in Loop: Header=BB113_5 Depth=1
	s_wait_dscnt 0x0
	v_sub_f32_e32 v5, v19, v4
	v_mov_b32_e32 v4, v11
	s_add_nc_u64 s[48:49], s[48:49], s[36:37]
	v_add_nc_u64_e32 v[24:25], s[44:45], v[24:25]
	v_cmp_lt_i64_e64 s20, s[48:49], s[4:5]
	v_mul_f32_e32 v5, v11, v5
	v_add_nc_u64_e32 v[26:27], s[44:45], v[26:27]
	v_add_nc_u64_e32 v[28:29], s[44:45], v[28:29]
	;; [unrolled: 1-line block ×4, first 2 shown]
	v_mul_f32_e32 v5, v5, v3
	v_add_nc_u64_e32 v[36:37], s[44:45], v[36:37]
	v_add_nc_u64_e32 v[38:39], s[44:45], v[38:39]
	;; [unrolled: 1-line block ×11, first 2 shown]
	v_pk_add_f32 v[32:33], v[60:61], v[4:5]
	s_and_b32 vcc_lo, exec_lo, s20
	s_add_nc_u64 s[46:47], s[46:47], s[36:37]
	s_cbranch_vccz .LBB113_49
.LBB113_5:                              ; =>This Inner Loop Header: Depth=1
	v_cmp_ge_i64_e64 s20, s[46:47], s[4:5]
	v_add_nc_u64_e32 v[58:59], s[46:47], v[20:21]
                                        ; implicit-def: $vgpr4_vgpr5_vgpr6_vgpr7_vgpr8_vgpr9_vgpr10_vgpr11
                                        ; implicit-def: $vgpr60_vgpr61
                                        ; implicit-def: $vgpr3
                                        ; implicit-def: $vgpr12_vgpr13_vgpr14_vgpr15_vgpr16_vgpr17_vgpr18_vgpr19
                                        ; implicit-def: $vgpr4
	s_and_b32 vcc_lo, exec_lo, s20
	s_mov_b32 s20, -1
	s_cbranch_vccz .LBB113_27
; %bb.6:                                ;   in Loop: Header=BB113_5 Depth=1
	s_load_b32 s20, s[22:23], 0xc
	v_dual_mov_b32 v60, 0 :: v_dual_mov_b32 v61, 0
	s_wait_kmcnt 0x0
	s_and_b32 s20, s20, 0xffff
	s_delay_alu instid0(SALU_CYCLE_1) | instskip(SKIP_1) | instid1(VALU_DEP_1)
	v_mad_u32_u24 v3, v1, s20, v62
	s_mov_b32 s20, exec_lo
	v_and_b32_e32 v4, 31, v3
	s_delay_alu instid0(VALU_DEP_1)
	v_cmpx_gt_u32_e32 8, v4
	s_cbranch_execz .LBB113_10
; %bb.7:                                ;   in Loop: Header=BB113_5 Depth=1
	v_dual_mov_b32 v5, v2 :: v_dual_mov_b32 v60, 0
	v_mov_b32_e32 v61, 0
	s_mov_b32 s33, exec_lo
	s_delay_alu instid0(VALU_DEP_2) | instskip(NEXT) | instid1(VALU_DEP_1)
	v_add_nc_u64_e32 v[4:5], v[58:59], v[4:5]
	v_add_nc_u64_e32 v[4:5], s[24:25], v[4:5]
	s_delay_alu instid0(VALU_DEP_1)
	v_cmpx_gt_i64_e64 s[4:5], v[4:5]
	s_cbranch_execz .LBB113_9
; %bb.8:                                ;   in Loop: Header=BB113_5 Depth=1
	v_lshlrev_b64_e32 v[4:5], 2, v[4:5]
	s_delay_alu instid0(VALU_DEP_1)
	v_add_nc_u64_e32 v[6:7], s[12:13], v[4:5]
	v_add_nc_u64_e32 v[4:5], s[14:15], v[4:5]
	global_load_b32 v60, v[6:7], off
	global_load_b32 v61, v[4:5], off
.LBB113_9:                              ;   in Loop: Header=BB113_5 Depth=1
	s_wait_xcnt 0x0
	s_or_b32 exec_lo, exec_lo, s33
.LBB113_10:                             ;   in Loop: Header=BB113_5 Depth=1
	s_delay_alu instid0(SALU_CYCLE_1)
	s_or_b32 exec_lo, exec_lo, s20
	v_add_nc_u64_e32 v[10:11], s[24:25], v[58:59]
	v_dual_mov_b32 v7, v2 :: v_dual_mov_b32 v8, v2
	v_dual_mov_b32 v9, v2 :: v_dual_mov_b32 v3, v2
	;; [unrolled: 1-line block ×3, first 2 shown]
	v_mov_b32_e32 v6, v2
	v_cmp_gt_i64_e32 vcc_lo, s[4:5], v[10:11]
	s_delay_alu instid0(VALU_DEP_4)
	v_mov_b64_e32 v[18:19], v[8:9]
	v_mov_b64_e32 v[12:13], v[2:3]
	;; [unrolled: 1-line block ×8, first 2 shown]
	s_and_b32 s33, s2, vcc_lo
	s_delay_alu instid0(SALU_CYCLE_1)
	s_and_saveexec_b32 s20, s33
	s_cbranch_execz .LBB113_12
; %bb.11:                               ;   in Loop: Header=BB113_5 Depth=1
	v_add_nc_u64_e32 v[4:5], v[24:25], v[22:23]
	v_add_nc_u64_e32 v[6:7], v[26:27], v[22:23]
	v_dual_mov_b32 v9, v2 :: v_dual_mov_b32 v10, v2
	v_dual_mov_b32 v11, v2 :: v_dual_mov_b32 v13, v2
	;; [unrolled: 1-line block ×3, first 2 shown]
	global_load_u16 v3, v[4:5], off
	global_load_u16 v12, v[6:7], off
	s_wait_xcnt 0x0
	v_dual_mov_b32 v5, v2 :: v_dual_mov_b32 v6, v2
	v_dual_mov_b32 v7, v2 :: v_dual_mov_b32 v8, v2
	;; [unrolled: 1-line block ×4, first 2 shown]
	s_wait_loadcnt 0x0
	v_dual_lshlrev_b32 v4, 16, v3 :: v_dual_lshlrev_b32 v12, 16, v12
.LBB113_12:                             ;   in Loop: Header=BB113_5 Depth=1
	s_or_b32 exec_lo, exec_lo, s20
	v_add_nc_u64_e32 v[64:65], s[26:27], v[58:59]
	s_delay_alu instid0(VALU_DEP_1) | instskip(SKIP_1) | instid1(SALU_CYCLE_1)
	v_cmp_gt_i64_e32 vcc_lo, s[4:5], v[64:65]
	s_and_b32 s33, s2, vcc_lo
	s_and_saveexec_b32 s20, s33
	s_cbranch_execz .LBB113_14
; %bb.13:                               ;   in Loop: Header=BB113_5 Depth=1
	v_add_nc_u64_e32 v[64:65], v[54:55], v[22:23]
	v_add_nc_u64_e32 v[66:67], v[56:57], v[22:23]
	global_load_u16 v3, v[64:65], off
	global_load_u16 v13, v[66:67], off
	s_wait_loadcnt 0x0
	v_dual_lshlrev_b32 v5, 16, v3 :: v_dual_lshlrev_b32 v13, 16, v13
.LBB113_14:                             ;   in Loop: Header=BB113_5 Depth=1
	s_or_b32 exec_lo, exec_lo, s20
	v_add_nc_u64_e32 v[64:65], s[28:29], v[58:59]
	s_delay_alu instid0(VALU_DEP_1) | instskip(SKIP_1) | instid1(SALU_CYCLE_1)
	v_cmp_gt_i64_e32 vcc_lo, s[4:5], v[64:65]
	s_and_b32 s33, s2, vcc_lo
	s_and_saveexec_b32 s20, s33
	s_cbranch_execz .LBB113_16
; %bb.15:                               ;   in Loop: Header=BB113_5 Depth=1
	v_add_nc_u64_e32 v[64:65], v[50:51], v[22:23]
	v_add_nc_u64_e32 v[66:67], v[52:53], v[22:23]
	global_load_u16 v3, v[64:65], off
	global_load_u16 v14, v[66:67], off
	s_wait_loadcnt 0x0
	v_dual_lshlrev_b32 v6, 16, v3 :: v_dual_lshlrev_b32 v14, 16, v14
.LBB113_16:                             ;   in Loop: Header=BB113_5 Depth=1
	s_or_b32 exec_lo, exec_lo, s20
	v_add_nc_u64_e32 v[64:65], s[30:31], v[58:59]
	s_delay_alu instid0(VALU_DEP_1) | instskip(SKIP_1) | instid1(SALU_CYCLE_1)
	v_cmp_gt_i64_e32 vcc_lo, s[4:5], v[64:65]
	s_and_b32 s33, s2, vcc_lo
	s_and_saveexec_b32 s20, s33
	s_cbranch_execz .LBB113_18
; %bb.17:                               ;   in Loop: Header=BB113_5 Depth=1
	v_add_nc_u64_e32 v[64:65], v[46:47], v[22:23]
	v_add_nc_u64_e32 v[66:67], v[48:49], v[22:23]
	global_load_u16 v3, v[64:65], off
	global_load_u16 v15, v[66:67], off
	s_wait_loadcnt 0x1
	v_lshlrev_b32_e32 v7, 16, v3
	s_wait_loadcnt 0x0
	v_lshlrev_b32_e32 v15, 16, v15
.LBB113_18:                             ;   in Loop: Header=BB113_5 Depth=1
	s_or_b32 exec_lo, exec_lo, s20
	v_add_nc_u64_e32 v[64:65], s[34:35], v[58:59]
	s_delay_alu instid0(VALU_DEP_1) | instskip(SKIP_1) | instid1(SALU_CYCLE_1)
	v_cmp_gt_i64_e32 vcc_lo, s[4:5], v[64:65]
	s_and_b32 s33, s2, vcc_lo
	s_and_saveexec_b32 s20, s33
	s_cbranch_execz .LBB113_20
; %bb.19:                               ;   in Loop: Header=BB113_5 Depth=1
	v_add_nc_u64_e32 v[64:65], v[42:43], v[22:23]
	v_add_nc_u64_e32 v[66:67], v[44:45], v[22:23]
	global_load_u16 v3, v[64:65], off
	global_load_u16 v16, v[66:67], off
	s_wait_loadcnt 0x0
	v_dual_lshlrev_b32 v8, 16, v3 :: v_dual_lshlrev_b32 v16, 16, v16
.LBB113_20:                             ;   in Loop: Header=BB113_5 Depth=1
	s_or_b32 exec_lo, exec_lo, s20
	v_add_nc_u64_e32 v[64:65], s[38:39], v[58:59]
	s_delay_alu instid0(VALU_DEP_1) | instskip(SKIP_1) | instid1(SALU_CYCLE_1)
	v_cmp_gt_i64_e32 vcc_lo, s[4:5], v[64:65]
	s_and_b32 s33, s2, vcc_lo
	s_and_saveexec_b32 s20, s33
	s_cbranch_execz .LBB113_22
; %bb.21:                               ;   in Loop: Header=BB113_5 Depth=1
	v_add_nc_u64_e32 v[64:65], v[38:39], v[22:23]
	v_add_nc_u64_e32 v[66:67], v[40:41], v[22:23]
	global_load_u16 v3, v[64:65], off
	global_load_u16 v17, v[66:67], off
	s_wait_loadcnt 0x0
	v_dual_lshlrev_b32 v9, 16, v3 :: v_dual_lshlrev_b32 v17, 16, v17
.LBB113_22:                             ;   in Loop: Header=BB113_5 Depth=1
	;; [unrolled: 15-line block ×3, first 2 shown]
	s_or_b32 exec_lo, exec_lo, s20
	v_add_nc_u64_e32 v[64:65], s[42:43], v[58:59]
	s_delay_alu instid0(VALU_DEP_1) | instskip(SKIP_1) | instid1(SALU_CYCLE_1)
	v_cmp_gt_i64_e32 vcc_lo, s[4:5], v[64:65]
	s_and_b32 s33, s2, vcc_lo
	s_and_saveexec_b32 s20, s33
	s_cbranch_execz .LBB113_26
; %bb.25:                               ;   in Loop: Header=BB113_5 Depth=1
	v_add_nc_u64_e32 v[64:65], v[28:29], v[22:23]
	v_add_nc_u64_e32 v[66:67], v[30:31], v[22:23]
	global_load_u16 v3, v[64:65], off
	global_load_u16 v19, v[66:67], off
	s_wait_loadcnt 0x1
	v_lshlrev_b32_e32 v11, 16, v3
	s_wait_loadcnt 0x0
	v_lshlrev_b32_e32 v19, 16, v19
.LBB113_26:                             ;   in Loop: Header=BB113_5 Depth=1
	s_or_b32 exec_lo, exec_lo, s20
	s_wait_loadcnt 0x1
	ds_bpermute_b32 v3, v2, v60
	ds_bpermute_b32 v63, v2, v60 offset:4
	ds_bpermute_b32 v65, v2, v60 offset:8
	s_wait_loadcnt 0x0
	ds_bpermute_b32 v66, v2, v61
	ds_bpermute_b32 v67, v2, v60 offset:12
	ds_bpermute_b32 v68, v2, v61 offset:4
	;; [unrolled: 1-line block ×8, first 2 shown]
	s_mov_b32 s20, 0
	s_wait_dscnt 0xb
	v_dual_mov_b32 v64, v5 :: v_dual_sub_f32 v3, v12, v3
	s_wait_dscnt 0xa
	v_dual_mov_b32 v12, v4 :: v_dual_sub_f32 v13, v13, v63
	ds_bpermute_b32 v63, v2, v60 offset:24
	v_dual_mul_f32 v3, v4, v3 :: v_dual_mov_b32 v4, v6
	s_wait_dscnt 0xa
	v_sub_f32_e32 v65, v14, v65
	v_dual_mul_f32 v5, v5, v13 :: v_dual_mov_b32 v14, v7
	s_wait_dscnt 0x9
	v_mul_f32_e32 v13, v3, v66
	s_wait_dscnt 0x8
	v_dual_sub_f32 v3, v15, v67 :: v_dual_mul_f32 v6, v6, v65
	s_wait_dscnt 0x5
	v_dual_mul_f32 v65, v5, v68 :: v_dual_sub_f32 v15, v16, v71
	v_pk_add_f32 v[12:13], v[32:33], v[12:13]
	ds_bpermute_b32 v66, v2, v61 offset:24
	v_dual_mul_f32 v3, v7, v3 :: v_dual_mul_f32 v5, v6, v69
	v_pk_add_f32 v[6:7], v[64:65], v[12:13]
	s_wait_dscnt 0x4
	v_dual_mov_b32 v12, v8 :: v_dual_sub_f32 v13, v17, v74
	s_delay_alu instid0(VALU_DEP_3) | instskip(NEXT) | instid1(VALU_DEP_3)
	v_dual_mul_f32 v8, v8, v15 :: v_dual_mul_f32 v15, v3, v70
	v_pk_add_f32 v[4:5], v[4:5], v[6:7]
	ds_bpermute_b32 v3, v2, v61 offset:28
	s_wait_dscnt 0x2
	v_dual_sub_f32 v16, v18, v63 :: v_dual_mul_f32 v17, v9, v13
	v_dual_mul_f32 v13, v8, v72 :: v_dual_mov_b32 v8, v9
	v_pk_add_f32 v[6:7], v[14:15], v[4:5]
	ds_bpermute_b32 v4, v2, v60 offset:28
	v_dual_mul_f32 v5, v10, v16 :: v_dual_mul_f32 v9, v17, v73
	v_pk_add_f32 v[6:7], v[12:13], v[6:7]
	s_wait_dscnt 0x2
	s_delay_alu instid0(VALU_DEP_2) | instskip(NEXT) | instid1(VALU_DEP_2)
	v_dual_mov_b32 v12, v10 :: v_dual_mul_f32 v13, v5, v66
	v_pk_add_f32 v[6:7], v[8:9], v[6:7]
	s_delay_alu instid0(VALU_DEP_1)
	v_pk_add_f32 v[60:61], v[12:13], v[6:7]
.LBB113_27:                             ;   in Loop: Header=BB113_5 Depth=1
	s_and_b32 vcc_lo, exec_lo, s20
	s_cbranch_vccz .LBB113_4
; %bb.28:                               ;   in Loop: Header=BB113_5 Depth=1
	s_load_b32 s20, s[22:23], 0x0
	v_dual_mov_b32 v60, 0 :: v_dual_mov_b32 v61, 0
	s_wait_kmcnt 0x0
	s_cmp_lt_u32 s16, s20
	s_cselect_b32 s20, 12, 18
	s_delay_alu instid0(SALU_CYCLE_1)
	s_add_nc_u64 s[50:51], s[22:23], s[20:21]
	s_load_u16 s20, s[50:51], 0x0
	s_wait_dscnt 0x1
	s_wait_kmcnt 0x0
	v_mad_u32_u24 v3, v1, s20, v62
	s_mov_b32 s20, exec_lo
	s_wait_dscnt 0x0
	s_delay_alu instid0(VALU_DEP_1) | instskip(NEXT) | instid1(VALU_DEP_1)
	v_and_b32_e32 v4, 31, v3
	v_cmpx_gt_u32_e32 8, v4
	s_cbranch_execz .LBB113_32
; %bb.29:                               ;   in Loop: Header=BB113_5 Depth=1
	v_dual_mov_b32 v5, v2 :: v_dual_mov_b32 v60, 0
	v_mov_b32_e32 v61, 0
	s_mov_b32 s33, exec_lo
	s_delay_alu instid0(VALU_DEP_2) | instskip(NEXT) | instid1(VALU_DEP_1)
	v_add_nc_u64_e32 v[4:5], v[58:59], v[4:5]
	v_add_nc_u64_e32 v[4:5], s[24:25], v[4:5]
	s_delay_alu instid0(VALU_DEP_1)
	v_cmpx_gt_i64_e64 s[4:5], v[4:5]
	s_cbranch_execz .LBB113_31
; %bb.30:                               ;   in Loop: Header=BB113_5 Depth=1
	v_lshlrev_b64_e32 v[4:5], 2, v[4:5]
	s_delay_alu instid0(VALU_DEP_1)
	v_add_nc_u64_e32 v[6:7], s[12:13], v[4:5]
	v_add_nc_u64_e32 v[4:5], s[14:15], v[4:5]
	global_load_b32 v60, v[6:7], off
	global_load_b32 v61, v[4:5], off
.LBB113_31:                             ;   in Loop: Header=BB113_5 Depth=1
	s_wait_xcnt 0x0
	s_or_b32 exec_lo, exec_lo, s33
.LBB113_32:                             ;   in Loop: Header=BB113_5 Depth=1
	s_delay_alu instid0(SALU_CYCLE_1) | instskip(SKIP_4) | instid1(VALU_DEP_3)
	s_or_b32 exec_lo, exec_lo, s20
	v_dual_mov_b32 v7, v2 :: v_dual_mov_b32 v8, v2
	v_dual_mov_b32 v9, v2 :: v_dual_mov_b32 v3, v2
	;; [unrolled: 1-line block ×3, first 2 shown]
	v_mov_b32_e32 v6, v2
	v_mov_b64_e32 v[18:19], v[8:9]
	s_delay_alu instid0(VALU_DEP_4) | instskip(NEXT) | instid1(VALU_DEP_4)
	v_mov_b64_e32 v[12:13], v[2:3]
	v_mov_b64_e32 v[14:15], v[4:5]
	s_delay_alu instid0(VALU_DEP_4)
	v_mov_b64_e32 v[16:17], v[6:7]
	v_mov_b64_e32 v[10:11], v[8:9]
	;; [unrolled: 1-line block ×5, first 2 shown]
	s_and_saveexec_b32 s20, s2
	s_cbranch_execnz .LBB113_40
; %bb.33:                               ;   in Loop: Header=BB113_5 Depth=1
	s_or_b32 exec_lo, exec_lo, s20
	s_and_saveexec_b32 s20, s2
	s_cbranch_execnz .LBB113_41
.LBB113_34:                             ;   in Loop: Header=BB113_5 Depth=1
	s_or_b32 exec_lo, exec_lo, s20
	s_and_saveexec_b32 s20, s2
	s_cbranch_execnz .LBB113_42
.LBB113_35:                             ;   in Loop: Header=BB113_5 Depth=1
	s_or_b32 exec_lo, exec_lo, s20
	s_and_saveexec_b32 s20, s2
	s_cbranch_execnz .LBB113_43
.LBB113_36:                             ;   in Loop: Header=BB113_5 Depth=1
	s_or_b32 exec_lo, exec_lo, s20
	s_and_saveexec_b32 s20, s2
	s_cbranch_execnz .LBB113_44
.LBB113_37:                             ;   in Loop: Header=BB113_5 Depth=1
	s_or_b32 exec_lo, exec_lo, s20
	s_and_saveexec_b32 s20, s2
	s_cbranch_execnz .LBB113_45
.LBB113_38:                             ;   in Loop: Header=BB113_5 Depth=1
	s_or_b32 exec_lo, exec_lo, s20
	s_and_saveexec_b32 s20, s2
	s_cbranch_execnz .LBB113_46
.LBB113_39:                             ;   in Loop: Header=BB113_5 Depth=1
	s_or_b32 exec_lo, exec_lo, s20
	s_and_saveexec_b32 s20, s2
	s_cbranch_execz .LBB113_3
	s_branch .LBB113_47
.LBB113_40:                             ;   in Loop: Header=BB113_5 Depth=1
	v_add_nc_u64_e32 v[4:5], v[24:25], v[22:23]
	v_add_nc_u64_e32 v[6:7], v[26:27], v[22:23]
	v_dual_mov_b32 v9, v2 :: v_dual_mov_b32 v10, v2
	v_dual_mov_b32 v11, v2 :: v_dual_mov_b32 v13, v2
	;; [unrolled: 1-line block ×3, first 2 shown]
	global_load_u16 v3, v[4:5], off
	global_load_u16 v12, v[6:7], off
	s_wait_xcnt 0x0
	v_dual_mov_b32 v5, v2 :: v_dual_mov_b32 v6, v2
	v_dual_mov_b32 v7, v2 :: v_dual_mov_b32 v8, v2
	;; [unrolled: 1-line block ×4, first 2 shown]
	s_wait_loadcnt 0x0
	v_dual_lshlrev_b32 v4, 16, v3 :: v_dual_lshlrev_b32 v12, 16, v12
	s_or_b32 exec_lo, exec_lo, s20
	s_and_saveexec_b32 s20, s2
	s_cbranch_execz .LBB113_34
.LBB113_41:                             ;   in Loop: Header=BB113_5 Depth=1
	v_add_nc_u64_e32 v[58:59], v[54:55], v[22:23]
	v_add_nc_u64_e32 v[64:65], v[56:57], v[22:23]
	global_load_u16 v3, v[58:59], off
	global_load_u16 v13, v[64:65], off
	s_wait_loadcnt 0x0
	v_dual_lshlrev_b32 v5, 16, v3 :: v_dual_lshlrev_b32 v13, 16, v13
	s_or_b32 exec_lo, exec_lo, s20
	s_and_saveexec_b32 s20, s2
	s_cbranch_execz .LBB113_35
.LBB113_42:                             ;   in Loop: Header=BB113_5 Depth=1
	v_add_nc_u64_e32 v[58:59], v[50:51], v[22:23]
	v_add_nc_u64_e32 v[64:65], v[52:53], v[22:23]
	global_load_u16 v3, v[58:59], off
	global_load_u16 v14, v[64:65], off
	s_wait_loadcnt 0x0
	v_dual_lshlrev_b32 v6, 16, v3 :: v_dual_lshlrev_b32 v14, 16, v14
	s_or_b32 exec_lo, exec_lo, s20
	s_and_saveexec_b32 s20, s2
	s_cbranch_execz .LBB113_36
.LBB113_43:                             ;   in Loop: Header=BB113_5 Depth=1
	v_add_nc_u64_e32 v[58:59], v[46:47], v[22:23]
	v_add_nc_u64_e32 v[64:65], v[48:49], v[22:23]
	global_load_u16 v3, v[58:59], off
	global_load_u16 v15, v[64:65], off
	s_wait_loadcnt 0x1
	v_lshlrev_b32_e32 v7, 16, v3
	s_wait_loadcnt 0x0
	v_lshlrev_b32_e32 v15, 16, v15
	s_or_b32 exec_lo, exec_lo, s20
	s_and_saveexec_b32 s20, s2
	s_cbranch_execz .LBB113_37
.LBB113_44:                             ;   in Loop: Header=BB113_5 Depth=1
	v_add_nc_u64_e32 v[58:59], v[42:43], v[22:23]
	v_add_nc_u64_e32 v[64:65], v[44:45], v[22:23]
	global_load_u16 v3, v[58:59], off
	global_load_u16 v16, v[64:65], off
	s_wait_loadcnt 0x0
	v_dual_lshlrev_b32 v8, 16, v3 :: v_dual_lshlrev_b32 v16, 16, v16
	s_or_b32 exec_lo, exec_lo, s20
	s_and_saveexec_b32 s20, s2
	s_cbranch_execz .LBB113_38
.LBB113_45:                             ;   in Loop: Header=BB113_5 Depth=1
	v_add_nc_u64_e32 v[58:59], v[38:39], v[22:23]
	v_add_nc_u64_e32 v[64:65], v[40:41], v[22:23]
	global_load_u16 v3, v[58:59], off
	global_load_u16 v17, v[64:65], off
	s_wait_loadcnt 0x0
	v_dual_lshlrev_b32 v9, 16, v3 :: v_dual_lshlrev_b32 v17, 16, v17
	s_or_b32 exec_lo, exec_lo, s20
	s_and_saveexec_b32 s20, s2
	s_cbranch_execz .LBB113_39
.LBB113_46:                             ;   in Loop: Header=BB113_5 Depth=1
	v_add_nc_u64_e32 v[58:59], v[34:35], v[22:23]
	v_add_nc_u64_e32 v[64:65], v[36:37], v[22:23]
	global_load_u16 v3, v[58:59], off
	global_load_u16 v18, v[64:65], off
	s_wait_loadcnt 0x0
	v_dual_lshlrev_b32 v10, 16, v3 :: v_dual_lshlrev_b32 v18, 16, v18
	s_or_b32 exec_lo, exec_lo, s20
	s_and_saveexec_b32 s20, s2
	s_cbranch_execz .LBB113_3
.LBB113_47:                             ;   in Loop: Header=BB113_5 Depth=1
	v_add_nc_u64_e32 v[58:59], v[28:29], v[22:23]
	v_add_nc_u64_e32 v[64:65], v[30:31], v[22:23]
	global_load_u16 v3, v[58:59], off
	global_load_u16 v19, v[64:65], off
	s_wait_loadcnt 0x1
	v_lshlrev_b32_e32 v11, 16, v3
	s_wait_loadcnt 0x0
	v_lshlrev_b32_e32 v19, 16, v19
	s_branch .LBB113_3
.LBB113_48:
                                        ; implicit-def: $vgpr33
	s_branch .LBB113_50
.LBB113_49:
	s_cbranch_execnz .LBB113_81
.LBB113_50:
	v_mov_b32_e32 v33, 0
	s_and_not1_b32 vcc_lo, exec_lo, s17
	s_delay_alu instid0(VALU_DEP_1)
	v_mov_b32_e32 v32, v33
	s_cbranch_vccnz .LBB113_81
; %bb.51:
	v_bfe_u32 v1, v0, 10, 10
	v_mov_b32_e32 v2, 0
	v_and_b32_e32 v90, 0x3ff, v0
	s_load_b32 s2, s[0:1], 0x44
	s_mov_b64 s[22:23], 0xffffffffffffff83
	s_delay_alu instid0(VALU_DEP_2) | instskip(SKIP_3) | instid1(VALU_DEP_2)
	v_dual_mov_b32 v5, v2 :: v_dual_lshlrev_b32 v4, 4, v1
	v_dual_mov_b32 v21, v2 :: v_dual_lshlrev_b32 v20, 3, v1
	s_mov_b64 s[24:25], 0xffffffffffffff84
	s_mov_b64 s[26:27], 0xffffffffffffff85
	v_lshl_add_u64 v[4:5], s[18:19], 1, v[4:5]
	s_mov_b64 s[28:29], 0xffffffffffffff86
	v_add_nc_u64_e32 v[8:9], s[18:19], v[20:21]
	s_mov_b64 s[30:31], 0xffffffffffffff87
	s_mov_b64 s[34:35], 0xffffffffffffff88
	v_add_nc_u64_e32 v[6:7], 2, v[4:5]
	v_add_nc_u64_e32 v[10:11], 4, v[4:5]
	;; [unrolled: 1-line block ×4, first 2 shown]
	v_mul_u64_e32 v[32:33], s[6:7], v[8:9]
	v_add_nc_u64_e32 v[44:45], 4, v[8:9]
	v_add_nc_u64_e32 v[16:17], 10, v[4:5]
	v_mad_nc_u64_u32 v[22:23], s6, v6, s[8:9]
	v_mul_lo_u32 v3, s6, v7
	v_mul_lo_u32 v42, s7, v6
	v_mad_nc_u64_u32 v[34:35], s6, v6, s[10:11]
	v_add_nc_u64_e32 v[6:7], 7, v[8:9]
	v_mad_nc_u64_u32 v[24:25], s6, v10, s[8:9]
	v_mul_lo_u32 v43, s6, v11
	v_mul_lo_u32 v46, s7, v10
	v_mad_nc_u64_u32 v[36:37], s6, v10, s[10:11]
	v_mad_nc_u64_u32 v[26:27], s6, v12, s[8:9]
	v_mul_lo_u32 v52, s6, v13
	v_mul_lo_u32 v53, s7, v12
	v_mad_nc_u64_u32 v[40:41], s6, v12, s[10:11]
	v_add_nc_u64_e32 v[10:11], 6, v[8:9]
	v_mul_u64_e32 v[6:7], s[6:7], v[6:7]
	v_add_nc_u64_e32 v[12:13], 5, v[8:9]
	v_mad_nc_u64_u32 v[28:29], s6, v14, s[8:9]
	v_mul_lo_u32 v54, s6, v15
	v_mul_lo_u32 v55, s7, v14
	v_add3_u32 v23, v42, v23, v3
	v_add3_u32 v25, v46, v25, v43
	;; [unrolled: 1-line block ×3, first 2 shown]
	v_mul_u64_e32 v[10:11], s[6:7], v[10:11]
	v_add3_u32 v37, v46, v37, v43
	v_mad_nc_u64_u32 v[42:43], s6, v14, s[10:11]
	v_add_nc_u64_e32 v[14:15], 3, v[8:9]
	v_add_nc_u64_e32 v[8:9], 2, v[8:9]
	v_mul_u64_e32 v[12:13], s[6:7], v[12:13]
	v_mul_u64_e32 v[62:63], s[6:7], v[44:45]
	v_add_nc_u64_e32 v[18:19], 12, v[4:5]
	v_add_nc_u64_e32 v[4:5], 14, v[4:5]
	v_mad_nc_u64_u32 v[30:31], s6, v16, s[8:9]
	v_mul_u64_e32 v[14:15], s[6:7], v[14:15]
	v_mul_u64_e32 v[8:9], s[6:7], v[8:9]
	v_mul_lo_u32 v17, s6, v17
	v_mul_lo_u32 v56, s7, v16
	v_mad_nc_u64_u32 v[44:45], s6, v16, s[10:11]
	v_mad_nc_u64_u32 v[46:47], s6, v4, s[8:9]
	v_mul_lo_u32 v3, s6, v5
	v_mul_lo_u32 v16, s7, v4
	v_mad_nc_u64_u32 v[50:51], s6, v4, s[10:11]
	v_dual_mov_b32 v5, v2 :: v_dual_add_nc_u32 v4, s3, v90
	v_add3_u32 v27, v53, v27, v52
	v_add3_u32 v41, v53, v41, v52
	v_mad_nc_u64_u32 v[38:39], s6, v18, s[8:9]
	v_lshlrev_b64_e32 v[6:7], 1, v[6:7]
	v_add3_u32 v31, v56, v31, v17
	v_add3_u32 v45, v56, v45, v17
	v_mul_lo_u32 v19, s6, v19
	v_add3_u32 v47, v16, v47, v3
	v_add3_u32 v51, v16, v51, v3
	v_lshlrev_b64_e32 v[16:17], 1, v[32:33]
	v_add_nc_u64_e32 v[58:59], s[8:9], v[6:7]
	v_add_nc_u64_e32 v[60:61], s[10:11], v[6:7]
	v_mul_lo_u32 v57, s7, v18
	v_mad_nc_u64_u32 v[48:49], s6, v18, s[10:11]
	s_mov_b32 s3, 0
	v_add3_u32 v29, v55, v29, v54
	v_lshlrev_b64_e32 v[6:7], 1, v[12:13]
	v_add_nc_u64_e32 v[12:13], s[6:7], v[32:33]
	v_mov_b32_e32 v32, 0
	v_lshlrev_b64_e32 v[52:53], 1, v[4:5]
	v_lshlrev_b64_e32 v[4:5], 1, v[10:11]
	;; [unrolled: 1-line block ×4, first 2 shown]
	v_add_nc_u64_e32 v[66:67], s[8:9], v[6:7]
	v_add_nc_u64_e32 v[68:69], s[10:11], v[6:7]
	v_lshlrev_b64_e32 v[6:7], 1, v[12:13]
	v_add3_u32 v43, v55, v43, v54
	v_add_nc_u64_e32 v[62:63], s[8:9], v[4:5]
	v_add_nc_u64_e32 v[64:65], s[10:11], v[4:5]
	v_lshlrev_b64_e32 v[4:5], 1, v[14:15]
	v_add3_u32 v39, v57, v39, v19
	v_add3_u32 v49, v57, v49, v19
	v_add_nc_u64_e32 v[54:55], s[8:9], v[16:17]
	v_add_nc_u64_e32 v[56:57], s[10:11], v[16:17]
	;; [unrolled: 1-line block ×10, first 2 shown]
	s_wait_kmcnt 0x0
	s_lshl_b32 s20, s2, 7
	s_mov_b32 s21, s3
	v_mov_b32_e32 v33, v2
	s_mul_u64 s[38:39], s[6:7], s[20:21]
	s_mov_b64 s[8:9], 0xffffffffffffff81
	s_mov_b64 s[10:11], 0xffffffffffffff82
	s_add_nc_u64 s[36:37], s[0:1], 64
	s_lshl_b64 s[38:39], s[38:39], 1
	s_add_nc_u64 s[40:41], s[18:19], 0x7f
	s_branch .LBB113_55
.LBB113_52:                             ;   in Loop: Header=BB113_55 Depth=1
	s_wait_xcnt 0x0
	s_or_b32 exec_lo, exec_lo, s17
.LBB113_53:                             ;   in Loop: Header=BB113_55 Depth=1
	s_delay_alu instid0(SALU_CYCLE_1)
	s_or_b32 exec_lo, exec_lo, s2
	v_add_nc_u64_e32 v[4:5], v[54:55], v[52:53]
	v_add_nc_u64_e32 v[8:9], v[56:57], v[52:53]
	;; [unrolled: 1-line block ×5, first 2 shown]
	s_wait_loadcnt 0x1
	ds_bpermute_b32 v98, v2, v3 offset:12
	s_wait_loadcnt 0x0
	ds_bpermute_b32 v96, v2, v6 offset:8
	global_load_u16 v7, v[4:5], off
	global_load_u16 v16, v[8:9], off
	;; [unrolled: 1-line block ×3, first 2 shown]
	s_wait_xcnt 0x2
	v_add_nc_u64_e32 v[4:5], v[36:37], v[52:53]
	s_wait_xcnt 0x1
	v_add_nc_u64_e32 v[8:9], v[26:27], v[52:53]
	global_load_u16 v18, v[12:13], off
	global_load_u16 v19, v[14:15], off
	s_wait_xcnt 0x2
	v_add_nc_u64_e32 v[10:11], v[40:41], v[52:53]
	s_wait_xcnt 0x1
	v_add_nc_u64_e32 v[12:13], v[28:29], v[52:53]
	;; [unrolled: 2-line block ×3, first 2 shown]
	global_load_u16 v32, v[4:5], off
	global_load_u16 v33, v[8:9], off
	;; [unrolled: 1-line block ×3, first 2 shown]
	s_wait_xcnt 0x2
	v_add_nc_u64_e32 v[4:5], v[30:31], v[52:53]
	global_load_u16 v89, v[12:13], off
	global_load_u16 v91, v[14:15], off
	s_wait_xcnt 0x3
	v_add_nc_u64_e32 v[8:9], v[44:45], v[52:53]
	s_wait_xcnt 0x2
	v_add_nc_u64_e32 v[10:11], v[46:47], v[52:53]
	s_wait_xcnt 0x1
	ds_bpermute_b32 v12, v2, v3 offset:4
	s_wait_xcnt 0x0
	ds_bpermute_b32 v14, v2, v3 offset:8
	global_load_u16 v13, v[4:5], off
	s_wait_xcnt 0x0
	v_add_nc_u64_e32 v[4:5], v[48:49], v[52:53]
	ds_bpermute_b32 v97, v2, v6 offset:12
	global_load_u16 v15, v[8:9], off
	s_wait_xcnt 0x0
	v_add_nc_u64_e32 v[8:9], v[38:39], v[52:53]
	ds_bpermute_b32 v99, v2, v6 offset:16
	ds_bpermute_b32 v100, v2, v3 offset:16
	;; [unrolled: 1-line block ×3, first 2 shown]
	global_load_u16 v92, v[4:5], off
	s_wait_xcnt 0x0
	v_add_nc_u64_e32 v[4:5], v[50:51], v[52:53]
	global_load_u16 v93, v[8:9], off
	global_load_u16 v94, v[4:5], off
	;; [unrolled: 1-line block ×3, first 2 shown]
	s_wait_xcnt 0x2
	ds_bpermute_b32 v9, v2, v3
	s_wait_xcnt 0x1
	ds_bpermute_b32 v5, v2, v6
	s_wait_xcnt 0x0
	ds_bpermute_b32 v11, v2, v6 offset:4
	ds_bpermute_b32 v103, v2, v6 offset:24
	;; [unrolled: 1-line block ×6, first 2 shown]
	s_wait_loadcnt 0xe
	v_dual_lshlrev_b32 v4, 16, v7 :: v_dual_lshlrev_b32 v10, 16, v16
	s_wait_loadcnt 0xc
	v_dual_lshlrev_b32 v6, 16, v17 :: v_dual_lshlrev_b32 v7, 16, v18
	s_wait_loadcnt_dscnt 0xb07
	s_delay_alu instid0(VALU_DEP_2) | instskip(SKIP_3) | instid1(VALU_DEP_3)
	v_dual_sub_f32 v9, v10, v9 :: v_dual_lshlrev_b32 v8, 16, v19
	s_wait_loadcnt 0x9
	v_dual_lshlrev_b32 v16, 16, v32 :: v_dual_lshlrev_b32 v10, 16, v33
	v_sub_f32_e32 v7, v7, v12
	v_mul_f32_e32 v9, v9, v4
	s_wait_loadcnt 0x7
	v_dual_lshlrev_b32 v17, 16, v88 :: v_dual_lshlrev_b32 v12, 16, v89
	s_wait_loadcnt 0x6
	v_dual_lshlrev_b32 v18, 16, v91 :: v_dual_sub_f32 v16, v16, v14
	s_wait_dscnt 0x6
	v_dual_mul_f32 v7, v7, v6 :: v_dual_mul_f32 v5, v9, v5
	s_wait_loadcnt 0x5
	v_dual_sub_f32 v9, v17, v98 :: v_dual_lshlrev_b32 v14, 16, v13
	s_wait_dscnt 0x5
	s_delay_alu instid0(VALU_DEP_2)
	v_dual_mul_f32 v13, v16, v8 :: v_dual_mul_f32 v7, v7, v11
	v_pk_add_f32 v[4:5], v[86:87], v[4:5]
	s_wait_loadcnt 0x4
	v_dual_lshlrev_b32 v11, 16, v15 :: v_dual_sub_f32 v15, v18, v100
	v_mul_f32_e32 v16, v9, v10
	v_mul_f32_e32 v9, v13, v96
	v_pk_add_f32 v[4:5], v[4:5], v[6:7]
	s_wait_loadcnt_dscnt 0x302
	v_dual_lshlrev_b32 v7, 16, v92 :: v_dual_sub_f32 v13, v11, v102
	v_dual_mul_f32 v15, v15, v12 :: v_dual_mul_f32 v11, v16, v97
	s_delay_alu instid0(VALU_DEP_3) | instskip(SKIP_1) | instid1(VALU_DEP_3)
	v_pk_add_f32 v[4:5], v[4:5], v[8:9]
	s_wait_loadcnt_dscnt 0x201
	v_dual_sub_f32 v7, v7, v104 :: v_dual_lshlrev_b32 v6, 16, v93
	s_delay_alu instid0(VALU_DEP_3) | instskip(NEXT) | instid1(VALU_DEP_3)
	v_dual_mul_f32 v9, v13, v14 :: v_dual_mul_f32 v13, v15, v99
	v_pk_add_f32 v[4:5], v[4:5], v[10:11]
	s_wait_loadcnt 0x0
	v_dual_lshlrev_b32 v10, 16, v94 :: v_dual_lshlrev_b32 v8, 16, v95
	s_delay_alu instid0(VALU_DEP_3) | instskip(NEXT) | instid1(VALU_DEP_3)
	v_dual_mul_f32 v7, v7, v6 :: v_dual_mul_f32 v15, v9, v101
	v_pk_add_f32 v[4:5], v[4:5], v[12:13]
	s_wait_dscnt 0x0
	s_delay_alu instid0(VALU_DEP_3) | instskip(NEXT) | instid1(VALU_DEP_3)
	v_sub_f32_e32 v3, v10, v3
	v_mul_f32_e32 v7, v7, v103
	s_delay_alu instid0(VALU_DEP_3) | instskip(NEXT) | instid1(VALU_DEP_3)
	v_pk_add_f32 v[4:5], v[4:5], v[14:15]
	v_mul_f32_e32 v3, v3, v8
	s_delay_alu instid0(VALU_DEP_2) | instskip(NEXT) | instid1(VALU_DEP_2)
	v_pk_add_f32 v[4:5], v[4:5], v[6:7]
	v_mul_f32_e32 v9, v3, v105
	s_delay_alu instid0(VALU_DEP_1)
	v_pk_add_f32 v[32:33], v[4:5], v[8:9]
.LBB113_54:                             ;   in Loop: Header=BB113_55 Depth=1
	s_add_nc_u64 s[18:19], s[18:19], s[20:21]
	v_add_nc_u64_e32 v[54:55], s[38:39], v[54:55]
	v_cmp_ge_i64_e64 s2, s[18:19], s[4:5]
	v_add_nc_u64_e32 v[56:57], s[38:39], v[56:57]
	v_add_nc_u64_e32 v[22:23], s[38:39], v[22:23]
	;; [unrolled: 1-line block ×29, first 2 shown]
	s_and_b32 vcc_lo, exec_lo, s2
	s_add_nc_u64 s[40:41], s[40:41], s[20:21]
	s_cbranch_vccnz .LBB113_81
.LBB113_55:                             ; =>This Inner Loop Header: Depth=1
	v_cmp_ge_i64_e64 s2, s[40:41], s[4:5]
	v_add_nc_u64_e32 v[88:89], s[40:41], v[20:21]
	v_dual_mov_b32 v86, v32 :: v_dual_mov_b32 v87, v33
                                        ; implicit-def: $vgpr33
	s_and_b32 vcc_lo, exec_lo, s2
	s_mov_b32 s2, -1
	s_cbranch_vccz .LBB113_77
; %bb.56:                               ;   in Loop: Header=BB113_55 Depth=1
	s_load_b32 s2, s[36:37], 0xc
	v_dual_mov_b32 v33, 0 :: v_dual_mov_b32 v32, 0
	s_wait_kmcnt 0x0
	s_and_b32 s2, s2, 0xffff
	s_delay_alu instid0(SALU_CYCLE_1) | instskip(SKIP_1) | instid1(VALU_DEP_1)
	v_mad_u32_u24 v3, v1, s2, v90
	s_mov_b32 s2, exec_lo
	v_and_b32_e32 v4, 31, v3
	s_delay_alu instid0(VALU_DEP_1)
	v_cmpx_gt_u32_e32 8, v4
	s_cbranch_execz .LBB113_60
; %bb.57:                               ;   in Loop: Header=BB113_55 Depth=1
	v_dual_mov_b32 v5, v2 :: v_dual_mov_b32 v33, 0
	v_mov_b32_e32 v32, 0
	s_mov_b32 s17, exec_lo
	s_delay_alu instid0(VALU_DEP_2) | instskip(NEXT) | instid1(VALU_DEP_1)
	v_add_nc_u64_e32 v[4:5], v[88:89], v[4:5]
	v_add_nc_u64_e32 v[4:5], s[8:9], v[4:5]
	s_delay_alu instid0(VALU_DEP_1)
	v_cmpx_gt_i64_e64 s[4:5], v[4:5]
	s_cbranch_execz .LBB113_59
; %bb.58:                               ;   in Loop: Header=BB113_55 Depth=1
	v_lshlrev_b64_e32 v[4:5], 2, v[4:5]
	s_delay_alu instid0(VALU_DEP_1)
	v_add_nc_u64_e32 v[6:7], s[12:13], v[4:5]
	v_add_nc_u64_e32 v[4:5], s[14:15], v[4:5]
	global_load_b32 v33, v[6:7], off
	global_load_b32 v32, v[4:5], off
.LBB113_59:                             ;   in Loop: Header=BB113_55 Depth=1
	s_wait_xcnt 0x0
	s_or_b32 exec_lo, exec_lo, s17
.LBB113_60:                             ;   in Loop: Header=BB113_55 Depth=1
	s_delay_alu instid0(SALU_CYCLE_1)
	s_or_b32 exec_lo, exec_lo, s2
	v_add_nc_u64_e32 v[10:11], s[8:9], v[88:89]
	v_dual_mov_b32 v7, v2 :: v_dual_mov_b32 v8, v2
	v_dual_mov_b32 v9, v2 :: v_dual_mov_b32 v3, v2
	;; [unrolled: 1-line block ×3, first 2 shown]
	v_mov_b32_e32 v6, v2
	s_delay_alu instid0(VALU_DEP_3)
	v_mov_b64_e32 v[18:19], v[8:9]
	v_cmp_gt_i64_e32 vcc_lo, s[4:5], v[10:11]
	v_mov_b64_e32 v[12:13], v[2:3]
	v_mov_b64_e32 v[14:15], v[4:5]
	;; [unrolled: 1-line block ×7, first 2 shown]
	s_and_saveexec_b32 s2, vcc_lo
	s_cbranch_execz .LBB113_62
; %bb.61:                               ;   in Loop: Header=BB113_55 Depth=1
	v_add_nc_u64_e32 v[4:5], v[54:55], v[52:53]
	v_add_nc_u64_e32 v[6:7], v[56:57], v[52:53]
	v_dual_mov_b32 v9, v2 :: v_dual_mov_b32 v10, v2
	v_dual_mov_b32 v11, v2 :: v_dual_mov_b32 v13, v2
	;; [unrolled: 1-line block ×3, first 2 shown]
	global_load_u16 v3, v[4:5], off
	global_load_u16 v12, v[6:7], off
	s_wait_xcnt 0x0
	v_dual_mov_b32 v5, v2 :: v_dual_mov_b32 v6, v2
	v_dual_mov_b32 v7, v2 :: v_dual_mov_b32 v8, v2
	;; [unrolled: 1-line block ×4, first 2 shown]
	s_wait_loadcnt 0x0
	v_dual_lshlrev_b32 v4, 16, v3 :: v_dual_lshlrev_b32 v12, 16, v12
.LBB113_62:                             ;   in Loop: Header=BB113_55 Depth=1
	s_or_b32 exec_lo, exec_lo, s2
	v_add_nc_u64_e32 v[92:93], s[10:11], v[88:89]
	s_mov_b32 s2, exec_lo
	s_delay_alu instid0(VALU_DEP_1)
	v_cmpx_gt_i64_e64 s[4:5], v[92:93]
	s_cbranch_execz .LBB113_64
; %bb.63:                               ;   in Loop: Header=BB113_55 Depth=1
	v_add_nc_u64_e32 v[92:93], v[82:83], v[52:53]
	v_add_nc_u64_e32 v[94:95], v[84:85], v[52:53]
	global_load_u16 v3, v[92:93], off
	global_load_u16 v13, v[94:95], off
	s_wait_loadcnt 0x0
	v_dual_lshlrev_b32 v5, 16, v3 :: v_dual_lshlrev_b32 v13, 16, v13
.LBB113_64:                             ;   in Loop: Header=BB113_55 Depth=1
	s_or_b32 exec_lo, exec_lo, s2
	v_add_nc_u64_e32 v[92:93], s[22:23], v[88:89]
	s_mov_b32 s2, exec_lo
	s_delay_alu instid0(VALU_DEP_1)
	v_cmpx_gt_i64_e64 s[4:5], v[92:93]
	s_cbranch_execz .LBB113_66
; %bb.65:                               ;   in Loop: Header=BB113_55 Depth=1
	v_add_nc_u64_e32 v[92:93], v[78:79], v[52:53]
	v_add_nc_u64_e32 v[94:95], v[80:81], v[52:53]
	global_load_u16 v3, v[92:93], off
	global_load_u16 v14, v[94:95], off
	s_wait_loadcnt 0x0
	v_dual_lshlrev_b32 v6, 16, v3 :: v_dual_lshlrev_b32 v14, 16, v14
.LBB113_66:                             ;   in Loop: Header=BB113_55 Depth=1
	s_or_b32 exec_lo, exec_lo, s2
	v_add_nc_u64_e32 v[92:93], s[24:25], v[88:89]
	s_mov_b32 s2, exec_lo
	s_delay_alu instid0(VALU_DEP_1)
	v_cmpx_gt_i64_e64 s[4:5], v[92:93]
	s_cbranch_execz .LBB113_68
; %bb.67:                               ;   in Loop: Header=BB113_55 Depth=1
	v_add_nc_u64_e32 v[92:93], v[74:75], v[52:53]
	v_add_nc_u64_e32 v[94:95], v[76:77], v[52:53]
	global_load_u16 v3, v[92:93], off
	global_load_u16 v15, v[94:95], off
	s_wait_loadcnt 0x1
	v_lshlrev_b32_e32 v7, 16, v3
	s_wait_loadcnt 0x0
	v_lshlrev_b32_e32 v15, 16, v15
.LBB113_68:                             ;   in Loop: Header=BB113_55 Depth=1
	s_or_b32 exec_lo, exec_lo, s2
	v_add_nc_u64_e32 v[92:93], s[26:27], v[88:89]
	s_mov_b32 s2, exec_lo
	s_delay_alu instid0(VALU_DEP_1)
	v_cmpx_gt_i64_e64 s[4:5], v[92:93]
	s_cbranch_execz .LBB113_70
; %bb.69:                               ;   in Loop: Header=BB113_55 Depth=1
	v_add_nc_u64_e32 v[92:93], v[70:71], v[52:53]
	v_add_nc_u64_e32 v[94:95], v[72:73], v[52:53]
	global_load_u16 v3, v[92:93], off
	global_load_u16 v16, v[94:95], off
	s_wait_loadcnt 0x0
	v_dual_lshlrev_b32 v8, 16, v3 :: v_dual_lshlrev_b32 v16, 16, v16
.LBB113_70:                             ;   in Loop: Header=BB113_55 Depth=1
	s_or_b32 exec_lo, exec_lo, s2
	v_add_nc_u64_e32 v[92:93], s[28:29], v[88:89]
	s_mov_b32 s2, exec_lo
	s_delay_alu instid0(VALU_DEP_1)
	v_cmpx_gt_i64_e64 s[4:5], v[92:93]
	s_cbranch_execz .LBB113_72
; %bb.71:                               ;   in Loop: Header=BB113_55 Depth=1
	v_add_nc_u64_e32 v[92:93], v[66:67], v[52:53]
	v_add_nc_u64_e32 v[94:95], v[68:69], v[52:53]
	global_load_u16 v3, v[92:93], off
	global_load_u16 v17, v[94:95], off
	s_wait_loadcnt 0x0
	v_dual_lshlrev_b32 v9, 16, v3 :: v_dual_lshlrev_b32 v17, 16, v17
.LBB113_72:                             ;   in Loop: Header=BB113_55 Depth=1
	s_or_b32 exec_lo, exec_lo, s2
	v_add_nc_u64_e32 v[92:93], s[30:31], v[88:89]
	s_mov_b32 s2, exec_lo
	s_delay_alu instid0(VALU_DEP_1)
	v_cmpx_gt_i64_e64 s[4:5], v[92:93]
	s_cbranch_execz .LBB113_74
; %bb.73:                               ;   in Loop: Header=BB113_55 Depth=1
	v_add_nc_u64_e32 v[92:93], v[62:63], v[52:53]
	v_add_nc_u64_e32 v[94:95], v[64:65], v[52:53]
	global_load_u16 v3, v[92:93], off
	global_load_u16 v18, v[94:95], off
	s_wait_loadcnt 0x0
	v_dual_lshlrev_b32 v10, 16, v3 :: v_dual_lshlrev_b32 v18, 16, v18
.LBB113_74:                             ;   in Loop: Header=BB113_55 Depth=1
	s_or_b32 exec_lo, exec_lo, s2
	v_add_nc_u64_e32 v[92:93], s[34:35], v[88:89]
	s_mov_b32 s2, exec_lo
	s_delay_alu instid0(VALU_DEP_1)
	v_cmpx_gt_i64_e64 s[4:5], v[92:93]
	s_cbranch_execz .LBB113_76
; %bb.75:                               ;   in Loop: Header=BB113_55 Depth=1
	v_add_nc_u64_e32 v[92:93], v[58:59], v[52:53]
	v_add_nc_u64_e32 v[94:95], v[60:61], v[52:53]
	global_load_u16 v3, v[92:93], off
	global_load_u16 v19, v[94:95], off
	s_wait_loadcnt 0x1
	v_lshlrev_b32_e32 v11, 16, v3
	s_wait_loadcnt 0x0
	v_lshlrev_b32_e32 v19, 16, v19
.LBB113_76:                             ;   in Loop: Header=BB113_55 Depth=1
	s_or_b32 exec_lo, exec_lo, s2
	s_wait_loadcnt 0x1
	ds_bpermute_b32 v3, v2, v33
	ds_bpermute_b32 v91, v2, v33 offset:4
	ds_bpermute_b32 v93, v2, v33 offset:8
	s_wait_loadcnt 0x0
	ds_bpermute_b32 v94, v2, v32
	ds_bpermute_b32 v95, v2, v33 offset:12
	ds_bpermute_b32 v96, v2, v32 offset:4
	;; [unrolled: 1-line block ×10, first 2 shown]
	s_mov_b32 s2, 0
	s_wait_dscnt 0xd
	v_dual_mov_b32 v92, v6 :: v_dual_sub_f32 v3, v12, v3
	s_wait_dscnt 0xc
	v_dual_mov_b32 v12, v4 :: v_dual_sub_f32 v13, v13, v91
	s_wait_dscnt 0x9
	v_sub_f32_e32 v15, v15, v95
	v_dual_mul_f32 v3, v4, v3 :: v_dual_mov_b32 v4, v5
	v_sub_f32_e32 v14, v14, v93
	s_wait_dscnt 0x6
	v_dual_mul_f32 v5, v5, v13 :: v_dual_sub_f32 v16, v16, v100
	s_delay_alu instid0(VALU_DEP_3) | instskip(SKIP_4) | instid1(VALU_DEP_3)
	v_mul_f32_e32 v13, v3, v94
	ds_bpermute_b32 v3, v2, v33 offset:28
	v_dual_mul_f32 v14, v6, v14 :: v_dual_mul_f32 v5, v5, v96
	v_mov_b32_e32 v6, v7
	v_pk_add_f32 v[12:13], v[86:87], v[12:13]
	v_dual_mul_f32 v7, v7, v15 :: v_dual_mul_f32 v93, v14, v97
	ds_bpermute_b32 v14, v2, v32 offset:28
	v_mul_f32_e32 v15, v8, v16
	v_pk_add_f32 v[4:5], v[4:5], v[12:13]
	s_wait_dscnt 0x6
	v_sub_f32_e32 v13, v17, v102
	v_dual_mul_f32 v7, v7, v98 :: v_dual_mov_b32 v12, v8
	s_wait_dscnt 0x4
	v_sub_f32_e32 v8, v18, v104
	v_pk_add_f32 v[4:5], v[92:93], v[4:5]
	v_dual_mul_f32 v16, v9, v13 :: v_dual_mul_f32 v13, v15, v99
	s_delay_alu instid0(VALU_DEP_2) | instskip(SKIP_2) | instid1(VALU_DEP_3)
	v_pk_add_f32 v[4:5], v[6:7], v[4:5]
	s_wait_dscnt 0x1
	v_dual_mov_b32 v6, v9 :: v_dual_sub_f32 v3, v19, v3
	v_dual_mul_f32 v9, v10, v8 :: v_dual_mul_f32 v7, v16, v101
	v_mov_b32_e32 v8, v10
	v_pk_add_f32 v[4:5], v[12:13], v[4:5]
	s_delay_alu instid0(VALU_DEP_4) | instskip(NEXT) | instid1(VALU_DEP_2)
	v_mul_f32_e32 v3, v11, v3
	v_pk_add_f32 v[4:5], v[6:7], v[4:5]
	v_dual_mov_b32 v6, v11 :: v_dual_mul_f32 v9, v9, v103
	s_wait_dscnt 0x0
	s_delay_alu instid0(VALU_DEP_3) | instskip(NEXT) | instid1(VALU_DEP_2)
	v_mul_f32_e32 v7, v3, v14
	v_pk_add_f32 v[4:5], v[8:9], v[4:5]
	s_delay_alu instid0(VALU_DEP_1)
	v_pk_add_f32 v[32:33], v[6:7], v[4:5]
.LBB113_77:                             ;   in Loop: Header=BB113_55 Depth=1
	s_and_b32 vcc_lo, exec_lo, s2
	s_cbranch_vccz .LBB113_54
; %bb.78:                               ;   in Loop: Header=BB113_55 Depth=1
	s_load_b32 s2, s[36:37], 0x0
	v_mov_b32_e32 v6, 0
	s_wait_kmcnt 0x0
	s_cmp_lt_u32 s16, s2
	s_cselect_b32 s2, 12, 18
	s_delay_alu instid0(SALU_CYCLE_1) | instskip(SKIP_4) | instid1(VALU_DEP_1)
	s_add_nc_u64 s[42:43], s[36:37], s[2:3]
	s_load_u16 s2, s[42:43], 0x0
	s_wait_kmcnt 0x0
	v_mad_u32_u24 v3, v1, s2, v90
	s_mov_b32 s2, exec_lo
	v_dual_mov_b32 v3, 0 :: v_dual_bitop2_b32 v4, 31, v3 bitop3:0x40
	s_delay_alu instid0(VALU_DEP_1)
	v_cmpx_gt_u32_e32 8, v4
	s_cbranch_execz .LBB113_53
; %bb.79:                               ;   in Loop: Header=BB113_55 Depth=1
	v_dual_mov_b32 v5, v2 :: v_dual_mov_b32 v3, 0
	v_mov_b32_e32 v6, 0
	s_mov_b32 s17, exec_lo
	s_delay_alu instid0(VALU_DEP_2) | instskip(NEXT) | instid1(VALU_DEP_1)
	v_add_nc_u64_e32 v[4:5], v[88:89], v[4:5]
	v_add_nc_u64_e32 v[4:5], s[8:9], v[4:5]
	s_delay_alu instid0(VALU_DEP_1)
	v_cmpx_gt_i64_e64 s[4:5], v[4:5]
	s_cbranch_execz .LBB113_52
; %bb.80:                               ;   in Loop: Header=BB113_55 Depth=1
	v_lshlrev_b64_e32 v[4:5], 2, v[4:5]
	s_delay_alu instid0(VALU_DEP_1)
	v_add_nc_u64_e32 v[8:9], s[12:13], v[4:5]
	v_add_nc_u64_e32 v[4:5], s[14:15], v[4:5]
	global_load_b32 v3, v[8:9], off
	global_load_b32 v6, v[4:5], off
	s_branch .LBB113_52
.LBB113_81:
	v_and_b32_e32 v1, 0x3ff, v0
	v_bfe_u32 v2, v0, 10, 10
	v_bfe_u32 v0, v0, 5, 5
	s_mov_b32 s2, exec_lo
	s_delay_alu instid0(VALU_DEP_2) | instskip(NEXT) | instid1(VALU_DEP_2)
	v_mad_u32_u24 v3, v2, 33, v1
	v_add_nc_u32_e32 v0, v0, v2
	s_delay_alu instid0(VALU_DEP_2)
	v_lshl_add_u32 v2, v3, 2, 0
	ds_store_b32 v2, v33
	ds_store_b32 v2, v32 offset:2112
	s_wait_dscnt 0x0
	s_barrier_signal -1
	s_barrier_wait -1
	v_cmpx_gt_u32_e32 32, v0
	s_cbranch_execz .LBB113_97
; %bb.82:
	s_load_b128 s[8:11], s[0:1], 0x30
	v_and_b32_e32 v2, 31, v1
	s_wait_xcnt 0x0
	s_delay_alu instid0(VALU_DEP_1)
	v_cmp_gt_u32_e64 s0, 16, v2
	v_mul_u32_u24_e32 v6, 33, v2
                                        ; implicit-def: $vgpr2
	s_and_saveexec_b32 s1, s0
	s_cbranch_execz .LBB113_84
; %bb.83:
	s_delay_alu instid0(VALU_DEP_1) | instskip(NEXT) | instid1(VALU_DEP_1)
	v_add_nc_u32_e32 v2, v0, v6
	v_lshl_add_u32 v2, v2, 2, 0
	ds_load_b32 v3, v2
	ds_load_b32 v2, v2 offset:2112
.LBB113_84:
	s_or_b32 exec_lo, exec_lo, s1
	v_mbcnt_lo_u32_b32 v10, -1, 0
	s_mov_b32 s17, 0
	v_cmp_eq_u32_e64 s1, 0, v1
	s_lshl_b64 s[2:3], s[16:17], 5
	s_wait_kmcnt 0x0
	s_cmp_lg_u64 s[8:9], 0
	v_xor_b32_e32 v8, 4, v10
	v_dual_mov_b32 v1, 0 :: v_dual_bitop2_b32 v4, 8, v10 bitop3:0x14
	s_cselect_b32 s5, -1, 0
	s_cmp_lg_u64 s[10:11], 0
	v_xor_b32_e32 v9, 2, v10
	s_delay_alu instid0(VALU_DEP_2)
	v_cmp_gt_i32_e32 vcc_lo, 32, v4
	s_cselect_b32 s4, -1, 0
	v_dual_cndmask_b32 v4, v10, v4, vcc_lo :: v_dual_bitop2_b32 v11, 1, v10 bitop3:0x14
	v_cmp_gt_i32_e32 vcc_lo, 32, v8
	v_cndmask_b32_e32 v8, v10, v8, vcc_lo
	v_cmp_gt_i32_e32 vcc_lo, 32, v9
	s_delay_alu instid0(VALU_DEP_4) | instskip(NEXT) | instid1(VALU_DEP_3)
	v_lshlrev_b32_e32 v7, 2, v4
	v_dual_cndmask_b32 v9, v10, v9 :: v_dual_lshlrev_b32 v8, 2, v8
	s_wait_dscnt 0x1
	ds_bpermute_b32 v5, v7, v3
	s_wait_dscnt 0x1
	ds_bpermute_b32 v4, v7, v2
	v_cmp_gt_i32_e32 vcc_lo, 32, v11
	v_dual_cndmask_b32 v10, v10, v11 :: v_dual_lshlrev_b32 v9, 2, v9
	s_wait_dscnt 0x0
	v_pk_add_f32 v[2:3], v[2:3], v[4:5]
	ds_bpermute_b32 v5, v8, v3
	ds_bpermute_b32 v4, v8, v2
	s_wait_dscnt 0x0
	v_pk_add_f32 v[2:3], v[2:3], v[4:5]
	ds_bpermute_b32 v5, v9, v3
	ds_bpermute_b32 v4, v9, v2
	s_wait_dscnt 0x0
	v_pk_add_f32 v[2:3], v[2:3], v[4:5]
	v_dual_lshlrev_b32 v10, 2, v10 :: v_dual_bitop2_b32 v4, s2, v0 bitop3:0x54
	v_mov_b32_e32 v5, s3
	ds_bpermute_b32 v13, v10, v3
	ds_bpermute_b32 v12, v10, v2
	v_cmp_gt_i64_e32 vcc_lo, s[6:7], v[4:5]
	s_and_b32 s13, s1, vcc_lo
	s_wait_dscnt 0x0
	v_pk_add_f32 v[2:3], v[2:3], v[12:13]
	s_and_saveexec_b32 s12, s13
	s_cbranch_execz .LBB113_89
; %bb.85:
	s_and_not1_b32 vcc_lo, exec_lo, s5
	s_cbranch_vccnz .LBB113_87
; %bb.86:
	v_bfe_u32 v11, v3, 16, 1
	v_cmp_o_f32_e32 vcc_lo, v3, v3
	v_lshl_add_u64 v[12:13], v[4:5], 1, s[8:9]
	s_delay_alu instid0(VALU_DEP_3) | instskip(NEXT) | instid1(VALU_DEP_1)
	v_add3_u32 v11, v3, v11, 0x7fff
	v_lshrrev_b32_e32 v11, 16, v11
	s_delay_alu instid0(VALU_DEP_1)
	v_cndmask_b32_e32 v11, 0x7fc0, v11, vcc_lo
	global_store_b16 v[12:13], v11, off
.LBB113_87:
	s_and_not1_b32 vcc_lo, exec_lo, s4
	s_cbranch_vccnz .LBB113_89
; %bb.88:
	s_wait_xcnt 0x0
	v_bfe_u32 v11, v2, 16, 1
	v_cmp_o_f32_e32 vcc_lo, v2, v2
	v_lshl_add_u64 v[4:5], v[4:5], 1, s[10:11]
	s_delay_alu instid0(VALU_DEP_3) | instskip(NEXT) | instid1(VALU_DEP_1)
	v_add3_u32 v11, v2, v11, 0x7fff
	v_lshrrev_b32_e32 v11, 16, v11
	s_delay_alu instid0(VALU_DEP_1)
	v_cndmask_b32_e32 v11, 0x7fc0, v11, vcc_lo
	global_store_b16 v[4:5], v11, off
.LBB113_89:
	s_wait_xcnt 0x0
	s_or_b32 exec_lo, exec_lo, s12
	v_cmp_gt_u32_e32 vcc_lo, 16, v0
	s_and_b32 exec_lo, exec_lo, vcc_lo
	s_cbranch_execz .LBB113_97
; %bb.90:
	s_and_saveexec_b32 s12, s0
	s_cbranch_execz .LBB113_92
; %bb.91:
	v_add_nc_u32_e32 v2, v0, v6
	s_delay_alu instid0(VALU_DEP_1)
	v_lshl_add_u32 v2, v2, 2, 0
	ds_load_b32 v3, v2 offset:64
	ds_load_b32 v2, v2 offset:2176
.LBB113_92:
	s_or_b32 exec_lo, exec_lo, s12
	s_wait_dscnt 0x1
	ds_bpermute_b32 v4, v7, v3
	s_wait_dscnt 0x1
	ds_bpermute_b32 v5, v7, v2
	v_dual_mov_b32 v7, s3 :: v_dual_add_nc_u32 v6, 16, v0
	s_delay_alu instid0(VALU_DEP_1) | instskip(NEXT) | instid1(VALU_DEP_1)
	v_or_b32_e32 v6, s2, v6
	v_cmp_gt_i64_e32 vcc_lo, s[6:7], v[6:7]
	s_and_b32 s0, s1, vcc_lo
	s_wait_dscnt 0x0
	v_dual_add_f32 v3, v3, v4 :: v_dual_add_f32 v2, v2, v5
	ds_bpermute_b32 v4, v8, v3
	ds_bpermute_b32 v5, v8, v2
	s_wait_dscnt 0x0
	v_dual_add_f32 v3, v3, v4 :: v_dual_add_f32 v2, v2, v5
	ds_bpermute_b32 v4, v9, v3
	ds_bpermute_b32 v5, v9, v2
	;; [unrolled: 4-line block ×3, first 2 shown]
	s_and_b32 exec_lo, exec_lo, s0
	s_cbranch_execz .LBB113_97
; %bb.93:
	v_add_nc_u64_e32 v[0:1], s[2:3], v[0:1]
	s_and_not1_b32 vcc_lo, exec_lo, s5
	s_cbranch_vccnz .LBB113_95
; %bb.94:
	s_wait_dscnt 0x1
	v_add_f32_e32 v4, v4, v5
	s_delay_alu instid0(VALU_DEP_1) | instskip(NEXT) | instid1(VALU_DEP_1)
	v_bfe_u32 v5, v4, 16, 1
	v_add3_u32 v5, v4, v5, 0x7fff
	s_delay_alu instid0(VALU_DEP_1) | instskip(SKIP_1) | instid1(VALU_DEP_2)
	v_lshrrev_b32_e32 v5, 16, v5
	v_cmp_o_f32_e32 vcc_lo, v4, v4
	v_cndmask_b32_e32 v6, 0x7fc0, v5, vcc_lo
	v_lshl_add_u64 v[4:5], v[0:1], 1, s[8:9]
	global_store_b16 v[4:5], v6, off offset:32
.LBB113_95:
	s_and_not1_b32 vcc_lo, exec_lo, s4
	s_cbranch_vccnz .LBB113_97
; %bb.96:
	s_wait_dscnt 0x0
	v_add_f32_e32 v2, v2, v3
	v_lshl_add_u64 v[0:1], v[0:1], 1, s[10:11]
	s_delay_alu instid0(VALU_DEP_2) | instskip(NEXT) | instid1(VALU_DEP_1)
	v_bfe_u32 v3, v2, 16, 1
	v_add3_u32 v3, v2, v3, 0x7fff
	s_delay_alu instid0(VALU_DEP_1) | instskip(SKIP_1) | instid1(VALU_DEP_2)
	v_lshrrev_b32_e32 v3, 16, v3
	v_cmp_o_f32_e32 vcc_lo, v2, v2
	v_cndmask_b32_e32 v2, 0x7fc0, v3, vcc_lo
	global_store_b16 v[0:1], v2, off offset:32
.LBB113_97:
	s_sendmsg sendmsg(MSG_DEALLOC_VGPRS)
	s_endpgm
	.section	.rodata,"a",@progbits
	.p2align	6, 0x0
	.amdhsa_kernel _ZN2at6native12_GLOBAL__N_135GammaBetaBackwardCUDAKernelTemplateIN3c108BFloat16EfLj32ELj16ELj128ELb0ELb0ELb0EEEvllPKT_S7_PKT0_SA_PS5_SB_
		.amdhsa_group_segment_fixed_size 0
		.amdhsa_private_segment_fixed_size 0
		.amdhsa_kernarg_size 320
		.amdhsa_user_sgpr_count 2
		.amdhsa_user_sgpr_dispatch_ptr 0
		.amdhsa_user_sgpr_queue_ptr 0
		.amdhsa_user_sgpr_kernarg_segment_ptr 1
		.amdhsa_user_sgpr_dispatch_id 0
		.amdhsa_user_sgpr_kernarg_preload_length 0
		.amdhsa_user_sgpr_kernarg_preload_offset 0
		.amdhsa_user_sgpr_private_segment_size 0
		.amdhsa_wavefront_size32 1
		.amdhsa_uses_dynamic_stack 0
		.amdhsa_enable_private_segment 0
		.amdhsa_system_sgpr_workgroup_id_x 1
		.amdhsa_system_sgpr_workgroup_id_y 1
		.amdhsa_system_sgpr_workgroup_id_z 0
		.amdhsa_system_sgpr_workgroup_info 0
		.amdhsa_system_vgpr_workitem_id 1
		.amdhsa_next_free_vgpr 106
		.amdhsa_next_free_sgpr 52
		.amdhsa_named_barrier_count 0
		.amdhsa_reserve_vcc 1
		.amdhsa_float_round_mode_32 0
		.amdhsa_float_round_mode_16_64 0
		.amdhsa_float_denorm_mode_32 3
		.amdhsa_float_denorm_mode_16_64 3
		.amdhsa_fp16_overflow 0
		.amdhsa_memory_ordered 1
		.amdhsa_forward_progress 1
		.amdhsa_inst_pref_size 58
		.amdhsa_round_robin_scheduling 0
		.amdhsa_exception_fp_ieee_invalid_op 0
		.amdhsa_exception_fp_denorm_src 0
		.amdhsa_exception_fp_ieee_div_zero 0
		.amdhsa_exception_fp_ieee_overflow 0
		.amdhsa_exception_fp_ieee_underflow 0
		.amdhsa_exception_fp_ieee_inexact 0
		.amdhsa_exception_int_div_zero 0
	.end_amdhsa_kernel
	.section	.text._ZN2at6native12_GLOBAL__N_135GammaBetaBackwardCUDAKernelTemplateIN3c108BFloat16EfLj32ELj16ELj128ELb0ELb0ELb0EEEvllPKT_S7_PKT0_SA_PS5_SB_,"axG",@progbits,_ZN2at6native12_GLOBAL__N_135GammaBetaBackwardCUDAKernelTemplateIN3c108BFloat16EfLj32ELj16ELj128ELb0ELb0ELb0EEEvllPKT_S7_PKT0_SA_PS5_SB_,comdat
.Lfunc_end113:
	.size	_ZN2at6native12_GLOBAL__N_135GammaBetaBackwardCUDAKernelTemplateIN3c108BFloat16EfLj32ELj16ELj128ELb0ELb0ELb0EEEvllPKT_S7_PKT0_SA_PS5_SB_, .Lfunc_end113-_ZN2at6native12_GLOBAL__N_135GammaBetaBackwardCUDAKernelTemplateIN3c108BFloat16EfLj32ELj16ELj128ELb0ELb0ELb0EEEvllPKT_S7_PKT0_SA_PS5_SB_
                                        ; -- End function
	.set _ZN2at6native12_GLOBAL__N_135GammaBetaBackwardCUDAKernelTemplateIN3c108BFloat16EfLj32ELj16ELj128ELb0ELb0ELb0EEEvllPKT_S7_PKT0_SA_PS5_SB_.num_vgpr, 106
	.set _ZN2at6native12_GLOBAL__N_135GammaBetaBackwardCUDAKernelTemplateIN3c108BFloat16EfLj32ELj16ELj128ELb0ELb0ELb0EEEvllPKT_S7_PKT0_SA_PS5_SB_.num_agpr, 0
	.set _ZN2at6native12_GLOBAL__N_135GammaBetaBackwardCUDAKernelTemplateIN3c108BFloat16EfLj32ELj16ELj128ELb0ELb0ELb0EEEvllPKT_S7_PKT0_SA_PS5_SB_.numbered_sgpr, 52
	.set _ZN2at6native12_GLOBAL__N_135GammaBetaBackwardCUDAKernelTemplateIN3c108BFloat16EfLj32ELj16ELj128ELb0ELb0ELb0EEEvllPKT_S7_PKT0_SA_PS5_SB_.num_named_barrier, 0
	.set _ZN2at6native12_GLOBAL__N_135GammaBetaBackwardCUDAKernelTemplateIN3c108BFloat16EfLj32ELj16ELj128ELb0ELb0ELb0EEEvllPKT_S7_PKT0_SA_PS5_SB_.private_seg_size, 0
	.set _ZN2at6native12_GLOBAL__N_135GammaBetaBackwardCUDAKernelTemplateIN3c108BFloat16EfLj32ELj16ELj128ELb0ELb0ELb0EEEvllPKT_S7_PKT0_SA_PS5_SB_.uses_vcc, 1
	.set _ZN2at6native12_GLOBAL__N_135GammaBetaBackwardCUDAKernelTemplateIN3c108BFloat16EfLj32ELj16ELj128ELb0ELb0ELb0EEEvllPKT_S7_PKT0_SA_PS5_SB_.uses_flat_scratch, 0
	.set _ZN2at6native12_GLOBAL__N_135GammaBetaBackwardCUDAKernelTemplateIN3c108BFloat16EfLj32ELj16ELj128ELb0ELb0ELb0EEEvllPKT_S7_PKT0_SA_PS5_SB_.has_dyn_sized_stack, 0
	.set _ZN2at6native12_GLOBAL__N_135GammaBetaBackwardCUDAKernelTemplateIN3c108BFloat16EfLj32ELj16ELj128ELb0ELb0ELb0EEEvllPKT_S7_PKT0_SA_PS5_SB_.has_recursion, 0
	.set _ZN2at6native12_GLOBAL__N_135GammaBetaBackwardCUDAKernelTemplateIN3c108BFloat16EfLj32ELj16ELj128ELb0ELb0ELb0EEEvllPKT_S7_PKT0_SA_PS5_SB_.has_indirect_call, 0
	.section	.AMDGPU.csdata,"",@progbits
; Kernel info:
; codeLenInByte = 7376
; TotalNumSgprs: 54
; NumVgprs: 106
; ScratchSize: 0
; MemoryBound: 0
; FloatMode: 240
; IeeeMode: 1
; LDSByteSize: 0 bytes/workgroup (compile time only)
; SGPRBlocks: 0
; VGPRBlocks: 6
; NumSGPRsForWavesPerEU: 54
; NumVGPRsForWavesPerEU: 106
; NamedBarCnt: 0
; Occupancy: 9
; WaveLimiterHint : 0
; COMPUTE_PGM_RSRC2:SCRATCH_EN: 0
; COMPUTE_PGM_RSRC2:USER_SGPR: 2
; COMPUTE_PGM_RSRC2:TRAP_HANDLER: 0
; COMPUTE_PGM_RSRC2:TGID_X_EN: 1
; COMPUTE_PGM_RSRC2:TGID_Y_EN: 1
; COMPUTE_PGM_RSRC2:TGID_Z_EN: 0
; COMPUTE_PGM_RSRC2:TIDIG_COMP_CNT: 1
	.section	.text._ZN2at6native12_GLOBAL__N_135GammaBetaBackwardCUDAKernelTemplateIN3c108BFloat16EfLj32ELj32ELj256ELb0ELb1ELb0EEEvllPKT_S7_PKT0_SA_PS5_SB_,"axG",@progbits,_ZN2at6native12_GLOBAL__N_135GammaBetaBackwardCUDAKernelTemplateIN3c108BFloat16EfLj32ELj32ELj256ELb0ELb1ELb0EEEvllPKT_S7_PKT0_SA_PS5_SB_,comdat
	.globl	_ZN2at6native12_GLOBAL__N_135GammaBetaBackwardCUDAKernelTemplateIN3c108BFloat16EfLj32ELj32ELj256ELb0ELb1ELb0EEEvllPKT_S7_PKT0_SA_PS5_SB_ ; -- Begin function _ZN2at6native12_GLOBAL__N_135GammaBetaBackwardCUDAKernelTemplateIN3c108BFloat16EfLj32ELj32ELj256ELb0ELb1ELb0EEEvllPKT_S7_PKT0_SA_PS5_SB_
	.p2align	8
	.type	_ZN2at6native12_GLOBAL__N_135GammaBetaBackwardCUDAKernelTemplateIN3c108BFloat16EfLj32ELj32ELj256ELb0ELb1ELb0EEEvllPKT_S7_PKT0_SA_PS5_SB_,@function
_ZN2at6native12_GLOBAL__N_135GammaBetaBackwardCUDAKernelTemplateIN3c108BFloat16EfLj32ELj32ELj256ELb0ELb1ELb0EEEvllPKT_S7_PKT0_SA_PS5_SB_: ; @_ZN2at6native12_GLOBAL__N_135GammaBetaBackwardCUDAKernelTemplateIN3c108BFloat16EfLj32ELj32ELj256ELb0ELb1ELb0EEEvllPKT_S7_PKT0_SA_PS5_SB_
; %bb.0:
	s_load_b128 s[12:15], s[0:1], 0x0
	s_bfe_u32 s2, ttmp6, 0x40010
	s_bfe_u32 s3, ttmp6, 0x40004
	s_add_co_i32 s2, s2, 1
	s_getreg_b32 s24, hwreg(HW_REG_IB_STS2, 6, 4)
	s_mul_i32 s2, ttmp7, s2
	s_mov_b32 s17, 0
	s_add_co_i32 s3, s3, s2
	s_cmp_eq_u32 s24, 0
	v_bfe_u32 v11, v0, 10, 10
	s_cselect_b32 s2, ttmp7, s3
	s_delay_alu instid0(SALU_CYCLE_1)
	s_lshl_b32 s16, s2, 8
	s_wait_kmcnt 0x0
	v_cmp_gt_i64_e64 s2, s[12:13], s[16:17]
	s_and_b32 vcc_lo, exec_lo, s2
	s_cbranch_vccnz .LBB114_2
; %bb.1:
	v_bfe_u32 v1, v0, 10, 10
	s_mov_b32 s2, s17
	s_branch .LBB114_3
.LBB114_2:
	s_mov_b32 s2, -1
                                        ; implicit-def: $vgpr1
.LBB114_3:
	v_mov_b32_e32 v9, 0
	v_and_b32_e32 v10, 0x3ff, v0
	s_and_not1_b32 vcc_lo, exec_lo, s2
	s_delay_alu instid0(VALU_DEP_2)
	v_mov_b32_e32 v8, v9
	s_cbranch_vccnz .LBB114_11
; %bb.4:
	v_dual_mov_b32 v1, 0 :: v_dual_lshlrev_b32 v0, 3, v11
	s_load_b32 s2, s[0:1], 0x4c
	s_bfe_u32 s20, ttmp6, 0x4000c
	s_clause 0x1
	s_load_b32 s3, s[0:1], 0x44
	s_load_b256 s[4:11], s[0:1], 0x10
	s_add_co_i32 s20, s20, 1
	v_add_nc_u64_e32 v[2:3], s[16:17], v[0:1]
	s_and_b32 s18, ttmp6, 15
	s_mul_i32 s20, ttmp9, s20
	v_dual_mov_b32 v13, 12 :: v_dual_mov_b32 v5, v1
	s_add_co_i32 s18, s18, s20
	s_mov_b32 s19, 0
	s_delay_alu instid0(VALU_DEP_2)
	v_mul_u64_e32 v[6:7], s[14:15], v[2:3]
	v_dual_mov_b32 v0, 4 :: v_dual_mov_b32 v12, 8
	v_dual_mov_b32 v14, 16 :: v_dual_mov_b32 v15, 20
	;; [unrolled: 1-line block ×3, first 2 shown]
	s_wait_kmcnt 0x0
	s_and_b32 s2, s2, 0xffff
	s_cmp_eq_u32 s24, 0
	v_mad_u32_u24 v4, v11, s2, v10
	v_mov_b32_e32 v9, v1
	s_cselect_b32 s2, ttmp9, s18
	s_lshl_b32 s18, s3, 8
	v_lshl_add_u32 v8, s2, 5, v10
	v_and_b32_e32 v4, 31, v4
	s_mul_u64 s[22:23], s[14:15], s[18:19]
	s_lshl_b64 s[20:21], s[18:19], 2
	s_lshl_b64 s[22:23], s[22:23], 1
	v_lshlrev_b64_e32 v[18:19], 1, v[8:9]
	v_add_nc_u64_e32 v[2:3], v[2:3], v[4:5]
	v_cmp_gt_u32_e64 s2, 8, v4
	v_mov_b32_e32 v8, 0
	s_lshl_b64 s[14:15], s[14:15], 1
	v_lshlrev_b64_e32 v[4:5], 2, v[2:3]
	v_lshl_add_u64 v[6:7], v[6:7], 1, v[18:19]
	s_branch .LBB114_7
.LBB114_5:                              ;   in Loop: Header=BB114_7 Depth=1
	s_wait_xcnt 0x0
	s_or_b32 exec_lo, exec_lo, s25
.LBB114_6:                              ;   in Loop: Header=BB114_7 Depth=1
	s_delay_alu instid0(SALU_CYCLE_1)
	s_or_b32 exec_lo, exec_lo, s3
	v_add_nc_u64_e32 v[20:21], s[6:7], v[6:7]
	v_add_nc_u64_e32 v[22:23], s[4:5], v[6:7]
	s_wait_loadcnt 0x1
	ds_bpermute_b32 v43, v12, v19
	ds_bpermute_b32 v45, v13, v19
	s_wait_loadcnt 0x0
	ds_bpermute_b32 v42, v12, v18
	ds_bpermute_b32 v46, v14, v19
	;; [unrolled: 1-line block ×3, first 2 shown]
	v_add_nc_u64_e32 v[24:25], s[14:15], v[20:21]
	v_add_nc_u64_e32 v[26:27], s[14:15], v[22:23]
	global_load_u16 v28, v[20:21], off
	global_load_u16 v29, v[22:23], off
	ds_bpermute_b32 v47, v15, v18
	ds_bpermute_b32 v48, v16, v18
	s_add_nc_u64 s[16:17], s[16:17], s[18:19]
	s_wait_xcnt 0x1
	v_add_nc_u64_e32 v[20:21], s[14:15], v[24:25]
	s_wait_xcnt 0x0
	v_add_nc_u64_e32 v[22:23], s[14:15], v[26:27]
	global_load_u16 v30, v[24:25], off
	global_load_u16 v31, v[26:27], off
	v_cmp_lt_i64_e64 s3, s[16:17], s[12:13]
	v_add_nc_u64_e32 v[4:5], s[20:21], v[4:5]
	v_add_nc_u64_e32 v[2:3], s[18:19], v[2:3]
	v_add_nc_u64_e32 v[6:7], s[22:23], v[6:7]
	s_wait_xcnt 0x1
	v_add_nc_u64_e32 v[24:25], s[14:15], v[20:21]
	s_wait_xcnt 0x0
	v_add_nc_u64_e32 v[26:27], s[14:15], v[22:23]
	global_load_u16 v32, v[20:21], off
	global_load_u16 v33, v[22:23], off
	s_and_b32 vcc_lo, exec_lo, s3
	global_load_u16 v34, v[24:25], off
	global_load_u16 v35, v[26:27], off
	s_wait_xcnt 0x3
	v_add_nc_u64_e32 v[20:21], s[14:15], v[24:25]
	s_wait_xcnt 0x2
	v_add_nc_u64_e32 v[22:23], s[14:15], v[26:27]
	s_wait_xcnt 0x1
	s_delay_alu instid0(VALU_DEP_2)
	v_add_nc_u64_e32 v[24:25], s[14:15], v[20:21]
	global_load_u16 v26, v[20:21], off
	s_wait_xcnt 0x0
	v_add_nc_u64_e32 v[20:21], s[14:15], v[22:23]
	global_load_u16 v27, v[22:23], off
	global_load_u16 v36, v[24:25], off
	global_load_u16 v37, v[20:21], off
	s_wait_xcnt 0x2
	v_add_nc_u64_e32 v[22:23], s[14:15], v[24:25]
	global_load_u16 v38, v[22:23], off
	s_wait_xcnt 0x2
	v_add_nc_u64_e32 v[24:25], s[14:15], v[20:21]
	s_wait_xcnt 0x1
	v_add_nc_u64_e32 v[20:21], s[14:15], v[22:23]
	s_wait_xcnt 0x0
	s_delay_alu instid0(VALU_DEP_2)
	v_add_nc_u64_e32 v[22:23], s[14:15], v[24:25]
	global_load_u16 v39, v[24:25], off
	global_load_u16 v40, v[20:21], off
	;; [unrolled: 1-line block ×3, first 2 shown]
	s_wait_xcnt 0x1
	ds_bpermute_b32 v21, v1, v19
	s_wait_xcnt 0x0
	ds_bpermute_b32 v23, v0, v19
	ds_bpermute_b32 v24, v1, v18
	;; [unrolled: 1-line block ×3, first 2 shown]
	s_wait_loadcnt 0xe
	v_dual_lshlrev_b32 v22, 16, v28 :: v_dual_lshlrev_b32 v20, 16, v29
	ds_bpermute_b32 v28, v14, v18
	s_wait_loadcnt_dscnt 0xd04
	v_dual_sub_f32 v21, v22, v21 :: v_dual_lshlrev_b32 v29, 16, v30
	ds_bpermute_b32 v30, v15, v19
	s_wait_loadcnt 0xc
	v_dual_mul_f32 v21, v21, v20 :: v_dual_lshlrev_b32 v22, 16, v31
	s_wait_dscnt 0x4
	v_sub_f32_e32 v23, v29, v23
	ds_bpermute_b32 v29, v16, v19
	s_wait_loadcnt 0xb
	v_lshlrev_b32_e32 v31, 16, v32
	ds_bpermute_b32 v32, v17, v19
	s_wait_dscnt 0x5
	v_dual_mul_f32 v21, v21, v24 :: v_dual_mul_f32 v19, v23, v22
	s_wait_loadcnt 0xa
	v_dual_sub_f32 v31, v31, v43 :: v_dual_lshlrev_b32 v24, 16, v33
	s_wait_loadcnt 0x9
	v_lshlrev_b32_e32 v33, 16, v34
	v_pk_add_f32 v[8:9], v[8:9], v[20:21]
	s_wait_loadcnt_dscnt 0x804
	v_dual_mul_f32 v23, v19, v25 :: v_dual_lshlrev_b32 v20, 16, v35
	s_delay_alu instid0(VALU_DEP_3) | instskip(NEXT) | instid1(VALU_DEP_2)
	v_dual_mul_f32 v19, v31, v24 :: v_dual_sub_f32 v21, v33, v45
	v_pk_add_f32 v[8:9], v[8:9], v[22:23]
	s_wait_loadcnt 0x7
	v_lshlrev_b32_e32 v26, 16, v26
	s_wait_loadcnt 0x6
	v_dual_mul_f32 v25, v19, v42 :: v_dual_lshlrev_b32 v22, 16, v27
	s_delay_alu instid0(VALU_DEP_2)
	v_dual_mul_f32 v19, v21, v20 :: v_dual_sub_f32 v23, v26, v46
	s_wait_loadcnt 0x5
	v_lshlrev_b32_e32 v27, 16, v36
	ds_bpermute_b32 v26, v17, v18
	v_pk_add_f32 v[8:9], v[8:9], v[24:25]
	s_wait_loadcnt 0x4
	v_dual_mul_f32 v21, v19, v44 :: v_dual_lshlrev_b32 v18, 16, v37
	v_mul_f32_e32 v19, v23, v22
	s_wait_dscnt 0x3
	v_sub_f32_e32 v24, v27, v30
	s_delay_alu instid0(VALU_DEP_3) | instskip(SKIP_3) | instid1(VALU_DEP_1)
	v_pk_add_f32 v[8:9], v[8:9], v[20:21]
	s_wait_loadcnt 0x3
	v_dual_lshlrev_b32 v25, 16, v38 :: v_dual_mul_f32 v23, v19, v28
	s_wait_dscnt 0x2
	v_sub_f32_e32 v21, v25, v29
	s_delay_alu instid0(VALU_DEP_2) | instskip(SKIP_4) | instid1(VALU_DEP_2)
	v_pk_add_f32 v[8:9], v[8:9], v[22:23]
	s_wait_loadcnt 0x2
	v_dual_mul_f32 v19, v24, v18 :: v_dual_lshlrev_b32 v20, 16, v39
	s_wait_loadcnt 0x0
	v_dual_lshlrev_b32 v24, 16, v40 :: v_dual_lshlrev_b32 v22, 16, v41
	v_dual_mul_f32 v21, v21, v20 :: v_dual_mul_f32 v19, v19, v47
	s_wait_dscnt 0x1
	s_delay_alu instid0(VALU_DEP_2) | instskip(NEXT) | instid1(VALU_DEP_2)
	v_sub_f32_e32 v23, v24, v32
	v_mul_f32_e32 v21, v21, v48
	s_delay_alu instid0(VALU_DEP_3) | instskip(NEXT) | instid1(VALU_DEP_3)
	v_pk_add_f32 v[8:9], v[8:9], v[18:19]
	v_mul_f32_e32 v18, v23, v22
	s_delay_alu instid0(VALU_DEP_2) | instskip(SKIP_1) | instid1(VALU_DEP_2)
	v_pk_add_f32 v[8:9], v[8:9], v[20:21]
	s_wait_dscnt 0x0
	v_mul_f32_e32 v23, v18, v26
	s_delay_alu instid0(VALU_DEP_1)
	v_pk_add_f32 v[8:9], v[8:9], v[22:23]
	s_cbranch_vccz .LBB114_10
.LBB114_7:                              ; =>This Inner Loop Header: Depth=1
	v_dual_mov_b32 v18, 0 :: v_dual_mov_b32 v19, 0
	s_and_saveexec_b32 s3, s2
	s_cbranch_execz .LBB114_6
; %bb.8:                                ;   in Loop: Header=BB114_7 Depth=1
	v_dual_mov_b32 v19, 0 :: v_dual_mov_b32 v18, 0
	s_mov_b32 s25, exec_lo
	v_cmpx_gt_i64_e64 s[12:13], v[2:3]
	s_cbranch_execz .LBB114_5
; %bb.9:                                ;   in Loop: Header=BB114_7 Depth=1
	v_add_nc_u64_e32 v[20:21], s[8:9], v[4:5]
	v_add_nc_u64_e32 v[22:23], s[10:11], v[4:5]
	global_load_b32 v19, v[20:21], off
	global_load_b32 v18, v[22:23], off
	s_branch .LBB114_5
.LBB114_10:
	v_mov_b32_e32 v1, v11
.LBB114_11:
	s_load_b128 s[0:3], s[0:1], 0x30
	s_delay_alu instid0(VALU_DEP_1) | instskip(SKIP_2) | instid1(VALU_DEP_2)
	v_mad_u32_u24 v0, v1, 33, v10
	v_lshrrev_b32_e32 v2, 5, v10
	s_mov_b32 s4, exec_lo
	v_lshl_add_u32 v3, v0, 2, 0
	s_delay_alu instid0(VALU_DEP_2)
	v_add_nc_u32_e32 v0, v2, v1
	ds_store_b32 v3, v9
	ds_store_b32 v3, v8 offset:4224
	s_wait_dscnt 0x0
	s_barrier_signal -1
	s_barrier_wait -1
	v_cmpx_gt_u32_e32 32, v0
	s_cbranch_execz .LBB114_17
; %bb.12:
	v_mbcnt_lo_u32_b32 v2, -1, 0
	s_delay_alu instid0(VALU_DEP_1) | instskip(SKIP_1) | instid1(VALU_DEP_2)
	v_xor_b32_e32 v4, 16, v2
	v_xor_b32_e32 v6, 8, v2
	v_cmp_gt_i32_e32 vcc_lo, 32, v4
	v_dual_cndmask_b32 v4, v2, v4, vcc_lo :: v_dual_bitop2_b32 v1, 31, v10 bitop3:0x40
	s_delay_alu instid0(VALU_DEP_1) | instskip(NEXT) | instid1(VALU_DEP_4)
	v_mad_u32_u24 v1, v1, 33, v0
	v_cmp_gt_i32_e32 vcc_lo, 32, v6
	s_delay_alu instid0(VALU_DEP_3) | instskip(NEXT) | instid1(VALU_DEP_3)
	v_lshlrev_b32_e32 v4, 2, v4
	v_lshl_add_u32 v1, v1, 2, 0
	ds_load_b32 v3, v1
	ds_load_b32 v1, v1 offset:4224
	s_wait_dscnt 0x1
	ds_bpermute_b32 v5, v4, v3
	s_wait_dscnt 0x1
	ds_bpermute_b32 v4, v4, v1
	s_wait_dscnt 0x1
	v_dual_cndmask_b32 v6, v2, v6 :: v_dual_add_f32 v3, v3, v5
	s_wait_dscnt 0x0
	s_delay_alu instid0(VALU_DEP_1)
	v_dual_add_f32 v1, v1, v4 :: v_dual_lshlrev_b32 v6, 2, v6
	ds_bpermute_b32 v4, v6, v3
	s_wait_dscnt 0x0
	v_add_f32_e32 v3, v3, v4
	ds_bpermute_b32 v5, v6, v1
	s_wait_dscnt 0x0
	v_dual_add_f32 v1, v1, v5 :: v_dual_bitop2_b32 v6, 4, v2 bitop3:0x14
	s_delay_alu instid0(VALU_DEP_1) | instskip(SKIP_1) | instid1(VALU_DEP_1)
	v_cmp_gt_i32_e32 vcc_lo, 32, v6
	v_cndmask_b32_e32 v6, v2, v6, vcc_lo
	v_lshlrev_b32_e32 v6, 2, v6
	ds_bpermute_b32 v5, v6, v1
	s_wait_dscnt 0x0
	v_add_f32_e32 v1, v1, v5
	ds_bpermute_b32 v4, v6, v3
	s_wait_dscnt 0x0
	v_dual_add_f32 v3, v3, v4 :: v_dual_bitop2_b32 v6, 2, v2 bitop3:0x14
	s_delay_alu instid0(VALU_DEP_1) | instskip(SKIP_1) | instid1(VALU_DEP_1)
	v_cmp_gt_i32_e32 vcc_lo, 32, v6
	v_cndmask_b32_e32 v6, v2, v6, vcc_lo
	v_lshlrev_b32_e32 v6, 2, v6
	ds_bpermute_b32 v4, v6, v3
	ds_bpermute_b32 v5, v6, v1
	v_xor_b32_e32 v6, 1, v2
	s_delay_alu instid0(VALU_DEP_1) | instskip(SKIP_3) | instid1(VALU_DEP_2)
	v_cmp_gt_i32_e32 vcc_lo, 32, v6
	v_cndmask_b32_e32 v2, v2, v6, vcc_lo
	v_cmp_eq_u32_e32 vcc_lo, 0, v10
	s_wait_dscnt 0x1
	v_dual_lshlrev_b32 v6, 2, v2 :: v_dual_add_f32 v4, v3, v4
	s_wait_dscnt 0x0
	v_add_f32_e32 v2, v1, v5
	ds_bpermute_b32 v5, v6, v4
	ds_bpermute_b32 v3, v6, v2
	s_and_b32 exec_lo, exec_lo, vcc_lo
	s_cbranch_execz .LBB114_17
; %bb.13:
	s_bfe_u32 s4, ttmp6, 0x4000c
	s_and_b32 s5, ttmp6, 15
	s_add_co_i32 s4, s4, 1
	s_delay_alu instid0(SALU_CYCLE_1) | instskip(NEXT) | instid1(SALU_CYCLE_1)
	s_mul_i32 s4, ttmp9, s4
	s_add_co_i32 s4, s5, s4
	s_cmp_eq_u32 s24, 0
	s_mov_b32 s5, 0
	s_cselect_b32 s4, ttmp9, s4
	s_delay_alu instid0(SALU_CYCLE_1)
	s_lshl_b64 s[4:5], s[4:5], 5
	s_wait_kmcnt 0x0
	s_cmp_eq_u64 s[0:1], 0
	v_dual_mov_b32 v1, s5 :: v_dual_bitop2_b32 v0, s4, v0 bitop3:0x54
	s_cbranch_scc1 .LBB114_15
; %bb.14:
	s_wait_dscnt 0x1
	v_add_f32_e32 v4, v4, v5
	s_delay_alu instid0(VALU_DEP_1) | instskip(NEXT) | instid1(VALU_DEP_1)
	v_bfe_u32 v5, v4, 16, 1
	v_add3_u32 v5, v4, v5, 0x7fff
	s_delay_alu instid0(VALU_DEP_1) | instskip(SKIP_1) | instid1(VALU_DEP_2)
	v_lshrrev_b32_e32 v5, 16, v5
	v_cmp_o_f32_e32 vcc_lo, v4, v4
	v_cndmask_b32_e32 v6, 0x7fc0, v5, vcc_lo
	v_lshl_add_u64 v[4:5], v[0:1], 1, s[0:1]
	global_store_b16 v[4:5], v6, off
.LBB114_15:
	s_cmp_eq_u64 s[2:3], 0
	s_cbranch_scc1 .LBB114_17
; %bb.16:
	s_wait_dscnt 0x0
	v_add_f32_e32 v2, v2, v3
	v_lshl_add_u64 v[0:1], v[0:1], 1, s[2:3]
	s_delay_alu instid0(VALU_DEP_2) | instskip(NEXT) | instid1(VALU_DEP_1)
	v_bfe_u32 v3, v2, 16, 1
	v_add3_u32 v3, v2, v3, 0x7fff
	s_delay_alu instid0(VALU_DEP_1) | instskip(SKIP_1) | instid1(VALU_DEP_2)
	v_lshrrev_b32_e32 v3, 16, v3
	v_cmp_o_f32_e32 vcc_lo, v2, v2
	v_cndmask_b32_e32 v2, 0x7fc0, v3, vcc_lo
	global_store_b16 v[0:1], v2, off
.LBB114_17:
	s_endpgm
	.section	.rodata,"a",@progbits
	.p2align	6, 0x0
	.amdhsa_kernel _ZN2at6native12_GLOBAL__N_135GammaBetaBackwardCUDAKernelTemplateIN3c108BFloat16EfLj32ELj32ELj256ELb0ELb1ELb0EEEvllPKT_S7_PKT0_SA_PS5_SB_
		.amdhsa_group_segment_fixed_size 0
		.amdhsa_private_segment_fixed_size 0
		.amdhsa_kernarg_size 320
		.amdhsa_user_sgpr_count 2
		.amdhsa_user_sgpr_dispatch_ptr 0
		.amdhsa_user_sgpr_queue_ptr 0
		.amdhsa_user_sgpr_kernarg_segment_ptr 1
		.amdhsa_user_sgpr_dispatch_id 0
		.amdhsa_user_sgpr_kernarg_preload_length 0
		.amdhsa_user_sgpr_kernarg_preload_offset 0
		.amdhsa_user_sgpr_private_segment_size 0
		.amdhsa_wavefront_size32 1
		.amdhsa_uses_dynamic_stack 0
		.amdhsa_enable_private_segment 0
		.amdhsa_system_sgpr_workgroup_id_x 1
		.amdhsa_system_sgpr_workgroup_id_y 1
		.amdhsa_system_sgpr_workgroup_id_z 0
		.amdhsa_system_sgpr_workgroup_info 0
		.amdhsa_system_vgpr_workitem_id 1
		.amdhsa_next_free_vgpr 49
		.amdhsa_next_free_sgpr 26
		.amdhsa_named_barrier_count 0
		.amdhsa_reserve_vcc 1
		.amdhsa_float_round_mode_32 0
		.amdhsa_float_round_mode_16_64 0
		.amdhsa_float_denorm_mode_32 3
		.amdhsa_float_denorm_mode_16_64 3
		.amdhsa_fp16_overflow 0
		.amdhsa_memory_ordered 1
		.amdhsa_forward_progress 1
		.amdhsa_inst_pref_size 16
		.amdhsa_round_robin_scheduling 0
		.amdhsa_exception_fp_ieee_invalid_op 0
		.amdhsa_exception_fp_denorm_src 0
		.amdhsa_exception_fp_ieee_div_zero 0
		.amdhsa_exception_fp_ieee_overflow 0
		.amdhsa_exception_fp_ieee_underflow 0
		.amdhsa_exception_fp_ieee_inexact 0
		.amdhsa_exception_int_div_zero 0
	.end_amdhsa_kernel
	.section	.text._ZN2at6native12_GLOBAL__N_135GammaBetaBackwardCUDAKernelTemplateIN3c108BFloat16EfLj32ELj32ELj256ELb0ELb1ELb0EEEvllPKT_S7_PKT0_SA_PS5_SB_,"axG",@progbits,_ZN2at6native12_GLOBAL__N_135GammaBetaBackwardCUDAKernelTemplateIN3c108BFloat16EfLj32ELj32ELj256ELb0ELb1ELb0EEEvllPKT_S7_PKT0_SA_PS5_SB_,comdat
.Lfunc_end114:
	.size	_ZN2at6native12_GLOBAL__N_135GammaBetaBackwardCUDAKernelTemplateIN3c108BFloat16EfLj32ELj32ELj256ELb0ELb1ELb0EEEvllPKT_S7_PKT0_SA_PS5_SB_, .Lfunc_end114-_ZN2at6native12_GLOBAL__N_135GammaBetaBackwardCUDAKernelTemplateIN3c108BFloat16EfLj32ELj32ELj256ELb0ELb1ELb0EEEvllPKT_S7_PKT0_SA_PS5_SB_
                                        ; -- End function
	.set _ZN2at6native12_GLOBAL__N_135GammaBetaBackwardCUDAKernelTemplateIN3c108BFloat16EfLj32ELj32ELj256ELb0ELb1ELb0EEEvllPKT_S7_PKT0_SA_PS5_SB_.num_vgpr, 49
	.set _ZN2at6native12_GLOBAL__N_135GammaBetaBackwardCUDAKernelTemplateIN3c108BFloat16EfLj32ELj32ELj256ELb0ELb1ELb0EEEvllPKT_S7_PKT0_SA_PS5_SB_.num_agpr, 0
	.set _ZN2at6native12_GLOBAL__N_135GammaBetaBackwardCUDAKernelTemplateIN3c108BFloat16EfLj32ELj32ELj256ELb0ELb1ELb0EEEvllPKT_S7_PKT0_SA_PS5_SB_.numbered_sgpr, 26
	.set _ZN2at6native12_GLOBAL__N_135GammaBetaBackwardCUDAKernelTemplateIN3c108BFloat16EfLj32ELj32ELj256ELb0ELb1ELb0EEEvllPKT_S7_PKT0_SA_PS5_SB_.num_named_barrier, 0
	.set _ZN2at6native12_GLOBAL__N_135GammaBetaBackwardCUDAKernelTemplateIN3c108BFloat16EfLj32ELj32ELj256ELb0ELb1ELb0EEEvllPKT_S7_PKT0_SA_PS5_SB_.private_seg_size, 0
	.set _ZN2at6native12_GLOBAL__N_135GammaBetaBackwardCUDAKernelTemplateIN3c108BFloat16EfLj32ELj32ELj256ELb0ELb1ELb0EEEvllPKT_S7_PKT0_SA_PS5_SB_.uses_vcc, 1
	.set _ZN2at6native12_GLOBAL__N_135GammaBetaBackwardCUDAKernelTemplateIN3c108BFloat16EfLj32ELj32ELj256ELb0ELb1ELb0EEEvllPKT_S7_PKT0_SA_PS5_SB_.uses_flat_scratch, 0
	.set _ZN2at6native12_GLOBAL__N_135GammaBetaBackwardCUDAKernelTemplateIN3c108BFloat16EfLj32ELj32ELj256ELb0ELb1ELb0EEEvllPKT_S7_PKT0_SA_PS5_SB_.has_dyn_sized_stack, 0
	.set _ZN2at6native12_GLOBAL__N_135GammaBetaBackwardCUDAKernelTemplateIN3c108BFloat16EfLj32ELj32ELj256ELb0ELb1ELb0EEEvllPKT_S7_PKT0_SA_PS5_SB_.has_recursion, 0
	.set _ZN2at6native12_GLOBAL__N_135GammaBetaBackwardCUDAKernelTemplateIN3c108BFloat16EfLj32ELj32ELj256ELb0ELb1ELb0EEEvllPKT_S7_PKT0_SA_PS5_SB_.has_indirect_call, 0
	.section	.AMDGPU.csdata,"",@progbits
; Kernel info:
; codeLenInByte = 1944
; TotalNumSgprs: 28
; NumVgprs: 49
; ScratchSize: 0
; MemoryBound: 0
; FloatMode: 240
; IeeeMode: 1
; LDSByteSize: 0 bytes/workgroup (compile time only)
; SGPRBlocks: 0
; VGPRBlocks: 3
; NumSGPRsForWavesPerEU: 28
; NumVGPRsForWavesPerEU: 49
; NamedBarCnt: 0
; Occupancy: 16
; WaveLimiterHint : 0
; COMPUTE_PGM_RSRC2:SCRATCH_EN: 0
; COMPUTE_PGM_RSRC2:USER_SGPR: 2
; COMPUTE_PGM_RSRC2:TRAP_HANDLER: 0
; COMPUTE_PGM_RSRC2:TGID_X_EN: 1
; COMPUTE_PGM_RSRC2:TGID_Y_EN: 1
; COMPUTE_PGM_RSRC2:TGID_Z_EN: 0
; COMPUTE_PGM_RSRC2:TIDIG_COMP_CNT: 1
	.section	.text._ZN2at6native12_GLOBAL__N_135GammaBetaBackwardCUDAKernelTemplateIN3c108BFloat16EfLj32ELj32ELj256ELb0ELb0ELb0EEEvllPKT_S7_PKT0_SA_PS5_SB_,"axG",@progbits,_ZN2at6native12_GLOBAL__N_135GammaBetaBackwardCUDAKernelTemplateIN3c108BFloat16EfLj32ELj32ELj256ELb0ELb0ELb0EEEvllPKT_S7_PKT0_SA_PS5_SB_,comdat
	.globl	_ZN2at6native12_GLOBAL__N_135GammaBetaBackwardCUDAKernelTemplateIN3c108BFloat16EfLj32ELj32ELj256ELb0ELb0ELb0EEEvllPKT_S7_PKT0_SA_PS5_SB_ ; -- Begin function _ZN2at6native12_GLOBAL__N_135GammaBetaBackwardCUDAKernelTemplateIN3c108BFloat16EfLj32ELj32ELj256ELb0ELb0ELb0EEEvllPKT_S7_PKT0_SA_PS5_SB_
	.p2align	8
	.type	_ZN2at6native12_GLOBAL__N_135GammaBetaBackwardCUDAKernelTemplateIN3c108BFloat16EfLj32ELj32ELj256ELb0ELb0ELb0EEEvllPKT_S7_PKT0_SA_PS5_SB_,@function
_ZN2at6native12_GLOBAL__N_135GammaBetaBackwardCUDAKernelTemplateIN3c108BFloat16EfLj32ELj32ELj256ELb0ELb0ELb0EEEvllPKT_S7_PKT0_SA_PS5_SB_: ; @_ZN2at6native12_GLOBAL__N_135GammaBetaBackwardCUDAKernelTemplateIN3c108BFloat16EfLj32ELj32ELj256ELb0ELb0ELb0EEEvllPKT_S7_PKT0_SA_PS5_SB_
; %bb.0:
	s_load_b256 s[4:11], s[0:1], 0x0
	s_bfe_u32 s3, ttmp6, 0x4000c
	s_bfe_u32 s12, ttmp6, 0x40010
	s_add_co_i32 s3, s3, 1
	s_add_co_i32 s12, s12, 1
	s_and_b32 s2, ttmp6, 15
	s_bfe_u32 s13, ttmp6, 0x40004
	s_mul_i32 s3, ttmp9, s3
	s_mul_i32 s12, ttmp7, s12
	s_getreg_b32 s14, hwreg(HW_REG_IB_STS2, 6, 4)
	s_add_co_i32 s2, s2, s3
	s_add_co_i32 s3, s13, s12
	s_cmp_eq_u32 s14, 0
	s_mov_b32 s19, 0
	s_cselect_b32 s16, ttmp9, s2
	s_cselect_b32 s2, ttmp7, s3
	s_lshl_b32 s3, s16, 5
	s_load_b128 s[12:15], s[0:1], 0x20
	s_or_b32 s18, s3, 31
	s_wait_kmcnt 0x0
	v_cmp_le_i64_e64 s20, s[6:7], s[18:19]
	s_lshl_b32 s18, s2, 8
	s_delay_alu instid0(SALU_CYCLE_1) | instskip(SKIP_2) | instid1(VALU_DEP_1)
	v_cmp_gt_i64_e64 s17, s[4:5], s[18:19]
	s_and_b32 vcc_lo, exec_lo, s20
	v_cndmask_b32_e64 v1, 0, 1, s17
	v_cmp_ne_u32_e64 s2, 1, v1
	s_cbranch_vccz .LBB115_48
; %bb.1:
	v_mov_b32_e32 v33, 0
	s_and_b32 vcc_lo, exec_lo, s2
	s_delay_alu instid0(VALU_DEP_1)
	v_mov_b32_e32 v32, v33
	s_cbranch_vccnz .LBB115_49
; %bb.2:
	v_bfe_u32 v1, v0, 10, 10
	v_mov_b32_e32 v2, 0
	v_and_b32_e32 v62, 0x3ff, v0
	s_load_b32 s20, s[0:1], 0x44
	s_mov_b32 s21, 0
	s_delay_alu instid0(VALU_DEP_2) | instskip(NEXT) | instid1(VALU_DEP_2)
	v_dual_mov_b32 v21, v2 :: v_dual_lshlrev_b32 v20, 3, v1
	v_dual_mov_b32 v19, v2 :: v_dual_add_nc_u32 v18, s3, v62
	v_mov_b32_e32 v32, 0
	s_mov_b32 s37, s21
	s_delay_alu instid0(VALU_DEP_3)
	v_add_nc_u64_e32 v[4:5], s[18:19], v[20:21]
	v_mov_b32_e32 v33, v2
	v_cmp_gt_i64_e64 s2, s[6:7], v[18:19]
	v_lshlrev_b64_e32 v[22:23], 1, v[18:19]
	s_add_nc_u64 s[22:23], s[0:1], 64
	s_mov_b64 s[24:25], 0xffffffffffffff01
	s_mov_b64 s[26:27], 0xffffffffffffff02
	v_mul_u64_e32 v[6:7], s[6:7], v[4:5]
	v_add_nc_u64_e32 v[8:9], 7, v[4:5]
	v_add_nc_u64_e32 v[10:11], 6, v[4:5]
	;; [unrolled: 1-line block ×6, first 2 shown]
	s_wait_kmcnt 0x0
	s_lshl_b32 s36, s20, 8
	v_mul_u64_e32 v[8:9], s[6:7], v[8:9]
	v_mul_u64_e32 v[10:11], s[6:7], v[10:11]
	;; [unrolled: 1-line block ×6, first 2 shown]
	s_mul_u64 s[44:45], s[6:7], s[36:37]
	s_mov_b64 s[28:29], 0xffffffffffffff03
	s_mov_b64 s[30:31], 0xffffffffffffff04
	;; [unrolled: 1-line block ×6, first 2 shown]
	s_lshl_b64 s[44:45], s[44:45], 1
	s_add_nc_u64 s[46:47], s[18:19], 0xff
	s_mov_b64 s[48:49], s[18:19]
	v_lshlrev_b64_e32 v[26:27], 1, v[6:7]
	v_add_nc_u64_e32 v[6:7], s[6:7], v[6:7]
	s_delay_alu instid0(VALU_DEP_2)
	v_add_nc_u64_e32 v[24:25], s[8:9], v[26:27]
	v_lshlrev_b64_e32 v[8:9], 1, v[8:9]
	v_lshlrev_b64_e32 v[10:11], 1, v[10:11]
	;; [unrolled: 1-line block ×7, first 2 shown]
	v_add_nc_u64_e32 v[26:27], s[10:11], v[26:27]
	v_add_nc_u64_e32 v[28:29], s[8:9], v[8:9]
	;; [unrolled: 1-line block ×15, first 2 shown]
	s_branch .LBB115_5
.LBB115_3:                              ;   in Loop: Header=BB115_5 Depth=1
	s_or_b32 exec_lo, exec_lo, s20
	s_wait_loadcnt 0x1
	ds_bpermute_b32 v3, v2, v60
	ds_bpermute_b32 v59, v2, v60 offset:4
	ds_bpermute_b32 v63, v2, v60 offset:8
	s_wait_loadcnt 0x0
	ds_bpermute_b32 v64, v2, v61
	ds_bpermute_b32 v65, v2, v60 offset:12
	ds_bpermute_b32 v66, v2, v61 offset:4
	;; [unrolled: 1-line block ×9, first 2 shown]
	s_wait_dscnt 0xc
	v_dual_mov_b32 v58, v5 :: v_dual_sub_f32 v3, v12, v3
	s_wait_dscnt 0xb
	v_dual_mov_b32 v12, v4 :: v_dual_sub_f32 v13, v13, v59
	s_wait_dscnt 0xa
	v_sub_f32_e32 v59, v14, v63
	v_dual_mul_f32 v3, v4, v3 :: v_dual_mov_b32 v4, v6
	s_delay_alu instid0(VALU_DEP_3) | instskip(SKIP_1) | instid1(VALU_DEP_2)
	v_dual_mul_f32 v5, v5, v13 :: v_dual_mov_b32 v14, v7
	s_wait_dscnt 0x9
	v_dual_mul_f32 v6, v6, v59 :: v_dual_mul_f32 v13, v3, v64
	s_wait_dscnt 0x7
	s_delay_alu instid0(VALU_DEP_2) | instskip(SKIP_1) | instid1(VALU_DEP_2)
	v_dual_sub_f32 v3, v15, v65 :: v_dual_mul_f32 v59, v5, v66
	s_wait_dscnt 0x6
	v_mul_f32_e32 v5, v6, v67
	v_pk_add_f32 v[12:13], v[32:33], v[12:13]
	ds_bpermute_b32 v32, v2, v61 offset:24
	s_wait_dscnt 0x6
	v_dual_sub_f32 v15, v16, v69 :: v_dual_mul_f32 v3, v7, v3
	v_pk_add_f32 v[6:7], v[58:59], v[12:13]
	s_wait_dscnt 0x4
	v_dual_mov_b32 v12, v8 :: v_dual_sub_f32 v13, v17, v72
	s_delay_alu instid0(VALU_DEP_3) | instskip(NEXT) | instid1(VALU_DEP_3)
	v_dual_mul_f32 v8, v8, v15 :: v_dual_mul_f32 v15, v3, v68
	v_pk_add_f32 v[4:5], v[4:5], v[6:7]
	ds_bpermute_b32 v3, v2, v61 offset:28
	s_wait_dscnt 0x3
	v_sub_f32_e32 v16, v18, v73
	v_dual_mul_f32 v17, v9, v13 :: v_dual_mul_f32 v13, v8, v70
	v_pk_add_f32 v[6:7], v[14:15], v[4:5]
	ds_bpermute_b32 v4, v2, v60 offset:28
	v_dual_mov_b32 v8, v9 :: v_dual_mul_f32 v5, v10, v16
	s_wait_dscnt 0x3
	v_mul_f32_e32 v9, v17, v71
	v_pk_add_f32 v[6:7], v[12:13], v[6:7]
	s_wait_dscnt 0x2
	v_dual_mov_b32 v12, v10 :: v_dual_mul_f32 v13, v5, v32
	s_delay_alu instid0(VALU_DEP_2) | instskip(NEXT) | instid1(VALU_DEP_1)
	v_pk_add_f32 v[6:7], v[8:9], v[6:7]
	v_pk_add_f32 v[60:61], v[12:13], v[6:7]
.LBB115_4:                              ;   in Loop: Header=BB115_5 Depth=1
	s_wait_dscnt 0x0
	v_sub_f32_e32 v5, v19, v4
	v_mov_b32_e32 v4, v11
	s_add_nc_u64 s[48:49], s[48:49], s[36:37]
	v_add_nc_u64_e32 v[24:25], s[44:45], v[24:25]
	v_cmp_lt_i64_e64 s20, s[48:49], s[4:5]
	v_mul_f32_e32 v5, v11, v5
	v_add_nc_u64_e32 v[26:27], s[44:45], v[26:27]
	v_add_nc_u64_e32 v[28:29], s[44:45], v[28:29]
	;; [unrolled: 1-line block ×4, first 2 shown]
	v_mul_f32_e32 v5, v5, v3
	v_add_nc_u64_e32 v[36:37], s[44:45], v[36:37]
	v_add_nc_u64_e32 v[38:39], s[44:45], v[38:39]
	;; [unrolled: 1-line block ×11, first 2 shown]
	v_pk_add_f32 v[32:33], v[60:61], v[4:5]
	s_and_b32 vcc_lo, exec_lo, s20
	s_add_nc_u64 s[46:47], s[46:47], s[36:37]
	s_cbranch_vccz .LBB115_49
.LBB115_5:                              ; =>This Inner Loop Header: Depth=1
	v_cmp_ge_i64_e64 s20, s[46:47], s[4:5]
	v_add_nc_u64_e32 v[58:59], s[46:47], v[20:21]
                                        ; implicit-def: $vgpr4_vgpr5_vgpr6_vgpr7_vgpr8_vgpr9_vgpr10_vgpr11
                                        ; implicit-def: $vgpr60_vgpr61
                                        ; implicit-def: $vgpr3
                                        ; implicit-def: $vgpr12_vgpr13_vgpr14_vgpr15_vgpr16_vgpr17_vgpr18_vgpr19
                                        ; implicit-def: $vgpr4
	s_and_b32 vcc_lo, exec_lo, s20
	s_mov_b32 s20, -1
	s_cbranch_vccz .LBB115_27
; %bb.6:                                ;   in Loop: Header=BB115_5 Depth=1
	s_load_b32 s20, s[22:23], 0xc
	v_dual_mov_b32 v60, 0 :: v_dual_mov_b32 v61, 0
	s_wait_kmcnt 0x0
	s_and_b32 s20, s20, 0xffff
	s_delay_alu instid0(SALU_CYCLE_1) | instskip(SKIP_1) | instid1(VALU_DEP_1)
	v_mad_u32_u24 v3, v1, s20, v62
	s_mov_b32 s20, exec_lo
	v_and_b32_e32 v4, 31, v3
	s_delay_alu instid0(VALU_DEP_1)
	v_cmpx_gt_u32_e32 8, v4
	s_cbranch_execz .LBB115_10
; %bb.7:                                ;   in Loop: Header=BB115_5 Depth=1
	v_dual_mov_b32 v5, v2 :: v_dual_mov_b32 v60, 0
	v_mov_b32_e32 v61, 0
	s_mov_b32 s33, exec_lo
	s_delay_alu instid0(VALU_DEP_2) | instskip(NEXT) | instid1(VALU_DEP_1)
	v_add_nc_u64_e32 v[4:5], v[58:59], v[4:5]
	v_add_nc_u64_e32 v[4:5], s[24:25], v[4:5]
	s_delay_alu instid0(VALU_DEP_1)
	v_cmpx_gt_i64_e64 s[4:5], v[4:5]
	s_cbranch_execz .LBB115_9
; %bb.8:                                ;   in Loop: Header=BB115_5 Depth=1
	v_lshlrev_b64_e32 v[4:5], 2, v[4:5]
	s_delay_alu instid0(VALU_DEP_1)
	v_add_nc_u64_e32 v[6:7], s[12:13], v[4:5]
	v_add_nc_u64_e32 v[4:5], s[14:15], v[4:5]
	global_load_b32 v60, v[6:7], off
	global_load_b32 v61, v[4:5], off
.LBB115_9:                              ;   in Loop: Header=BB115_5 Depth=1
	s_wait_xcnt 0x0
	s_or_b32 exec_lo, exec_lo, s33
.LBB115_10:                             ;   in Loop: Header=BB115_5 Depth=1
	s_delay_alu instid0(SALU_CYCLE_1)
	s_or_b32 exec_lo, exec_lo, s20
	v_add_nc_u64_e32 v[10:11], s[24:25], v[58:59]
	v_dual_mov_b32 v7, v2 :: v_dual_mov_b32 v8, v2
	v_dual_mov_b32 v9, v2 :: v_dual_mov_b32 v3, v2
	v_dual_mov_b32 v4, v2 :: v_dual_mov_b32 v5, v2
	v_mov_b32_e32 v6, v2
	v_cmp_gt_i64_e32 vcc_lo, s[4:5], v[10:11]
	s_delay_alu instid0(VALU_DEP_4)
	v_mov_b64_e32 v[18:19], v[8:9]
	v_mov_b64_e32 v[12:13], v[2:3]
	;; [unrolled: 1-line block ×8, first 2 shown]
	s_and_b32 s33, s2, vcc_lo
	s_delay_alu instid0(SALU_CYCLE_1)
	s_and_saveexec_b32 s20, s33
	s_cbranch_execz .LBB115_12
; %bb.11:                               ;   in Loop: Header=BB115_5 Depth=1
	v_add_nc_u64_e32 v[4:5], v[24:25], v[22:23]
	v_add_nc_u64_e32 v[6:7], v[26:27], v[22:23]
	v_dual_mov_b32 v9, v2 :: v_dual_mov_b32 v10, v2
	v_dual_mov_b32 v11, v2 :: v_dual_mov_b32 v13, v2
	;; [unrolled: 1-line block ×3, first 2 shown]
	global_load_u16 v3, v[4:5], off
	global_load_u16 v12, v[6:7], off
	s_wait_xcnt 0x0
	v_dual_mov_b32 v5, v2 :: v_dual_mov_b32 v6, v2
	v_dual_mov_b32 v7, v2 :: v_dual_mov_b32 v8, v2
	;; [unrolled: 1-line block ×4, first 2 shown]
	s_wait_loadcnt 0x0
	v_dual_lshlrev_b32 v4, 16, v3 :: v_dual_lshlrev_b32 v12, 16, v12
.LBB115_12:                             ;   in Loop: Header=BB115_5 Depth=1
	s_or_b32 exec_lo, exec_lo, s20
	v_add_nc_u64_e32 v[64:65], s[26:27], v[58:59]
	s_delay_alu instid0(VALU_DEP_1) | instskip(SKIP_1) | instid1(SALU_CYCLE_1)
	v_cmp_gt_i64_e32 vcc_lo, s[4:5], v[64:65]
	s_and_b32 s33, s2, vcc_lo
	s_and_saveexec_b32 s20, s33
	s_cbranch_execz .LBB115_14
; %bb.13:                               ;   in Loop: Header=BB115_5 Depth=1
	v_add_nc_u64_e32 v[64:65], v[54:55], v[22:23]
	v_add_nc_u64_e32 v[66:67], v[56:57], v[22:23]
	global_load_u16 v3, v[64:65], off
	global_load_u16 v13, v[66:67], off
	s_wait_loadcnt 0x0
	v_dual_lshlrev_b32 v5, 16, v3 :: v_dual_lshlrev_b32 v13, 16, v13
.LBB115_14:                             ;   in Loop: Header=BB115_5 Depth=1
	s_or_b32 exec_lo, exec_lo, s20
	v_add_nc_u64_e32 v[64:65], s[28:29], v[58:59]
	s_delay_alu instid0(VALU_DEP_1) | instskip(SKIP_1) | instid1(SALU_CYCLE_1)
	v_cmp_gt_i64_e32 vcc_lo, s[4:5], v[64:65]
	s_and_b32 s33, s2, vcc_lo
	s_and_saveexec_b32 s20, s33
	s_cbranch_execz .LBB115_16
; %bb.15:                               ;   in Loop: Header=BB115_5 Depth=1
	v_add_nc_u64_e32 v[64:65], v[50:51], v[22:23]
	v_add_nc_u64_e32 v[66:67], v[52:53], v[22:23]
	global_load_u16 v3, v[64:65], off
	global_load_u16 v14, v[66:67], off
	s_wait_loadcnt 0x0
	v_dual_lshlrev_b32 v6, 16, v3 :: v_dual_lshlrev_b32 v14, 16, v14
.LBB115_16:                             ;   in Loop: Header=BB115_5 Depth=1
	s_or_b32 exec_lo, exec_lo, s20
	v_add_nc_u64_e32 v[64:65], s[30:31], v[58:59]
	s_delay_alu instid0(VALU_DEP_1) | instskip(SKIP_1) | instid1(SALU_CYCLE_1)
	v_cmp_gt_i64_e32 vcc_lo, s[4:5], v[64:65]
	s_and_b32 s33, s2, vcc_lo
	s_and_saveexec_b32 s20, s33
	s_cbranch_execz .LBB115_18
; %bb.17:                               ;   in Loop: Header=BB115_5 Depth=1
	v_add_nc_u64_e32 v[64:65], v[46:47], v[22:23]
	v_add_nc_u64_e32 v[66:67], v[48:49], v[22:23]
	global_load_u16 v3, v[64:65], off
	global_load_u16 v15, v[66:67], off
	s_wait_loadcnt 0x1
	v_lshlrev_b32_e32 v7, 16, v3
	s_wait_loadcnt 0x0
	v_lshlrev_b32_e32 v15, 16, v15
.LBB115_18:                             ;   in Loop: Header=BB115_5 Depth=1
	s_or_b32 exec_lo, exec_lo, s20
	v_add_nc_u64_e32 v[64:65], s[34:35], v[58:59]
	s_delay_alu instid0(VALU_DEP_1) | instskip(SKIP_1) | instid1(SALU_CYCLE_1)
	v_cmp_gt_i64_e32 vcc_lo, s[4:5], v[64:65]
	s_and_b32 s33, s2, vcc_lo
	s_and_saveexec_b32 s20, s33
	s_cbranch_execz .LBB115_20
; %bb.19:                               ;   in Loop: Header=BB115_5 Depth=1
	v_add_nc_u64_e32 v[64:65], v[42:43], v[22:23]
	v_add_nc_u64_e32 v[66:67], v[44:45], v[22:23]
	global_load_u16 v3, v[64:65], off
	global_load_u16 v16, v[66:67], off
	s_wait_loadcnt 0x0
	v_dual_lshlrev_b32 v8, 16, v3 :: v_dual_lshlrev_b32 v16, 16, v16
.LBB115_20:                             ;   in Loop: Header=BB115_5 Depth=1
	s_or_b32 exec_lo, exec_lo, s20
	v_add_nc_u64_e32 v[64:65], s[38:39], v[58:59]
	s_delay_alu instid0(VALU_DEP_1) | instskip(SKIP_1) | instid1(SALU_CYCLE_1)
	v_cmp_gt_i64_e32 vcc_lo, s[4:5], v[64:65]
	s_and_b32 s33, s2, vcc_lo
	s_and_saveexec_b32 s20, s33
	s_cbranch_execz .LBB115_22
; %bb.21:                               ;   in Loop: Header=BB115_5 Depth=1
	v_add_nc_u64_e32 v[64:65], v[38:39], v[22:23]
	v_add_nc_u64_e32 v[66:67], v[40:41], v[22:23]
	global_load_u16 v3, v[64:65], off
	global_load_u16 v17, v[66:67], off
	s_wait_loadcnt 0x0
	v_dual_lshlrev_b32 v9, 16, v3 :: v_dual_lshlrev_b32 v17, 16, v17
.LBB115_22:                             ;   in Loop: Header=BB115_5 Depth=1
	;; [unrolled: 15-line block ×3, first 2 shown]
	s_or_b32 exec_lo, exec_lo, s20
	v_add_nc_u64_e32 v[64:65], s[42:43], v[58:59]
	s_delay_alu instid0(VALU_DEP_1) | instskip(SKIP_1) | instid1(SALU_CYCLE_1)
	v_cmp_gt_i64_e32 vcc_lo, s[4:5], v[64:65]
	s_and_b32 s33, s2, vcc_lo
	s_and_saveexec_b32 s20, s33
	s_cbranch_execz .LBB115_26
; %bb.25:                               ;   in Loop: Header=BB115_5 Depth=1
	v_add_nc_u64_e32 v[64:65], v[28:29], v[22:23]
	v_add_nc_u64_e32 v[66:67], v[30:31], v[22:23]
	global_load_u16 v3, v[64:65], off
	global_load_u16 v19, v[66:67], off
	s_wait_loadcnt 0x1
	v_lshlrev_b32_e32 v11, 16, v3
	s_wait_loadcnt 0x0
	v_lshlrev_b32_e32 v19, 16, v19
.LBB115_26:                             ;   in Loop: Header=BB115_5 Depth=1
	s_or_b32 exec_lo, exec_lo, s20
	s_wait_loadcnt 0x1
	ds_bpermute_b32 v3, v2, v60
	ds_bpermute_b32 v63, v2, v60 offset:4
	ds_bpermute_b32 v65, v2, v60 offset:8
	s_wait_loadcnt 0x0
	ds_bpermute_b32 v66, v2, v61
	ds_bpermute_b32 v67, v2, v60 offset:12
	ds_bpermute_b32 v68, v2, v61 offset:4
	ds_bpermute_b32 v69, v2, v61 offset:8
	ds_bpermute_b32 v71, v2, v60 offset:16
	ds_bpermute_b32 v70, v2, v61 offset:12
	ds_bpermute_b32 v74, v2, v60 offset:20
	ds_bpermute_b32 v72, v2, v61 offset:16
	ds_bpermute_b32 v73, v2, v61 offset:20
	s_mov_b32 s20, 0
	s_wait_dscnt 0xb
	v_dual_mov_b32 v64, v5 :: v_dual_sub_f32 v3, v12, v3
	s_wait_dscnt 0xa
	v_dual_mov_b32 v12, v4 :: v_dual_sub_f32 v13, v13, v63
	ds_bpermute_b32 v63, v2, v60 offset:24
	v_dual_mul_f32 v3, v4, v3 :: v_dual_mov_b32 v4, v6
	s_wait_dscnt 0xa
	v_sub_f32_e32 v65, v14, v65
	v_dual_mul_f32 v5, v5, v13 :: v_dual_mov_b32 v14, v7
	s_wait_dscnt 0x9
	v_mul_f32_e32 v13, v3, v66
	s_wait_dscnt 0x8
	v_dual_sub_f32 v3, v15, v67 :: v_dual_mul_f32 v6, v6, v65
	s_wait_dscnt 0x5
	v_dual_mul_f32 v65, v5, v68 :: v_dual_sub_f32 v15, v16, v71
	v_pk_add_f32 v[12:13], v[32:33], v[12:13]
	ds_bpermute_b32 v66, v2, v61 offset:24
	v_dual_mul_f32 v3, v7, v3 :: v_dual_mul_f32 v5, v6, v69
	v_pk_add_f32 v[6:7], v[64:65], v[12:13]
	s_wait_dscnt 0x4
	v_dual_mov_b32 v12, v8 :: v_dual_sub_f32 v13, v17, v74
	s_delay_alu instid0(VALU_DEP_3) | instskip(NEXT) | instid1(VALU_DEP_3)
	v_dual_mul_f32 v8, v8, v15 :: v_dual_mul_f32 v15, v3, v70
	v_pk_add_f32 v[4:5], v[4:5], v[6:7]
	ds_bpermute_b32 v3, v2, v61 offset:28
	s_wait_dscnt 0x2
	v_dual_sub_f32 v16, v18, v63 :: v_dual_mul_f32 v17, v9, v13
	v_dual_mul_f32 v13, v8, v72 :: v_dual_mov_b32 v8, v9
	v_pk_add_f32 v[6:7], v[14:15], v[4:5]
	ds_bpermute_b32 v4, v2, v60 offset:28
	v_dual_mul_f32 v5, v10, v16 :: v_dual_mul_f32 v9, v17, v73
	v_pk_add_f32 v[6:7], v[12:13], v[6:7]
	s_wait_dscnt 0x2
	s_delay_alu instid0(VALU_DEP_2) | instskip(NEXT) | instid1(VALU_DEP_2)
	v_dual_mov_b32 v12, v10 :: v_dual_mul_f32 v13, v5, v66
	v_pk_add_f32 v[6:7], v[8:9], v[6:7]
	s_delay_alu instid0(VALU_DEP_1)
	v_pk_add_f32 v[60:61], v[12:13], v[6:7]
.LBB115_27:                             ;   in Loop: Header=BB115_5 Depth=1
	s_and_b32 vcc_lo, exec_lo, s20
	s_cbranch_vccz .LBB115_4
; %bb.28:                               ;   in Loop: Header=BB115_5 Depth=1
	s_load_b32 s20, s[22:23], 0x0
	v_dual_mov_b32 v60, 0 :: v_dual_mov_b32 v61, 0
	s_wait_kmcnt 0x0
	s_cmp_lt_u32 s16, s20
	s_cselect_b32 s20, 12, 18
	s_delay_alu instid0(SALU_CYCLE_1)
	s_add_nc_u64 s[50:51], s[22:23], s[20:21]
	s_load_u16 s20, s[50:51], 0x0
	s_wait_dscnt 0x1
	s_wait_kmcnt 0x0
	v_mad_u32_u24 v3, v1, s20, v62
	s_mov_b32 s20, exec_lo
	s_wait_dscnt 0x0
	s_delay_alu instid0(VALU_DEP_1) | instskip(NEXT) | instid1(VALU_DEP_1)
	v_and_b32_e32 v4, 31, v3
	v_cmpx_gt_u32_e32 8, v4
	s_cbranch_execz .LBB115_32
; %bb.29:                               ;   in Loop: Header=BB115_5 Depth=1
	v_dual_mov_b32 v5, v2 :: v_dual_mov_b32 v60, 0
	v_mov_b32_e32 v61, 0
	s_mov_b32 s33, exec_lo
	s_delay_alu instid0(VALU_DEP_2) | instskip(NEXT) | instid1(VALU_DEP_1)
	v_add_nc_u64_e32 v[4:5], v[58:59], v[4:5]
	v_add_nc_u64_e32 v[4:5], s[24:25], v[4:5]
	s_delay_alu instid0(VALU_DEP_1)
	v_cmpx_gt_i64_e64 s[4:5], v[4:5]
	s_cbranch_execz .LBB115_31
; %bb.30:                               ;   in Loop: Header=BB115_5 Depth=1
	v_lshlrev_b64_e32 v[4:5], 2, v[4:5]
	s_delay_alu instid0(VALU_DEP_1)
	v_add_nc_u64_e32 v[6:7], s[12:13], v[4:5]
	v_add_nc_u64_e32 v[4:5], s[14:15], v[4:5]
	global_load_b32 v60, v[6:7], off
	global_load_b32 v61, v[4:5], off
.LBB115_31:                             ;   in Loop: Header=BB115_5 Depth=1
	s_wait_xcnt 0x0
	s_or_b32 exec_lo, exec_lo, s33
.LBB115_32:                             ;   in Loop: Header=BB115_5 Depth=1
	s_delay_alu instid0(SALU_CYCLE_1) | instskip(SKIP_4) | instid1(VALU_DEP_3)
	s_or_b32 exec_lo, exec_lo, s20
	v_dual_mov_b32 v7, v2 :: v_dual_mov_b32 v8, v2
	v_dual_mov_b32 v9, v2 :: v_dual_mov_b32 v3, v2
	;; [unrolled: 1-line block ×3, first 2 shown]
	v_mov_b32_e32 v6, v2
	v_mov_b64_e32 v[18:19], v[8:9]
	s_delay_alu instid0(VALU_DEP_4) | instskip(NEXT) | instid1(VALU_DEP_4)
	v_mov_b64_e32 v[12:13], v[2:3]
	v_mov_b64_e32 v[14:15], v[4:5]
	s_delay_alu instid0(VALU_DEP_4)
	v_mov_b64_e32 v[16:17], v[6:7]
	v_mov_b64_e32 v[10:11], v[8:9]
	;; [unrolled: 1-line block ×5, first 2 shown]
	s_and_saveexec_b32 s20, s2
	s_cbranch_execz .LBB115_40
; %bb.33:                               ;   in Loop: Header=BB115_5 Depth=1
	v_add_nc_u64_e32 v[4:5], v[24:25], v[22:23]
	v_add_nc_u64_e32 v[6:7], v[26:27], v[22:23]
	v_dual_mov_b32 v9, v2 :: v_dual_mov_b32 v10, v2
	v_dual_mov_b32 v11, v2 :: v_dual_mov_b32 v13, v2
	;; [unrolled: 1-line block ×3, first 2 shown]
	global_load_u16 v3, v[4:5], off
	global_load_u16 v12, v[6:7], off
	s_wait_xcnt 0x0
	v_dual_mov_b32 v5, v2 :: v_dual_mov_b32 v6, v2
	v_dual_mov_b32 v7, v2 :: v_dual_mov_b32 v8, v2
	;; [unrolled: 1-line block ×4, first 2 shown]
	s_wait_loadcnt 0x0
	v_dual_lshlrev_b32 v4, 16, v3 :: v_dual_lshlrev_b32 v12, 16, v12
	s_or_b32 exec_lo, exec_lo, s20
	s_and_saveexec_b32 s20, s2
	s_cbranch_execnz .LBB115_41
.LBB115_34:                             ;   in Loop: Header=BB115_5 Depth=1
	s_or_b32 exec_lo, exec_lo, s20
	s_and_saveexec_b32 s20, s2
	s_cbranch_execz .LBB115_42
.LBB115_35:                             ;   in Loop: Header=BB115_5 Depth=1
	v_add_nc_u64_e32 v[58:59], v[50:51], v[22:23]
	v_add_nc_u64_e32 v[64:65], v[52:53], v[22:23]
	global_load_u16 v3, v[58:59], off
	global_load_u16 v14, v[64:65], off
	s_wait_loadcnt 0x0
	v_dual_lshlrev_b32 v6, 16, v3 :: v_dual_lshlrev_b32 v14, 16, v14
	s_or_b32 exec_lo, exec_lo, s20
	s_and_saveexec_b32 s20, s2
	s_cbranch_execnz .LBB115_43
.LBB115_36:                             ;   in Loop: Header=BB115_5 Depth=1
	s_or_b32 exec_lo, exec_lo, s20
	s_and_saveexec_b32 s20, s2
	s_cbranch_execz .LBB115_44
.LBB115_37:                             ;   in Loop: Header=BB115_5 Depth=1
	v_add_nc_u64_e32 v[58:59], v[42:43], v[22:23]
	v_add_nc_u64_e32 v[64:65], v[44:45], v[22:23]
	global_load_u16 v3, v[58:59], off
	global_load_u16 v16, v[64:65], off
	s_wait_loadcnt 0x0
	v_dual_lshlrev_b32 v8, 16, v3 :: v_dual_lshlrev_b32 v16, 16, v16
	s_or_b32 exec_lo, exec_lo, s20
	s_and_saveexec_b32 s20, s2
	s_cbranch_execnz .LBB115_45
.LBB115_38:                             ;   in Loop: Header=BB115_5 Depth=1
	s_or_b32 exec_lo, exec_lo, s20
	s_and_saveexec_b32 s20, s2
	s_cbranch_execz .LBB115_46
.LBB115_39:                             ;   in Loop: Header=BB115_5 Depth=1
	v_add_nc_u64_e32 v[58:59], v[34:35], v[22:23]
	v_add_nc_u64_e32 v[64:65], v[36:37], v[22:23]
	global_load_u16 v3, v[58:59], off
	global_load_u16 v18, v[64:65], off
	s_wait_loadcnt 0x0
	v_dual_lshlrev_b32 v10, 16, v3 :: v_dual_lshlrev_b32 v18, 16, v18
	s_or_b32 exec_lo, exec_lo, s20
	s_and_saveexec_b32 s20, s2
	s_cbranch_execz .LBB115_3
	s_branch .LBB115_47
.LBB115_40:                             ;   in Loop: Header=BB115_5 Depth=1
	s_or_b32 exec_lo, exec_lo, s20
	s_and_saveexec_b32 s20, s2
	s_cbranch_execz .LBB115_34
.LBB115_41:                             ;   in Loop: Header=BB115_5 Depth=1
	v_add_nc_u64_e32 v[58:59], v[54:55], v[22:23]
	v_add_nc_u64_e32 v[64:65], v[56:57], v[22:23]
	global_load_u16 v3, v[58:59], off
	global_load_u16 v13, v[64:65], off
	s_wait_loadcnt 0x0
	v_dual_lshlrev_b32 v5, 16, v3 :: v_dual_lshlrev_b32 v13, 16, v13
	s_or_b32 exec_lo, exec_lo, s20
	s_and_saveexec_b32 s20, s2
	s_cbranch_execnz .LBB115_35
.LBB115_42:                             ;   in Loop: Header=BB115_5 Depth=1
	s_or_b32 exec_lo, exec_lo, s20
	s_and_saveexec_b32 s20, s2
	s_cbranch_execz .LBB115_36
.LBB115_43:                             ;   in Loop: Header=BB115_5 Depth=1
	v_add_nc_u64_e32 v[58:59], v[46:47], v[22:23]
	v_add_nc_u64_e32 v[64:65], v[48:49], v[22:23]
	global_load_u16 v3, v[58:59], off
	global_load_u16 v15, v[64:65], off
	s_wait_loadcnt 0x1
	v_lshlrev_b32_e32 v7, 16, v3
	s_wait_loadcnt 0x0
	v_lshlrev_b32_e32 v15, 16, v15
	s_or_b32 exec_lo, exec_lo, s20
	s_and_saveexec_b32 s20, s2
	s_cbranch_execnz .LBB115_37
.LBB115_44:                             ;   in Loop: Header=BB115_5 Depth=1
	s_or_b32 exec_lo, exec_lo, s20
	s_and_saveexec_b32 s20, s2
	s_cbranch_execz .LBB115_38
.LBB115_45:                             ;   in Loop: Header=BB115_5 Depth=1
	v_add_nc_u64_e32 v[58:59], v[38:39], v[22:23]
	v_add_nc_u64_e32 v[64:65], v[40:41], v[22:23]
	global_load_u16 v3, v[58:59], off
	global_load_u16 v17, v[64:65], off
	s_wait_loadcnt 0x0
	v_dual_lshlrev_b32 v9, 16, v3 :: v_dual_lshlrev_b32 v17, 16, v17
	s_or_b32 exec_lo, exec_lo, s20
	s_and_saveexec_b32 s20, s2
	s_cbranch_execnz .LBB115_39
.LBB115_46:                             ;   in Loop: Header=BB115_5 Depth=1
	s_or_b32 exec_lo, exec_lo, s20
	s_and_saveexec_b32 s20, s2
	s_cbranch_execz .LBB115_3
.LBB115_47:                             ;   in Loop: Header=BB115_5 Depth=1
	v_add_nc_u64_e32 v[58:59], v[28:29], v[22:23]
	v_add_nc_u64_e32 v[64:65], v[30:31], v[22:23]
	global_load_u16 v3, v[58:59], off
	global_load_u16 v19, v[64:65], off
	s_wait_loadcnt 0x1
	v_lshlrev_b32_e32 v11, 16, v3
	s_wait_loadcnt 0x0
	v_lshlrev_b32_e32 v19, 16, v19
	s_branch .LBB115_3
.LBB115_48:
                                        ; implicit-def: $vgpr33
	s_branch .LBB115_50
.LBB115_49:
	s_cbranch_execnz .LBB115_81
.LBB115_50:
	v_mov_b32_e32 v33, 0
	s_and_not1_b32 vcc_lo, exec_lo, s17
	s_delay_alu instid0(VALU_DEP_1)
	v_mov_b32_e32 v32, v33
	s_cbranch_vccnz .LBB115_81
; %bb.51:
	v_bfe_u32 v1, v0, 10, 10
	v_mov_b32_e32 v2, 0
	v_and_b32_e32 v90, 0x3ff, v0
	s_load_b32 s2, s[0:1], 0x44
	s_mov_b64 s[22:23], 0xffffffffffffff03
	s_delay_alu instid0(VALU_DEP_2) | instskip(SKIP_3) | instid1(VALU_DEP_2)
	v_dual_mov_b32 v5, v2 :: v_dual_lshlrev_b32 v4, 4, v1
	v_dual_mov_b32 v21, v2 :: v_dual_lshlrev_b32 v20, 3, v1
	s_mov_b64 s[24:25], 0xffffffffffffff04
	s_mov_b64 s[26:27], 0xffffffffffffff05
	v_lshl_add_u64 v[8:9], s[18:19], 1, v[4:5]
	s_mov_b64 s[28:29], 0xffffffffffffff06
	v_add_nc_u64_e32 v[4:5], s[18:19], v[20:21]
	s_mov_b64 s[30:31], 0xffffffffffffff07
	s_mov_b64 s[34:35], 0xffffffffffffff08
	v_add_nc_u64_e32 v[10:11], 2, v[8:9]
	v_add_nc_u64_e32 v[12:13], 4, v[8:9]
	;; [unrolled: 1-line block ×4, first 2 shown]
	v_mul_u64_e32 v[6:7], s[6:7], v[4:5]
	v_add_nc_u64_e32 v[44:45], 4, v[4:5]
	v_add_nc_u64_e32 v[18:19], 10, v[8:9]
	v_mad_nc_u64_u32 v[22:23], s6, v10, s[8:9]
	v_mul_lo_u32 v3, s6, v11
	v_mul_lo_u32 v42, s7, v10
	v_mad_nc_u64_u32 v[24:25], s6, v12, s[8:9]
	v_mul_lo_u32 v43, s6, v13
	v_mul_lo_u32 v46, s7, v12
	v_mad_nc_u64_u32 v[34:35], s6, v10, s[10:11]
	v_mad_nc_u64_u32 v[36:37], s6, v12, s[10:11]
	v_add_nc_u64_e32 v[10:11], 7, v[4:5]
	v_add_nc_u64_e32 v[12:13], 6, v[4:5]
	v_mad_nc_u64_u32 v[26:27], s6, v14, s[8:9]
	v_mul_lo_u32 v52, s6, v15
	v_mul_lo_u32 v53, s7, v14
	v_mad_nc_u64_u32 v[28:29], s6, v16, s[8:9]
	v_mul_lo_u32 v54, s6, v17
	v_mul_lo_u32 v55, s7, v16
	v_add3_u32 v23, v42, v23, v3
	v_add3_u32 v25, v46, v25, v43
	v_mad_nc_u64_u32 v[40:41], s6, v14, s[10:11]
	v_mul_u64_e32 v[10:11], s[6:7], v[10:11]
	v_add3_u32 v35, v42, v35, v3
	v_add_nc_u64_e32 v[14:15], 5, v[4:5]
	v_mul_u64_e32 v[12:13], s[6:7], v[12:13]
	v_add3_u32 v37, v46, v37, v43
	v_mad_nc_u64_u32 v[42:43], s6, v16, s[10:11]
	v_add_nc_u64_e32 v[16:17], 3, v[4:5]
	v_add_nc_u64_e32 v[4:5], 2, v[4:5]
	v_mul_u64_e32 v[62:63], s[6:7], v[44:45]
	v_mul_u64_e32 v[14:15], s[6:7], v[14:15]
	v_add_nc_u64_e32 v[32:33], 12, v[8:9]
	v_add_nc_u64_e32 v[8:9], 14, v[8:9]
	v_mad_nc_u64_u32 v[30:31], s6, v18, s[8:9]
	v_mul_u64_e32 v[16:17], s[6:7], v[16:17]
	v_mul_u64_e32 v[4:5], s[6:7], v[4:5]
	v_mul_lo_u32 v19, s6, v19
	v_mul_lo_u32 v56, s7, v18
	v_mad_nc_u64_u32 v[44:45], s6, v18, s[10:11]
	v_mad_nc_u64_u32 v[46:47], s6, v8, s[8:9]
	v_mul_lo_u32 v3, s6, v9
	v_mul_lo_u32 v18, s7, v8
	v_mad_nc_u64_u32 v[50:51], s6, v8, s[10:11]
	v_dual_mov_b32 v9, v2 :: v_dual_add_nc_u32 v8, s3, v90
	v_add3_u32 v27, v53, v27, v52
	v_mad_nc_u64_u32 v[38:39], s6, v32, s[8:9]
	v_mul_lo_u32 v57, s7, v32
	v_add3_u32 v31, v56, v31, v19
	v_mad_nc_u64_u32 v[48:49], s6, v32, s[10:11]
	v_add3_u32 v41, v53, v41, v52
	v_add3_u32 v45, v56, v45, v19
	;; [unrolled: 1-line block ×4, first 2 shown]
	v_lshlrev_b64_e32 v[18:19], 1, v[6:7]
	v_lshlrev_b64_e32 v[10:11], 1, v[10:11]
	v_add_nc_u64_e32 v[6:7], s[6:7], v[6:7]
	v_mov_b32_e32 v32, 0
	v_lshlrev_b64_e32 v[52:53], 1, v[8:9]
	v_lshlrev_b64_e32 v[8:9], 1, v[12:13]
	v_mul_lo_u32 v33, s6, v33
	v_lshlrev_b64_e32 v[12:13], 1, v[62:63]
	v_add_nc_u64_e32 v[58:59], s[8:9], v[10:11]
	v_add_nc_u64_e32 v[60:61], s[10:11], v[10:11]
	v_lshlrev_b64_e32 v[10:11], 1, v[14:15]
	v_lshlrev_b64_e32 v[6:7], 1, v[6:7]
	v_add_nc_u64_e32 v[62:63], s[8:9], v[8:9]
	v_add_nc_u64_e32 v[64:65], s[10:11], v[8:9]
	v_lshlrev_b64_e32 v[8:9], 1, v[16:17]
	v_lshlrev_b64_e32 v[4:5], 1, v[4:5]
	s_mov_b32 s3, 0
	v_add3_u32 v29, v55, v29, v54
	v_add3_u32 v43, v55, v43, v54
	;; [unrolled: 1-line block ×4, first 2 shown]
	v_add_nc_u64_e32 v[54:55], s[8:9], v[18:19]
	v_add_nc_u64_e32 v[56:57], s[10:11], v[18:19]
	v_add_nc_u64_e32 v[66:67], s[8:9], v[10:11]
	v_add_nc_u64_e32 v[68:69], s[10:11], v[10:11]
	v_add_nc_u64_e32 v[70:71], s[8:9], v[12:13]
	v_add_nc_u64_e32 v[72:73], s[10:11], v[12:13]
	v_add_nc_u64_e32 v[74:75], s[8:9], v[8:9]
	v_add_nc_u64_e32 v[76:77], s[10:11], v[8:9]
	v_add_nc_u64_e32 v[78:79], s[8:9], v[4:5]
	v_add_nc_u64_e32 v[80:81], s[10:11], v[4:5]
	v_add_nc_u64_e32 v[82:83], s[8:9], v[6:7]
	v_add_nc_u64_e32 v[84:85], s[10:11], v[6:7]
	s_wait_kmcnt 0x0
	s_lshl_b32 s20, s2, 8
	s_mov_b32 s21, s3
	v_mov_b32_e32 v33, v2
	s_mul_u64 s[38:39], s[6:7], s[20:21]
	s_mov_b64 s[8:9], 0xffffffffffffff01
	s_mov_b64 s[10:11], 0xffffffffffffff02
	s_add_nc_u64 s[36:37], s[0:1], 64
	s_lshl_b64 s[38:39], s[38:39], 1
	s_add_nc_u64 s[40:41], s[18:19], 0xff
	s_branch .LBB115_55
.LBB115_52:                             ;   in Loop: Header=BB115_55 Depth=1
	s_wait_xcnt 0x0
	s_or_b32 exec_lo, exec_lo, s17
.LBB115_53:                             ;   in Loop: Header=BB115_55 Depth=1
	s_delay_alu instid0(SALU_CYCLE_1)
	s_or_b32 exec_lo, exec_lo, s2
	v_add_nc_u64_e32 v[4:5], v[54:55], v[52:53]
	v_add_nc_u64_e32 v[8:9], v[56:57], v[52:53]
	;; [unrolled: 1-line block ×5, first 2 shown]
	s_wait_loadcnt 0x1
	ds_bpermute_b32 v94, v2, v3 offset:4
	ds_bpermute_b32 v96, v2, v3 offset:8
	global_load_u16 v7, v[4:5], off
	global_load_u16 v16, v[8:9], off
	;; [unrolled: 1-line block ×3, first 2 shown]
	s_wait_xcnt 0x2
	v_add_nc_u64_e32 v[4:5], v[36:37], v[52:53]
	s_wait_xcnt 0x1
	v_add_nc_u64_e32 v[8:9], v[26:27], v[52:53]
	;; [unrolled: 2-line block ×3, first 2 shown]
	global_load_u16 v18, v[12:13], off
	global_load_u16 v19, v[14:15], off
	s_wait_xcnt 0x1
	v_add_nc_u64_e32 v[12:13], v[28:29], v[52:53]
	s_wait_xcnt 0x0
	v_add_nc_u64_e32 v[14:15], v[42:43], v[52:53]
	global_load_u16 v32, v[4:5], off
	global_load_u16 v33, v[8:9], off
	;; [unrolled: 1-line block ×3, first 2 shown]
	s_wait_xcnt 0x2
	v_add_nc_u64_e32 v[4:5], v[30:31], v[52:53]
	global_load_u16 v12, v[12:13], off
	global_load_u16 v13, v[14:15], off
	v_add_nc_u64_e32 v[8:9], v[44:45], v[52:53]
	v_add_nc_u64_e32 v[10:11], v[46:47], v[52:53]
	ds_bpermute_b32 v98, v2, v3 offset:12
	global_load_u16 v14, v[4:5], off
	s_wait_xcnt 0x0
	v_add_nc_u64_e32 v[4:5], v[48:49], v[52:53]
	s_wait_loadcnt 0xb
	ds_bpermute_b32 v95, v2, v6 offset:8
	ds_bpermute_b32 v97, v2, v6 offset:12
	global_load_u16 v15, v[8:9], off
	s_wait_xcnt 0x0
	v_add_nc_u64_e32 v[8:9], v[38:39], v[52:53]
	ds_bpermute_b32 v99, v2, v6 offset:16
	ds_bpermute_b32 v100, v2, v3 offset:16
	global_load_u16 v89, v[4:5], off
	s_wait_xcnt 0x0
	v_add_nc_u64_e32 v[4:5], v[50:51], v[52:53]
	ds_bpermute_b32 v101, v2, v6 offset:20
	global_load_u16 v91, v[8:9], off
	global_load_u16 v92, v[4:5], off
	;; [unrolled: 1-line block ×3, first 2 shown]
	s_wait_xcnt 0x2
	ds_bpermute_b32 v9, v2, v3
	s_wait_xcnt 0x1
	ds_bpermute_b32 v5, v2, v6
	s_wait_xcnt 0x0
	ds_bpermute_b32 v11, v2, v6 offset:4
	ds_bpermute_b32 v103, v2, v6 offset:24
	;; [unrolled: 1-line block ×6, first 2 shown]
	s_wait_loadcnt 0xe
	v_dual_lshlrev_b32 v4, 16, v7 :: v_dual_lshlrev_b32 v10, 16, v16
	s_wait_loadcnt 0xc
	v_dual_lshlrev_b32 v6, 16, v17 :: v_dual_lshlrev_b32 v7, 16, v18
	s_wait_loadcnt_dscnt 0xb07
	s_delay_alu instid0(VALU_DEP_2)
	v_dual_sub_f32 v9, v10, v9 :: v_dual_lshlrev_b32 v8, 16, v19
	s_wait_loadcnt 0x9
	v_dual_lshlrev_b32 v16, 16, v32 :: v_dual_lshlrev_b32 v10, 16, v33
	s_wait_loadcnt 0x8
	v_dual_lshlrev_b32 v17, 16, v88 :: v_dual_sub_f32 v7, v7, v94
	v_mul_f32_e32 v9, v9, v4
	s_wait_loadcnt 0x6
	v_dual_lshlrev_b32 v12, 16, v12 :: v_dual_lshlrev_b32 v13, 16, v13
	s_delay_alu instid0(VALU_DEP_3) | instskip(SKIP_2) | instid1(VALU_DEP_2)
	v_dual_sub_f32 v16, v16, v96 :: v_dual_mul_f32 v7, v7, v6
	s_wait_loadcnt_dscnt 0x506
	v_dual_mul_f32 v5, v9, v5 :: v_dual_lshlrev_b32 v14, 16, v14
	v_dual_sub_f32 v9, v17, v98 :: v_dual_mul_f32 v16, v16, v8
	s_wait_dscnt 0x5
	v_mul_f32_e32 v7, v7, v11
	s_delay_alu instid0(VALU_DEP_3) | instskip(SKIP_3) | instid1(VALU_DEP_3)
	v_pk_add_f32 v[4:5], v[86:87], v[4:5]
	s_wait_loadcnt 0x4
	v_dual_lshlrev_b32 v11, 16, v15 :: v_dual_sub_f32 v13, v13, v100
	v_dual_mul_f32 v15, v9, v10 :: v_dual_mul_f32 v9, v16, v95
	v_pk_add_f32 v[4:5], v[4:5], v[6:7]
	s_wait_loadcnt_dscnt 0x302
	s_delay_alu instid0(VALU_DEP_3) | instskip(NEXT) | instid1(VALU_DEP_3)
	v_dual_sub_f32 v16, v11, v102 :: v_dual_lshlrev_b32 v7, 16, v89
	v_dual_mul_f32 v13, v13, v12 :: v_dual_mul_f32 v11, v15, v97
	s_delay_alu instid0(VALU_DEP_3) | instskip(SKIP_1) | instid1(VALU_DEP_3)
	v_pk_add_f32 v[4:5], v[4:5], v[8:9]
	s_wait_loadcnt_dscnt 0x201
	v_dual_sub_f32 v7, v7, v104 :: v_dual_lshlrev_b32 v6, 16, v91
	s_delay_alu instid0(VALU_DEP_3) | instskip(NEXT) | instid1(VALU_DEP_3)
	v_dual_mul_f32 v9, v16, v14 :: v_dual_mul_f32 v13, v13, v99
	v_pk_add_f32 v[4:5], v[4:5], v[10:11]
	s_wait_loadcnt 0x0
	v_dual_lshlrev_b32 v10, 16, v92 :: v_dual_lshlrev_b32 v8, 16, v93
	s_delay_alu instid0(VALU_DEP_3) | instskip(NEXT) | instid1(VALU_DEP_3)
	v_dual_mul_f32 v7, v7, v6 :: v_dual_mul_f32 v15, v9, v101
	v_pk_add_f32 v[4:5], v[4:5], v[12:13]
	s_wait_dscnt 0x0
	s_delay_alu instid0(VALU_DEP_3) | instskip(NEXT) | instid1(VALU_DEP_3)
	v_sub_f32_e32 v3, v10, v3
	v_mul_f32_e32 v7, v7, v103
	s_delay_alu instid0(VALU_DEP_3) | instskip(NEXT) | instid1(VALU_DEP_3)
	v_pk_add_f32 v[4:5], v[4:5], v[14:15]
	v_mul_f32_e32 v3, v3, v8
	s_delay_alu instid0(VALU_DEP_2) | instskip(NEXT) | instid1(VALU_DEP_2)
	v_pk_add_f32 v[4:5], v[4:5], v[6:7]
	v_mul_f32_e32 v9, v3, v105
	s_delay_alu instid0(VALU_DEP_1)
	v_pk_add_f32 v[32:33], v[4:5], v[8:9]
.LBB115_54:                             ;   in Loop: Header=BB115_55 Depth=1
	s_add_nc_u64 s[18:19], s[18:19], s[20:21]
	v_add_nc_u64_e32 v[54:55], s[38:39], v[54:55]
	v_cmp_ge_i64_e64 s2, s[18:19], s[4:5]
	v_add_nc_u64_e32 v[56:57], s[38:39], v[56:57]
	v_add_nc_u64_e32 v[22:23], s[38:39], v[22:23]
	;; [unrolled: 1-line block ×29, first 2 shown]
	s_and_b32 vcc_lo, exec_lo, s2
	s_add_nc_u64 s[40:41], s[40:41], s[20:21]
	s_cbranch_vccnz .LBB115_81
.LBB115_55:                             ; =>This Inner Loop Header: Depth=1
	v_cmp_ge_i64_e64 s2, s[40:41], s[4:5]
	v_add_nc_u64_e32 v[88:89], s[40:41], v[20:21]
	v_dual_mov_b32 v86, v32 :: v_dual_mov_b32 v87, v33
                                        ; implicit-def: $vgpr33
	s_and_b32 vcc_lo, exec_lo, s2
	s_mov_b32 s2, -1
	s_cbranch_vccz .LBB115_77
; %bb.56:                               ;   in Loop: Header=BB115_55 Depth=1
	s_load_b32 s2, s[36:37], 0xc
	v_dual_mov_b32 v33, 0 :: v_dual_mov_b32 v32, 0
	s_wait_kmcnt 0x0
	s_and_b32 s2, s2, 0xffff
	s_delay_alu instid0(SALU_CYCLE_1) | instskip(SKIP_1) | instid1(VALU_DEP_1)
	v_mad_u32_u24 v3, v1, s2, v90
	s_mov_b32 s2, exec_lo
	v_and_b32_e32 v4, 31, v3
	s_delay_alu instid0(VALU_DEP_1)
	v_cmpx_gt_u32_e32 8, v4
	s_cbranch_execz .LBB115_60
; %bb.57:                               ;   in Loop: Header=BB115_55 Depth=1
	v_dual_mov_b32 v5, v2 :: v_dual_mov_b32 v33, 0
	v_mov_b32_e32 v32, 0
	s_mov_b32 s17, exec_lo
	s_delay_alu instid0(VALU_DEP_2) | instskip(NEXT) | instid1(VALU_DEP_1)
	v_add_nc_u64_e32 v[4:5], v[88:89], v[4:5]
	v_add_nc_u64_e32 v[4:5], s[8:9], v[4:5]
	s_delay_alu instid0(VALU_DEP_1)
	v_cmpx_gt_i64_e64 s[4:5], v[4:5]
	s_cbranch_execz .LBB115_59
; %bb.58:                               ;   in Loop: Header=BB115_55 Depth=1
	v_lshlrev_b64_e32 v[4:5], 2, v[4:5]
	s_delay_alu instid0(VALU_DEP_1)
	v_add_nc_u64_e32 v[6:7], s[12:13], v[4:5]
	v_add_nc_u64_e32 v[4:5], s[14:15], v[4:5]
	global_load_b32 v33, v[6:7], off
	global_load_b32 v32, v[4:5], off
.LBB115_59:                             ;   in Loop: Header=BB115_55 Depth=1
	s_wait_xcnt 0x0
	s_or_b32 exec_lo, exec_lo, s17
.LBB115_60:                             ;   in Loop: Header=BB115_55 Depth=1
	s_delay_alu instid0(SALU_CYCLE_1)
	s_or_b32 exec_lo, exec_lo, s2
	v_add_nc_u64_e32 v[10:11], s[8:9], v[88:89]
	v_dual_mov_b32 v7, v2 :: v_dual_mov_b32 v8, v2
	v_dual_mov_b32 v9, v2 :: v_dual_mov_b32 v3, v2
	;; [unrolled: 1-line block ×3, first 2 shown]
	v_mov_b32_e32 v6, v2
	s_delay_alu instid0(VALU_DEP_3)
	v_mov_b64_e32 v[18:19], v[8:9]
	v_cmp_gt_i64_e32 vcc_lo, s[4:5], v[10:11]
	v_mov_b64_e32 v[12:13], v[2:3]
	v_mov_b64_e32 v[14:15], v[4:5]
	;; [unrolled: 1-line block ×7, first 2 shown]
	s_and_saveexec_b32 s2, vcc_lo
	s_cbranch_execz .LBB115_62
; %bb.61:                               ;   in Loop: Header=BB115_55 Depth=1
	v_add_nc_u64_e32 v[4:5], v[54:55], v[52:53]
	v_add_nc_u64_e32 v[6:7], v[56:57], v[52:53]
	v_dual_mov_b32 v9, v2 :: v_dual_mov_b32 v10, v2
	v_dual_mov_b32 v11, v2 :: v_dual_mov_b32 v13, v2
	;; [unrolled: 1-line block ×3, first 2 shown]
	global_load_u16 v3, v[4:5], off
	global_load_u16 v12, v[6:7], off
	s_wait_xcnt 0x0
	v_dual_mov_b32 v5, v2 :: v_dual_mov_b32 v6, v2
	v_dual_mov_b32 v7, v2 :: v_dual_mov_b32 v8, v2
	;; [unrolled: 1-line block ×4, first 2 shown]
	s_wait_loadcnt 0x0
	v_dual_lshlrev_b32 v4, 16, v3 :: v_dual_lshlrev_b32 v12, 16, v12
.LBB115_62:                             ;   in Loop: Header=BB115_55 Depth=1
	s_or_b32 exec_lo, exec_lo, s2
	v_add_nc_u64_e32 v[92:93], s[10:11], v[88:89]
	s_mov_b32 s2, exec_lo
	s_delay_alu instid0(VALU_DEP_1)
	v_cmpx_gt_i64_e64 s[4:5], v[92:93]
	s_cbranch_execz .LBB115_64
; %bb.63:                               ;   in Loop: Header=BB115_55 Depth=1
	v_add_nc_u64_e32 v[92:93], v[82:83], v[52:53]
	v_add_nc_u64_e32 v[94:95], v[84:85], v[52:53]
	global_load_u16 v3, v[92:93], off
	global_load_u16 v13, v[94:95], off
	s_wait_loadcnt 0x0
	v_dual_lshlrev_b32 v5, 16, v3 :: v_dual_lshlrev_b32 v13, 16, v13
.LBB115_64:                             ;   in Loop: Header=BB115_55 Depth=1
	s_or_b32 exec_lo, exec_lo, s2
	v_add_nc_u64_e32 v[92:93], s[22:23], v[88:89]
	s_mov_b32 s2, exec_lo
	s_delay_alu instid0(VALU_DEP_1)
	v_cmpx_gt_i64_e64 s[4:5], v[92:93]
	s_cbranch_execz .LBB115_66
; %bb.65:                               ;   in Loop: Header=BB115_55 Depth=1
	v_add_nc_u64_e32 v[92:93], v[78:79], v[52:53]
	v_add_nc_u64_e32 v[94:95], v[80:81], v[52:53]
	global_load_u16 v3, v[92:93], off
	global_load_u16 v14, v[94:95], off
	s_wait_loadcnt 0x0
	v_dual_lshlrev_b32 v6, 16, v3 :: v_dual_lshlrev_b32 v14, 16, v14
.LBB115_66:                             ;   in Loop: Header=BB115_55 Depth=1
	s_or_b32 exec_lo, exec_lo, s2
	v_add_nc_u64_e32 v[92:93], s[24:25], v[88:89]
	s_mov_b32 s2, exec_lo
	s_delay_alu instid0(VALU_DEP_1)
	v_cmpx_gt_i64_e64 s[4:5], v[92:93]
	s_cbranch_execz .LBB115_68
; %bb.67:                               ;   in Loop: Header=BB115_55 Depth=1
	v_add_nc_u64_e32 v[92:93], v[74:75], v[52:53]
	v_add_nc_u64_e32 v[94:95], v[76:77], v[52:53]
	global_load_u16 v3, v[92:93], off
	global_load_u16 v15, v[94:95], off
	s_wait_loadcnt 0x1
	v_lshlrev_b32_e32 v7, 16, v3
	s_wait_loadcnt 0x0
	v_lshlrev_b32_e32 v15, 16, v15
.LBB115_68:                             ;   in Loop: Header=BB115_55 Depth=1
	s_or_b32 exec_lo, exec_lo, s2
	v_add_nc_u64_e32 v[92:93], s[26:27], v[88:89]
	s_mov_b32 s2, exec_lo
	s_delay_alu instid0(VALU_DEP_1)
	v_cmpx_gt_i64_e64 s[4:5], v[92:93]
	s_cbranch_execz .LBB115_70
; %bb.69:                               ;   in Loop: Header=BB115_55 Depth=1
	v_add_nc_u64_e32 v[92:93], v[70:71], v[52:53]
	v_add_nc_u64_e32 v[94:95], v[72:73], v[52:53]
	global_load_u16 v3, v[92:93], off
	global_load_u16 v16, v[94:95], off
	s_wait_loadcnt 0x0
	v_dual_lshlrev_b32 v8, 16, v3 :: v_dual_lshlrev_b32 v16, 16, v16
.LBB115_70:                             ;   in Loop: Header=BB115_55 Depth=1
	s_or_b32 exec_lo, exec_lo, s2
	v_add_nc_u64_e32 v[92:93], s[28:29], v[88:89]
	s_mov_b32 s2, exec_lo
	s_delay_alu instid0(VALU_DEP_1)
	v_cmpx_gt_i64_e64 s[4:5], v[92:93]
	s_cbranch_execz .LBB115_72
; %bb.71:                               ;   in Loop: Header=BB115_55 Depth=1
	v_add_nc_u64_e32 v[92:93], v[66:67], v[52:53]
	v_add_nc_u64_e32 v[94:95], v[68:69], v[52:53]
	global_load_u16 v3, v[92:93], off
	global_load_u16 v17, v[94:95], off
	s_wait_loadcnt 0x0
	v_dual_lshlrev_b32 v9, 16, v3 :: v_dual_lshlrev_b32 v17, 16, v17
.LBB115_72:                             ;   in Loop: Header=BB115_55 Depth=1
	;; [unrolled: 14-line block ×3, first 2 shown]
	s_or_b32 exec_lo, exec_lo, s2
	v_add_nc_u64_e32 v[92:93], s[34:35], v[88:89]
	s_mov_b32 s2, exec_lo
	s_delay_alu instid0(VALU_DEP_1)
	v_cmpx_gt_i64_e64 s[4:5], v[92:93]
	s_cbranch_execz .LBB115_76
; %bb.75:                               ;   in Loop: Header=BB115_55 Depth=1
	v_add_nc_u64_e32 v[92:93], v[58:59], v[52:53]
	v_add_nc_u64_e32 v[94:95], v[60:61], v[52:53]
	global_load_u16 v3, v[92:93], off
	global_load_u16 v19, v[94:95], off
	s_wait_loadcnt 0x1
	v_lshlrev_b32_e32 v11, 16, v3
	s_wait_loadcnt 0x0
	v_lshlrev_b32_e32 v19, 16, v19
.LBB115_76:                             ;   in Loop: Header=BB115_55 Depth=1
	s_or_b32 exec_lo, exec_lo, s2
	s_wait_loadcnt 0x1
	ds_bpermute_b32 v3, v2, v33
	ds_bpermute_b32 v91, v2, v33 offset:4
	ds_bpermute_b32 v93, v2, v33 offset:8
	s_wait_loadcnt 0x0
	ds_bpermute_b32 v94, v2, v32
	ds_bpermute_b32 v95, v2, v33 offset:12
	ds_bpermute_b32 v96, v2, v32 offset:4
	;; [unrolled: 1-line block ×10, first 2 shown]
	s_mov_b32 s2, 0
	s_wait_dscnt 0xd
	v_dual_mov_b32 v92, v6 :: v_dual_sub_f32 v3, v12, v3
	s_wait_dscnt 0xc
	v_dual_mov_b32 v12, v4 :: v_dual_sub_f32 v13, v13, v91
	s_wait_dscnt 0x9
	v_sub_f32_e32 v15, v15, v95
	v_dual_mul_f32 v3, v4, v3 :: v_dual_mov_b32 v4, v5
	v_sub_f32_e32 v14, v14, v93
	s_wait_dscnt 0x6
	v_dual_mul_f32 v5, v5, v13 :: v_dual_sub_f32 v16, v16, v100
	s_delay_alu instid0(VALU_DEP_3) | instskip(SKIP_4) | instid1(VALU_DEP_3)
	v_mul_f32_e32 v13, v3, v94
	ds_bpermute_b32 v3, v2, v33 offset:28
	v_dual_mul_f32 v14, v6, v14 :: v_dual_mul_f32 v5, v5, v96
	v_mov_b32_e32 v6, v7
	v_pk_add_f32 v[12:13], v[86:87], v[12:13]
	v_dual_mul_f32 v7, v7, v15 :: v_dual_mul_f32 v93, v14, v97
	ds_bpermute_b32 v14, v2, v32 offset:28
	v_mul_f32_e32 v15, v8, v16
	v_pk_add_f32 v[4:5], v[4:5], v[12:13]
	s_wait_dscnt 0x6
	v_sub_f32_e32 v13, v17, v102
	v_dual_mul_f32 v7, v7, v98 :: v_dual_mov_b32 v12, v8
	s_wait_dscnt 0x4
	v_sub_f32_e32 v8, v18, v104
	v_pk_add_f32 v[4:5], v[92:93], v[4:5]
	v_dual_mul_f32 v16, v9, v13 :: v_dual_mul_f32 v13, v15, v99
	s_delay_alu instid0(VALU_DEP_2) | instskip(SKIP_2) | instid1(VALU_DEP_3)
	v_pk_add_f32 v[4:5], v[6:7], v[4:5]
	s_wait_dscnt 0x1
	v_dual_mov_b32 v6, v9 :: v_dual_sub_f32 v3, v19, v3
	v_dual_mul_f32 v9, v10, v8 :: v_dual_mul_f32 v7, v16, v101
	v_mov_b32_e32 v8, v10
	v_pk_add_f32 v[4:5], v[12:13], v[4:5]
	s_delay_alu instid0(VALU_DEP_4) | instskip(NEXT) | instid1(VALU_DEP_2)
	v_mul_f32_e32 v3, v11, v3
	v_pk_add_f32 v[4:5], v[6:7], v[4:5]
	v_dual_mov_b32 v6, v11 :: v_dual_mul_f32 v9, v9, v103
	s_wait_dscnt 0x0
	s_delay_alu instid0(VALU_DEP_3) | instskip(NEXT) | instid1(VALU_DEP_2)
	v_mul_f32_e32 v7, v3, v14
	v_pk_add_f32 v[4:5], v[8:9], v[4:5]
	s_delay_alu instid0(VALU_DEP_1)
	v_pk_add_f32 v[32:33], v[6:7], v[4:5]
.LBB115_77:                             ;   in Loop: Header=BB115_55 Depth=1
	s_and_b32 vcc_lo, exec_lo, s2
	s_cbranch_vccz .LBB115_54
; %bb.78:                               ;   in Loop: Header=BB115_55 Depth=1
	s_load_b32 s2, s[36:37], 0x0
	v_mov_b32_e32 v6, 0
	s_wait_kmcnt 0x0
	s_cmp_lt_u32 s16, s2
	s_cselect_b32 s2, 12, 18
	s_delay_alu instid0(SALU_CYCLE_1) | instskip(SKIP_4) | instid1(VALU_DEP_1)
	s_add_nc_u64 s[42:43], s[36:37], s[2:3]
	s_load_u16 s2, s[42:43], 0x0
	s_wait_kmcnt 0x0
	v_mad_u32_u24 v3, v1, s2, v90
	s_mov_b32 s2, exec_lo
	v_dual_mov_b32 v3, 0 :: v_dual_bitop2_b32 v4, 31, v3 bitop3:0x40
	s_delay_alu instid0(VALU_DEP_1)
	v_cmpx_gt_u32_e32 8, v4
	s_cbranch_execz .LBB115_53
; %bb.79:                               ;   in Loop: Header=BB115_55 Depth=1
	v_dual_mov_b32 v5, v2 :: v_dual_mov_b32 v3, 0
	v_mov_b32_e32 v6, 0
	s_mov_b32 s17, exec_lo
	s_delay_alu instid0(VALU_DEP_2) | instskip(NEXT) | instid1(VALU_DEP_1)
	v_add_nc_u64_e32 v[4:5], v[88:89], v[4:5]
	v_add_nc_u64_e32 v[4:5], s[8:9], v[4:5]
	s_delay_alu instid0(VALU_DEP_1)
	v_cmpx_gt_i64_e64 s[4:5], v[4:5]
	s_cbranch_execz .LBB115_52
; %bb.80:                               ;   in Loop: Header=BB115_55 Depth=1
	v_lshlrev_b64_e32 v[4:5], 2, v[4:5]
	s_delay_alu instid0(VALU_DEP_1)
	v_add_nc_u64_e32 v[6:7], s[12:13], v[4:5]
	v_add_nc_u64_e32 v[4:5], s[14:15], v[4:5]
	global_load_b32 v3, v[6:7], off
	global_load_b32 v6, v[4:5], off
	s_branch .LBB115_52
.LBB115_81:
	v_and_b32_e32 v2, 0x3ff, v0
	v_bfe_u32 v1, v0, 10, 10
	v_bfe_u32 v0, v0, 5, 5
	s_mov_b32 s17, 0
	s_mov_b32 s2, exec_lo
	s_delay_alu instid0(VALU_DEP_2) | instskip(NEXT) | instid1(VALU_DEP_2)
	v_mad_u32_u24 v3, v1, 33, v2
	v_add_nc_u32_e32 v0, v0, v1
	s_delay_alu instid0(VALU_DEP_2)
	v_lshl_add_u32 v1, v3, 2, 0
	ds_store_b32 v1, v33
	ds_store_b32 v1, v32 offset:4224
	s_wait_dscnt 0x0
	s_barrier_signal -1
	s_barrier_wait -1
	v_cmpx_gt_u32_e32 32, v0
	s_cbranch_execz .LBB115_87
; %bb.82:
	v_mbcnt_lo_u32_b32 v3, -1, 0
	s_lshl_b64 s[2:3], s[16:17], 5
	s_delay_alu instid0(VALU_DEP_1) | instskip(SKIP_1) | instid1(VALU_DEP_2)
	v_xor_b32_e32 v5, 16, v3
	v_xor_b32_e32 v7, 8, v3
	v_cmp_gt_i32_e32 vcc_lo, 32, v5
	v_dual_cndmask_b32 v5, v3, v5, vcc_lo :: v_dual_bitop2_b32 v1, 31, v2 bitop3:0x40
	s_delay_alu instid0(VALU_DEP_1) | instskip(NEXT) | instid1(VALU_DEP_4)
	v_mad_u32_u24 v1, v1, 33, v0
	v_cmp_gt_i32_e32 vcc_lo, 32, v7
	v_or_b32_e32 v0, s2, v0
	v_cmp_eq_u32_e64 s2, 0, v2
	v_lshlrev_b32_e32 v5, 2, v5
	v_lshl_add_u32 v1, v1, 2, 0
	ds_load_b32 v4, v1
	ds_load_b32 v1, v1 offset:4224
	s_wait_dscnt 0x1
	ds_bpermute_b32 v6, v5, v4
	s_wait_dscnt 0x1
	ds_bpermute_b32 v5, v5, v1
	s_wait_dscnt 0x1
	v_dual_cndmask_b32 v7, v3, v7 :: v_dual_add_f32 v4, v4, v6
	s_wait_dscnt 0x0
	s_delay_alu instid0(VALU_DEP_1)
	v_dual_add_f32 v1, v1, v5 :: v_dual_lshlrev_b32 v7, 2, v7
	ds_bpermute_b32 v5, v7, v4
	s_wait_dscnt 0x0
	v_add_f32_e32 v4, v4, v5
	ds_bpermute_b32 v6, v7, v1
	s_wait_dscnt 0x0
	v_dual_add_f32 v1, v1, v6 :: v_dual_bitop2_b32 v7, 4, v3 bitop3:0x14
	s_delay_alu instid0(VALU_DEP_1) | instskip(SKIP_1) | instid1(VALU_DEP_1)
	v_cmp_gt_i32_e32 vcc_lo, 32, v7
	v_cndmask_b32_e32 v7, v3, v7, vcc_lo
	v_lshlrev_b32_e32 v7, 2, v7
	ds_bpermute_b32 v6, v7, v1
	s_wait_dscnt 0x0
	v_add_f32_e32 v1, v1, v6
	ds_bpermute_b32 v5, v7, v4
	s_wait_dscnt 0x0
	v_dual_add_f32 v4, v4, v5 :: v_dual_bitop2_b32 v7, 2, v3 bitop3:0x14
	s_delay_alu instid0(VALU_DEP_1) | instskip(SKIP_1) | instid1(VALU_DEP_1)
	v_cmp_gt_i32_e32 vcc_lo, 32, v7
	v_cndmask_b32_e32 v7, v3, v7, vcc_lo
	v_lshlrev_b32_e32 v7, 2, v7
	ds_bpermute_b32 v5, v7, v4
	ds_bpermute_b32 v6, v7, v1
	v_xor_b32_e32 v7, 1, v3
	s_delay_alu instid0(VALU_DEP_1) | instskip(SKIP_2) | instid1(VALU_DEP_1)
	v_cmp_gt_i32_e32 vcc_lo, 32, v7
	v_cndmask_b32_e32 v3, v3, v7, vcc_lo
	s_wait_dscnt 0x1
	v_dual_lshlrev_b32 v7, 2, v3 :: v_dual_add_f32 v5, v4, v5
	s_wait_dscnt 0x0
	v_dual_add_f32 v3, v1, v6 :: v_dual_mov_b32 v1, s3
	ds_bpermute_b32 v6, v7, v5
	ds_bpermute_b32 v4, v7, v3
	v_cmp_gt_i64_e32 vcc_lo, s[6:7], v[0:1]
	s_and_b32 s2, s2, vcc_lo
	s_delay_alu instid0(SALU_CYCLE_1)
	s_and_b32 exec_lo, exec_lo, s2
	s_cbranch_execz .LBB115_87
; %bb.83:
	s_load_b128 s[0:3], s[0:1], 0x30
	s_wait_kmcnt 0x0
	s_cmp_eq_u64 s[0:1], 0
	s_cbranch_scc1 .LBB115_85
; %bb.84:
	s_wait_dscnt 0x1
	v_add_f32_e32 v2, v5, v6
	v_lshl_add_u64 v[6:7], v[0:1], 1, s[0:1]
	s_delay_alu instid0(VALU_DEP_2) | instskip(NEXT) | instid1(VALU_DEP_1)
	v_bfe_u32 v5, v2, 16, 1
	v_add3_u32 v5, v2, v5, 0x7fff
	s_delay_alu instid0(VALU_DEP_1) | instskip(SKIP_1) | instid1(VALU_DEP_2)
	v_lshrrev_b32_e32 v5, 16, v5
	v_cmp_o_f32_e32 vcc_lo, v2, v2
	v_cndmask_b32_e32 v2, 0x7fc0, v5, vcc_lo
	global_store_b16 v[6:7], v2, off
.LBB115_85:
	s_cmp_eq_u64 s[2:3], 0
	s_cbranch_scc1 .LBB115_87
; %bb.86:
	s_wait_dscnt 0x0
	s_wait_xcnt 0x0
	v_add_f32_e32 v2, v3, v4
	v_lshl_add_u64 v[0:1], v[0:1], 1, s[2:3]
	s_delay_alu instid0(VALU_DEP_2) | instskip(NEXT) | instid1(VALU_DEP_1)
	v_bfe_u32 v3, v2, 16, 1
	v_add3_u32 v3, v2, v3, 0x7fff
	s_delay_alu instid0(VALU_DEP_1) | instskip(SKIP_1) | instid1(VALU_DEP_2)
	v_lshrrev_b32_e32 v3, 16, v3
	v_cmp_o_f32_e32 vcc_lo, v2, v2
	v_cndmask_b32_e32 v2, 0x7fc0, v3, vcc_lo
	global_store_b16 v[0:1], v2, off
.LBB115_87:
	s_sendmsg sendmsg(MSG_DEALLOC_VGPRS)
	s_endpgm
	.section	.rodata,"a",@progbits
	.p2align	6, 0x0
	.amdhsa_kernel _ZN2at6native12_GLOBAL__N_135GammaBetaBackwardCUDAKernelTemplateIN3c108BFloat16EfLj32ELj32ELj256ELb0ELb0ELb0EEEvllPKT_S7_PKT0_SA_PS5_SB_
		.amdhsa_group_segment_fixed_size 0
		.amdhsa_private_segment_fixed_size 0
		.amdhsa_kernarg_size 320
		.amdhsa_user_sgpr_count 2
		.amdhsa_user_sgpr_dispatch_ptr 0
		.amdhsa_user_sgpr_queue_ptr 0
		.amdhsa_user_sgpr_kernarg_segment_ptr 1
		.amdhsa_user_sgpr_dispatch_id 0
		.amdhsa_user_sgpr_kernarg_preload_length 0
		.amdhsa_user_sgpr_kernarg_preload_offset 0
		.amdhsa_user_sgpr_private_segment_size 0
		.amdhsa_wavefront_size32 1
		.amdhsa_uses_dynamic_stack 0
		.amdhsa_enable_private_segment 0
		.amdhsa_system_sgpr_workgroup_id_x 1
		.amdhsa_system_sgpr_workgroup_id_y 1
		.amdhsa_system_sgpr_workgroup_id_z 0
		.amdhsa_system_sgpr_workgroup_info 0
		.amdhsa_system_vgpr_workitem_id 1
		.amdhsa_next_free_vgpr 106
		.amdhsa_next_free_sgpr 52
		.amdhsa_named_barrier_count 0
		.amdhsa_reserve_vcc 1
		.amdhsa_float_round_mode_32 0
		.amdhsa_float_round_mode_16_64 0
		.amdhsa_float_denorm_mode_32 3
		.amdhsa_float_denorm_mode_16_64 3
		.amdhsa_fp16_overflow 0
		.amdhsa_memory_ordered 1
		.amdhsa_forward_progress 1
		.amdhsa_inst_pref_size 55
		.amdhsa_round_robin_scheduling 0
		.amdhsa_exception_fp_ieee_invalid_op 0
		.amdhsa_exception_fp_denorm_src 0
		.amdhsa_exception_fp_ieee_div_zero 0
		.amdhsa_exception_fp_ieee_overflow 0
		.amdhsa_exception_fp_ieee_underflow 0
		.amdhsa_exception_fp_ieee_inexact 0
		.amdhsa_exception_int_div_zero 0
	.end_amdhsa_kernel
	.section	.text._ZN2at6native12_GLOBAL__N_135GammaBetaBackwardCUDAKernelTemplateIN3c108BFloat16EfLj32ELj32ELj256ELb0ELb0ELb0EEEvllPKT_S7_PKT0_SA_PS5_SB_,"axG",@progbits,_ZN2at6native12_GLOBAL__N_135GammaBetaBackwardCUDAKernelTemplateIN3c108BFloat16EfLj32ELj32ELj256ELb0ELb0ELb0EEEvllPKT_S7_PKT0_SA_PS5_SB_,comdat
.Lfunc_end115:
	.size	_ZN2at6native12_GLOBAL__N_135GammaBetaBackwardCUDAKernelTemplateIN3c108BFloat16EfLj32ELj32ELj256ELb0ELb0ELb0EEEvllPKT_S7_PKT0_SA_PS5_SB_, .Lfunc_end115-_ZN2at6native12_GLOBAL__N_135GammaBetaBackwardCUDAKernelTemplateIN3c108BFloat16EfLj32ELj32ELj256ELb0ELb0ELb0EEEvllPKT_S7_PKT0_SA_PS5_SB_
                                        ; -- End function
	.set _ZN2at6native12_GLOBAL__N_135GammaBetaBackwardCUDAKernelTemplateIN3c108BFloat16EfLj32ELj32ELj256ELb0ELb0ELb0EEEvllPKT_S7_PKT0_SA_PS5_SB_.num_vgpr, 106
	.set _ZN2at6native12_GLOBAL__N_135GammaBetaBackwardCUDAKernelTemplateIN3c108BFloat16EfLj32ELj32ELj256ELb0ELb0ELb0EEEvllPKT_S7_PKT0_SA_PS5_SB_.num_agpr, 0
	.set _ZN2at6native12_GLOBAL__N_135GammaBetaBackwardCUDAKernelTemplateIN3c108BFloat16EfLj32ELj32ELj256ELb0ELb0ELb0EEEvllPKT_S7_PKT0_SA_PS5_SB_.numbered_sgpr, 52
	.set _ZN2at6native12_GLOBAL__N_135GammaBetaBackwardCUDAKernelTemplateIN3c108BFloat16EfLj32ELj32ELj256ELb0ELb0ELb0EEEvllPKT_S7_PKT0_SA_PS5_SB_.num_named_barrier, 0
	.set _ZN2at6native12_GLOBAL__N_135GammaBetaBackwardCUDAKernelTemplateIN3c108BFloat16EfLj32ELj32ELj256ELb0ELb0ELb0EEEvllPKT_S7_PKT0_SA_PS5_SB_.private_seg_size, 0
	.set _ZN2at6native12_GLOBAL__N_135GammaBetaBackwardCUDAKernelTemplateIN3c108BFloat16EfLj32ELj32ELj256ELb0ELb0ELb0EEEvllPKT_S7_PKT0_SA_PS5_SB_.uses_vcc, 1
	.set _ZN2at6native12_GLOBAL__N_135GammaBetaBackwardCUDAKernelTemplateIN3c108BFloat16EfLj32ELj32ELj256ELb0ELb0ELb0EEEvllPKT_S7_PKT0_SA_PS5_SB_.uses_flat_scratch, 0
	.set _ZN2at6native12_GLOBAL__N_135GammaBetaBackwardCUDAKernelTemplateIN3c108BFloat16EfLj32ELj32ELj256ELb0ELb0ELb0EEEvllPKT_S7_PKT0_SA_PS5_SB_.has_dyn_sized_stack, 0
	.set _ZN2at6native12_GLOBAL__N_135GammaBetaBackwardCUDAKernelTemplateIN3c108BFloat16EfLj32ELj32ELj256ELb0ELb0ELb0EEEvllPKT_S7_PKT0_SA_PS5_SB_.has_recursion, 0
	.set _ZN2at6native12_GLOBAL__N_135GammaBetaBackwardCUDAKernelTemplateIN3c108BFloat16EfLj32ELj32ELj256ELb0ELb0ELb0EEEvllPKT_S7_PKT0_SA_PS5_SB_.has_indirect_call, 0
	.section	.AMDGPU.csdata,"",@progbits
; Kernel info:
; codeLenInByte = 7028
; TotalNumSgprs: 54
; NumVgprs: 106
; ScratchSize: 0
; MemoryBound: 0
; FloatMode: 240
; IeeeMode: 1
; LDSByteSize: 0 bytes/workgroup (compile time only)
; SGPRBlocks: 0
; VGPRBlocks: 6
; NumSGPRsForWavesPerEU: 54
; NumVGPRsForWavesPerEU: 106
; NamedBarCnt: 0
; Occupancy: 9
; WaveLimiterHint : 0
; COMPUTE_PGM_RSRC2:SCRATCH_EN: 0
; COMPUTE_PGM_RSRC2:USER_SGPR: 2
; COMPUTE_PGM_RSRC2:TRAP_HANDLER: 0
; COMPUTE_PGM_RSRC2:TGID_X_EN: 1
; COMPUTE_PGM_RSRC2:TGID_Y_EN: 1
; COMPUTE_PGM_RSRC2:TGID_Z_EN: 0
; COMPUTE_PGM_RSRC2:TIDIG_COMP_CNT: 1
	.section	.text._ZN2at6native12_GLOBAL__N_118cuComputeGradInputIddLb1EEEvPKT_S5_llPKT0_S8_S5_PS3_,"axG",@progbits,_ZN2at6native12_GLOBAL__N_118cuComputeGradInputIddLb1EEEvPKT_S5_llPKT0_S8_S5_PS3_,comdat
	.globl	_ZN2at6native12_GLOBAL__N_118cuComputeGradInputIddLb1EEEvPKT_S5_llPKT0_S8_S5_PS3_ ; -- Begin function _ZN2at6native12_GLOBAL__N_118cuComputeGradInputIddLb1EEEvPKT_S5_llPKT0_S8_S5_PS3_
	.p2align	8
	.type	_ZN2at6native12_GLOBAL__N_118cuComputeGradInputIddLb1EEEvPKT_S5_llPKT0_S8_S5_PS3_,@function
_ZN2at6native12_GLOBAL__N_118cuComputeGradInputIddLb1EEEvPKT_S5_llPKT0_S8_S5_PS3_: ; @_ZN2at6native12_GLOBAL__N_118cuComputeGradInputIddLb1EEEvPKT_S5_llPKT0_S8_S5_PS3_
; %bb.0:
	s_load_b128 s[8:11], s[0:1], 0x10
	s_bfe_u32 s2, ttmp6, 0x40010
	s_bfe_u32 s3, ttmp6, 0x40004
	s_add_co_i32 s2, s2, 1
	s_getreg_b32 s4, hwreg(HW_REG_IB_STS2, 6, 4)
	s_mul_i32 s2, ttmp7, s2
	s_delay_alu instid0(SALU_CYCLE_1) | instskip(SKIP_2) | instid1(SALU_CYCLE_1)
	s_add_co_i32 s3, s3, s2
	s_cmp_eq_u32 s4, 0
	s_cselect_b32 s6, ttmp7, s3
	s_ashr_i32 s7, s6, 31
	s_wait_kmcnt 0x0
	v_cmp_le_i64_e64 s2, s[8:9], s[6:7]
	s_and_b32 vcc_lo, exec_lo, s2
	s_cbranch_vccnz .LBB116_47
; %bb.1:
	v_cvt_f64_i32_e32 v[2:3], s11
	v_cvt_f64_u32_e32 v[4:5], s10
	s_clause 0x2
	s_load_b32 s2, s[0:1], 0x4c
	s_load_b128 s[12:15], s[0:1], 0x30
	s_load_b32 s33, s[0:1], 0x44
	v_and_b32_e32 v18, 0x3ff, v0
	v_bfe_u32 v19, v0, 10, 10
	s_clause 0x1
	s_load_b128 s[16:19], s[0:1], 0x0
	s_load_b64 s[20:21], s[0:1], 0x28
	v_cmp_gt_i64_e64 s39, s[10:11], 0
	v_mbcnt_lo_u32_b32 v22, -1, 0
	s_wait_xcnt 0x0
	v_cmp_eq_u32_e64 s0, 0, v19
	v_cmp_ne_u32_e64 s1, 0, v19
	s_delay_alu instid0(VALU_DEP_4)
	v_cndmask_b32_e64 v20, 0, 1, s39
	s_wait_kmcnt 0x0
	s_lshr_b32 s34, s2, 16
	s_and_b32 s35, s2, 0xffff
	s_cmp_lg_u64 s[12:13], 0
	s_mul_i32 s22, s34, s35
	s_cselect_b32 s36, -1, 0
	s_cmp_gt_u32 s35, 1
	s_cselect_b32 s37, -1, 0
	s_cmp_gt_u32 s34, 1
	s_cselect_b32 s38, -1, 0
	s_ashr_i32 s23, s22, 31
	v_ldexp_f64 v[2:3], v[2:3], 32
	s_delay_alu instid0(VALU_DEP_1) | instskip(NEXT) | instid1(VALU_DEP_1)
	v_add_f64_e32 v[2:3], v[2:3], v[4:5]
	v_div_scale_f64 v[4:5], null, v[2:3], v[2:3], 1.0
	v_div_scale_f64 v[10:11], vcc_lo, 1.0, v[2:3], 1.0
	s_delay_alu instid0(VALU_DEP_2) | instskip(SKIP_1) | instid1(TRANS32_DEP_1)
	v_rcp_f64_e32 v[6:7], v[4:5]
	v_nop
	v_fma_f64 v[8:9], -v[4:5], v[6:7], 1.0
	s_delay_alu instid0(VALU_DEP_1) | instskip(NEXT) | instid1(VALU_DEP_1)
	v_fmac_f64_e32 v[6:7], v[6:7], v[8:9]
	v_fma_f64 v[8:9], -v[4:5], v[6:7], 1.0
	s_delay_alu instid0(VALU_DEP_1) | instskip(NEXT) | instid1(VALU_DEP_1)
	v_fmac_f64_e32 v[6:7], v[6:7], v[8:9]
	v_mul_f64_e32 v[8:9], v[10:11], v[6:7]
	s_delay_alu instid0(VALU_DEP_1) | instskip(NEXT) | instid1(VALU_DEP_1)
	v_fma_f64 v[4:5], -v[4:5], v[8:9], v[10:11]
	v_div_fmas_f64 v[4:5], v[4:5], v[6:7], v[8:9]
	v_lshlrev_b32_e32 v9, 4, v18
	s_delay_alu instid0(VALU_DEP_1) | instskip(NEXT) | instid1(VALU_DEP_3)
	v_add_nc_u32_e32 v23, 0, v9
	v_div_fixup_f64 v[0:1], v[4:5], v[2:3], 1.0
	v_mad_u32_u24 v4, v19, s35, v18
	s_delay_alu instid0(VALU_DEP_1) | instskip(SKIP_1) | instid1(VALU_DEP_2)
	v_dual_mov_b32 v5, 0 :: v_dual_add_nc_u32 v6, s22, v4
	v_lshlrev_b32_e32 v8, 4, v4
	v_cmp_gt_i64_e64 s2, s[10:11], v[4:5]
	s_delay_alu instid0(VALU_DEP_2) | instskip(NEXT) | instid1(VALU_DEP_1)
	v_dual_ashrrev_i32 v7, 31, v6 :: v_dual_add_nc_u32 v21, 0, v8
	v_sub_nc_u64_e64 v[6:7], v[6:7], s[22:23]
	s_branch .LBB116_4
.LBB116_2:                              ;   in Loop: Header=BB116_4 Depth=1
	s_or_b32 exec_lo, exec_lo, s3
.LBB116_3:                              ;   in Loop: Header=BB116_4 Depth=1
	s_add_co_i32 s6, s33, s6
	s_wait_storecnt_dscnt 0x0
	s_ashr_i32 s7, s6, 31
	s_barrier_signal -1
	v_cmp_le_i64_e64 s3, s[8:9], s[6:7]
	s_barrier_wait -1
	s_and_b32 vcc_lo, exec_lo, s3
	s_cbranch_vccnz .LBB116_47
.LBB116_4:                              ; =>This Loop Header: Depth=1
                                        ;     Child Loop BB116_8 Depth 2
                                        ;     Child Loop BB116_19 Depth 2
	;; [unrolled: 1-line block ×6, first 2 shown]
	s_lshl_b64 s[4:5], s[6:7], 3
	v_cmp_ne_u32_e64 s3, 1, v20
	s_add_nc_u64 s[4:5], s[20:21], s[4:5]
	s_and_not1_b32 vcc_lo, exec_lo, s36
	s_load_b64 s[24:25], s[4:5], 0x0
	s_wait_xcnt 0x0
	s_mul_u64 s[4:5], s[6:7], s[10:11]
                                        ; implicit-def: $vgpr8_vgpr9
	s_delay_alu instid0(SALU_CYCLE_1)
	s_lshl_b64 s[30:31], s[4:5], 3
	s_mov_b32 s4, -1
	s_add_nc_u64 s[26:27], s[18:19], s[30:31]
	s_add_nc_u64 s[28:29], s[16:17], s[30:31]
	s_cbranch_vccnz .LBB116_15
; %bb.5:                                ;   in Loop: Header=BB116_4 Depth=1
	v_mov_b64_e32 v[8:9], 0
	s_and_b32 vcc_lo, exec_lo, s3
	s_cbranch_vccnz .LBB116_14
; %bb.6:                                ;   in Loop: Header=BB116_4 Depth=1
	s_mov_b32 s4, 0
	s_branch .LBB116_8
.LBB116_7:                              ;   in Loop: Header=BB116_8 Depth=2
	s_wait_xcnt 0x0
	s_or_b32 exec_lo, exec_lo, s3
	s_wait_loadcnt 0x0
	v_mul_f64_e32 v[10:11], v[12:13], v[16:17]
	s_add_co_i32 s4, s4, s22
	s_delay_alu instid0(SALU_CYCLE_1) | instskip(NEXT) | instid1(SALU_CYCLE_1)
	s_ashr_i32 s5, s4, 31
	v_cmp_le_i64_e64 s3, s[10:11], s[4:5]
	s_and_b32 vcc_lo, exec_lo, s3
	v_mul_f64_e32 v[10:11], v[14:15], v[10:11]
	s_wait_kmcnt 0x0
	s_delay_alu instid0(VALU_DEP_1)
	v_fmac_f64_e32 v[8:9], s[24:25], v[10:11]
	s_cbranch_vccnz .LBB116_14
.LBB116_8:                              ;   Parent Loop BB116_4 Depth=1
                                        ; =>  This Inner Loop Header: Depth=2
	v_add_nc_u32_e32 v10, s4, v4
	v_mov_b64_e32 v[12:13], 0
	s_delay_alu instid0(VALU_DEP_2) | instskip(NEXT) | instid1(VALU_DEP_1)
	v_ashrrev_i32_e32 v11, 31, v10
	v_cmp_gt_i64_e32 vcc_lo, s[10:11], v[10:11]
	s_and_saveexec_b32 s3, vcc_lo
	s_cbranch_execz .LBB116_10
; %bb.9:                                ;   in Loop: Header=BB116_8 Depth=2
	v_lshl_add_u64 v[12:13], v[10:11], 3, s[12:13]
	global_load_b64 v[12:13], v[12:13], off
.LBB116_10:                             ;   in Loop: Header=BB116_8 Depth=2
	s_wait_xcnt 0x0
	s_or_b32 exec_lo, exec_lo, s3
	v_mov_b64_e32 v[16:17], 0
	v_mov_b64_e32 v[14:15], 0
	s_and_saveexec_b32 s3, vcc_lo
	s_cbranch_execz .LBB116_12
; %bb.11:                               ;   in Loop: Header=BB116_8 Depth=2
	v_lshl_add_u64 v[14:15], v[10:11], 3, s[26:27]
	global_load_b64 v[14:15], v[14:15], off
.LBB116_12:                             ;   in Loop: Header=BB116_8 Depth=2
	s_wait_xcnt 0x0
	s_or_b32 exec_lo, exec_lo, s3
	s_and_saveexec_b32 s3, vcc_lo
	s_cbranch_execz .LBB116_7
; %bb.13:                               ;   in Loop: Header=BB116_8 Depth=2
	v_lshl_add_u64 v[10:11], v[10:11], 3, s[28:29]
	global_load_b64 v[16:17], v[10:11], off
	s_branch .LBB116_7
.LBB116_14:                             ;   in Loop: Header=BB116_4 Depth=1
	s_mov_b32 s4, 0
.LBB116_15:                             ;   in Loop: Header=BB116_4 Depth=1
	s_delay_alu instid0(SALU_CYCLE_1)
	s_and_not1_b32 vcc_lo, exec_lo, s4
	s_cbranch_vccnz .LBB116_23
; %bb.16:                               ;   in Loop: Header=BB116_4 Depth=1
	v_mov_b64_e32 v[8:9], 0
	s_and_not1_b32 vcc_lo, exec_lo, s39
	s_cbranch_vccnz .LBB116_23
; %bb.17:                               ;   in Loop: Header=BB116_4 Depth=1
	s_mov_b32 s4, 0
	s_branch .LBB116_19
.LBB116_18:                             ;   in Loop: Header=BB116_19 Depth=2
	s_wait_xcnt 0x0
	s_or_b32 exec_lo, exec_lo, s3
	s_wait_loadcnt 0x0
	s_delay_alu instid0(VALU_DEP_1) | instskip(SKIP_1) | instid1(SALU_CYCLE_1)
	v_mul_f64_e32 v[10:11], v[12:13], v[14:15]
	s_add_co_i32 s4, s4, s22
	s_ashr_i32 s5, s4, 31
	s_delay_alu instid0(SALU_CYCLE_1)
	v_cmp_le_i64_e64 s3, s[10:11], s[4:5]
	s_and_b32 vcc_lo, exec_lo, s3
	s_wait_kmcnt 0x0
	v_fmac_f64_e32 v[8:9], s[24:25], v[10:11]
	s_cbranch_vccnz .LBB116_23
.LBB116_19:                             ;   Parent Loop BB116_4 Depth=1
                                        ; =>  This Inner Loop Header: Depth=2
	v_add_nc_u32_e32 v10, s4, v4
	v_mov_b64_e32 v[12:13], 0
	s_delay_alu instid0(VALU_DEP_2) | instskip(NEXT) | instid1(VALU_DEP_1)
	v_ashrrev_i32_e32 v11, 31, v10
	v_cmp_gt_i64_e32 vcc_lo, s[10:11], v[10:11]
	s_and_saveexec_b32 s3, vcc_lo
	s_cbranch_execz .LBB116_21
; %bb.20:                               ;   in Loop: Header=BB116_19 Depth=2
	v_lshl_add_u64 v[12:13], v[10:11], 3, s[26:27]
	global_load_b64 v[12:13], v[12:13], off
.LBB116_21:                             ;   in Loop: Header=BB116_19 Depth=2
	s_wait_xcnt 0x0
	s_or_b32 exec_lo, exec_lo, s3
	v_mov_b64_e32 v[14:15], 0
	s_and_saveexec_b32 s3, vcc_lo
	s_cbranch_execz .LBB116_18
; %bb.22:                               ;   in Loop: Header=BB116_19 Depth=2
	v_lshl_add_u64 v[10:11], v[10:11], 3, s[28:29]
	global_load_b64 v[14:15], v[10:11], off
	s_branch .LBB116_18
.LBB116_23:                             ;   in Loop: Header=BB116_4 Depth=1
	s_and_not1_b32 vcc_lo, exec_lo, s37
	s_cbranch_vccnz .LBB116_26
; %bb.24:                               ;   in Loop: Header=BB116_4 Depth=1
	s_mov_b32 s3, s35
.LBB116_25:                             ;   Parent Loop BB116_4 Depth=1
                                        ; =>  This Inner Loop Header: Depth=2
	s_delay_alu instid0(SALU_CYCLE_1) | instskip(SKIP_3) | instid1(VALU_DEP_1)
	s_lshr_b32 s4, s3, 1
	s_cmp_lt_u32 s3, 4
	v_xor_b32_e32 v10, s4, v22
	s_mov_b32 s3, s4
	v_cmp_gt_i32_e32 vcc_lo, 32, v10
	v_cndmask_b32_e32 v10, v22, v10, vcc_lo
	s_delay_alu instid0(VALU_DEP_1)
	v_lshlrev_b32_e32 v11, 2, v10
	ds_bpermute_b32 v10, v11, v8
	ds_bpermute_b32 v11, v11, v9
	s_wait_dscnt 0x0
	v_add_f64_e32 v[8:9], v[8:9], v[10:11]
	s_cbranch_scc0 .LBB116_25
.LBB116_26:                             ;   in Loop: Header=BB116_4 Depth=1
	s_and_not1_b32 vcc_lo, exec_lo, s38
	s_mov_b32 s5, s34
	s_cbranch_vccnz .LBB116_38
.LBB116_27:                             ;   Parent Loop BB116_4 Depth=1
                                        ; =>  This Inner Loop Header: Depth=2
	s_lshr_b32 s7, s5, 1
	s_and_b32 s4, s5, 0xfffe
	v_cmp_le_u32_e64 s3, s7, v19
	v_cmp_gt_u32_e64 s4, s4, v19
	v_cmp_gt_u32_e32 vcc_lo, s7, v19
	s_and_b32 s4, s3, s4
	s_delay_alu instid0(SALU_CYCLE_1)
	s_and_saveexec_b32 s3, s4
	s_cbranch_execz .LBB116_29
; %bb.28:                               ;   in Loop: Header=BB116_27 Depth=2
	v_subrev_nc_u32_e32 v10, s7, v19
	s_delay_alu instid0(VALU_DEP_1) | instskip(NEXT) | instid1(VALU_DEP_1)
	v_mad_u32_u24 v10, v10, s35, v18
	v_lshl_add_u32 v10, v10, 4, 0
	ds_store_b64 v10, v[8:9] offset:8
.LBB116_29:                             ;   in Loop: Header=BB116_27 Depth=2
	s_or_b32 exec_lo, exec_lo, s3
	s_wait_dscnt 0x0
	s_barrier_signal -1
	s_barrier_wait -1
	s_and_saveexec_b32 s3, vcc_lo
	s_cbranch_execz .LBB116_31
; %bb.30:                               ;   in Loop: Header=BB116_27 Depth=2
	ds_load_b64 v[10:11], v21 offset:8
	s_wait_dscnt 0x0
	v_add_f64_e32 v[8:9], v[8:9], v[10:11]
.LBB116_31:                             ;   in Loop: Header=BB116_27 Depth=2
	s_or_b32 exec_lo, exec_lo, s3
	s_cmp_lt_u32 s5, 4
	s_barrier_signal -1
	s_barrier_wait -1
	s_cbranch_scc1 .LBB116_33
; %bb.32:                               ;   in Loop: Header=BB116_27 Depth=2
	s_mov_b32 s5, s7
	s_branch .LBB116_27
.LBB116_33:                             ;   in Loop: Header=BB116_4 Depth=1
	s_and_saveexec_b32 s3, s0
; %bb.34:                               ;   in Loop: Header=BB116_4 Depth=1
	ds_store_b64 v23, v[8:9] offset:8
; %bb.35:                               ;   in Loop: Header=BB116_4 Depth=1
	s_or_b32 exec_lo, exec_lo, s3
	s_wait_dscnt 0x0
	s_barrier_signal -1
	s_barrier_wait -1
	s_and_saveexec_b32 s3, s1
; %bb.36:                               ;   in Loop: Header=BB116_4 Depth=1
	ds_load_b64 v[8:9], v23 offset:8
; %bb.37:                               ;   in Loop: Header=BB116_4 Depth=1
	s_or_b32 exec_lo, exec_lo, s3
.LBB116_38:                             ;   in Loop: Header=BB116_4 Depth=1
	s_wait_kmcnt 0x0
	v_mul_f64_e32 v[10:11], s[24:25], v[0:1]
	s_and_not1_b32 vcc_lo, exec_lo, s36
	s_add_nc_u64 s[4:5], s[14:15], s[30:31]
	s_cbranch_vccnz .LBB116_43
; %bb.39:                               ;   in Loop: Header=BB116_4 Depth=1
	s_and_saveexec_b32 s3, s2
	s_cbranch_execz .LBB116_42
; %bb.40:                               ;   in Loop: Header=BB116_4 Depth=1
	v_mov_b64_e32 v[12:13], v[6:7]
	v_mov_b64_e32 v[14:15], v[4:5]
	s_mov_b32 s7, 0
.LBB116_41:                             ;   Parent Loop BB116_4 Depth=1
                                        ; =>  This Inner Loop Header: Depth=2
	s_delay_alu instid0(VALU_DEP_1) | instskip(NEXT) | instid1(VALU_DEP_3)
	v_lshlrev_b64_e32 v[14:15], 3, v[14:15]
	v_add_nc_u64_e32 v[12:13], s[22:23], v[12:13]
	s_delay_alu instid0(VALU_DEP_2) | instskip(SKIP_2) | instid1(VALU_DEP_4)
	v_add_nc_u64_e32 v[16:17], s[26:27], v[14:15]
	v_add_nc_u64_e32 v[24:25], s[28:29], v[14:15]
	;; [unrolled: 1-line block ×3, first 2 shown]
	v_cmp_le_i64_e32 vcc_lo, s[10:11], v[12:13]
	global_load_b64 v[16:17], v[16:17], off
	global_load_b64 v[24:25], v[24:25], off
	;; [unrolled: 1-line block ×3, first 2 shown]
	s_or_b32 s7, vcc_lo, s7
	s_wait_loadcnt 0x2
	s_wait_xcnt 0x2
	v_mul_f64_e32 v[16:17], s[24:25], v[16:17]
	s_wait_loadcnt 0x1
	s_wait_xcnt 0x1
	v_mul_f64_e32 v[24:25], v[24:25], v[2:3]
	s_wait_dscnt 0x0
	s_delay_alu instid0(VALU_DEP_2) | instskip(SKIP_1) | instid1(VALU_DEP_1)
	v_mul_f64_e32 v[16:17], v[8:9], v[16:17]
	s_wait_loadcnt 0x0
	v_fma_f64 v[16:17], v[24:25], v[26:27], -v[16:17]
	v_add_nc_u64_e32 v[24:25], s[4:5], v[14:15]
	v_dual_mov_b32 v14, v12 :: v_dual_ashrrev_i32 v15, 31, v12
	s_delay_alu instid0(VALU_DEP_3)
	v_mul_f64_e32 v[16:17], v[10:11], v[16:17]
	global_store_b64 v[24:25], v[16:17], off
	s_wait_xcnt 0x0
	s_and_not1_b32 exec_lo, exec_lo, s7
	s_cbranch_execnz .LBB116_41
.LBB116_42:                             ;   in Loop: Header=BB116_4 Depth=1
	s_or_b32 exec_lo, exec_lo, s3
	s_cbranch_execnz .LBB116_3
	s_branch .LBB116_44
.LBB116_43:                             ;   in Loop: Header=BB116_4 Depth=1
.LBB116_44:                             ;   in Loop: Header=BB116_4 Depth=1
	s_and_saveexec_b32 s3, s2
	s_cbranch_execz .LBB116_2
; %bb.45:                               ;   in Loop: Header=BB116_4 Depth=1
	v_mov_b64_e32 v[12:13], v[6:7]
	v_mov_b64_e32 v[14:15], v[4:5]
	s_mov_b32 s7, 0
.LBB116_46:                             ;   Parent Loop BB116_4 Depth=1
                                        ; =>  This Inner Loop Header: Depth=2
	s_delay_alu instid0(VALU_DEP_1) | instskip(NEXT) | instid1(VALU_DEP_3)
	v_lshlrev_b64_e32 v[14:15], 3, v[14:15]
	v_add_nc_u64_e32 v[12:13], s[22:23], v[12:13]
	s_delay_alu instid0(VALU_DEP_2) | instskip(SKIP_1) | instid1(VALU_DEP_3)
	v_add_nc_u64_e32 v[16:17], s[26:27], v[14:15]
	v_add_nc_u64_e32 v[24:25], s[28:29], v[14:15]
	v_cmp_le_i64_e32 vcc_lo, s[10:11], v[12:13]
	global_load_b64 v[16:17], v[16:17], off
	global_load_b64 v[24:25], v[24:25], off
	s_or_b32 s7, vcc_lo, s7
	s_wait_loadcnt 0x1
	s_wait_xcnt 0x1
	v_mul_f64_e32 v[16:17], s[24:25], v[16:17]
	s_wait_dscnt 0x0
	s_delay_alu instid0(VALU_DEP_1) | instskip(SKIP_1) | instid1(VALU_DEP_1)
	v_mul_f64_e32 v[16:17], v[8:9], v[16:17]
	s_wait_loadcnt 0x0
	v_fma_f64 v[16:17], v[24:25], v[2:3], -v[16:17]
	s_wait_xcnt 0x0
	v_add_nc_u64_e32 v[24:25], s[4:5], v[14:15]
	v_dual_mov_b32 v14, v12 :: v_dual_ashrrev_i32 v15, 31, v12
	s_delay_alu instid0(VALU_DEP_3)
	v_mul_f64_e32 v[16:17], v[10:11], v[16:17]
	global_store_b64 v[24:25], v[16:17], off
	s_wait_xcnt 0x0
	s_and_not1_b32 exec_lo, exec_lo, s7
	s_cbranch_execnz .LBB116_46
	s_branch .LBB116_2
.LBB116_47:
	s_endpgm
	.section	.rodata,"a",@progbits
	.p2align	6, 0x0
	.amdhsa_kernel _ZN2at6native12_GLOBAL__N_118cuComputeGradInputIddLb1EEEvPKT_S5_llPKT0_S8_S5_PS3_
		.amdhsa_group_segment_fixed_size 0
		.amdhsa_private_segment_fixed_size 0
		.amdhsa_kernarg_size 320
		.amdhsa_user_sgpr_count 2
		.amdhsa_user_sgpr_dispatch_ptr 0
		.amdhsa_user_sgpr_queue_ptr 0
		.amdhsa_user_sgpr_kernarg_segment_ptr 1
		.amdhsa_user_sgpr_dispatch_id 0
		.amdhsa_user_sgpr_kernarg_preload_length 0
		.amdhsa_user_sgpr_kernarg_preload_offset 0
		.amdhsa_user_sgpr_private_segment_size 0
		.amdhsa_wavefront_size32 1
		.amdhsa_uses_dynamic_stack 0
		.amdhsa_enable_private_segment 0
		.amdhsa_system_sgpr_workgroup_id_x 1
		.amdhsa_system_sgpr_workgroup_id_y 1
		.amdhsa_system_sgpr_workgroup_id_z 0
		.amdhsa_system_sgpr_workgroup_info 0
		.amdhsa_system_vgpr_workitem_id 1
		.amdhsa_next_free_vgpr 28
		.amdhsa_next_free_sgpr 40
		.amdhsa_named_barrier_count 0
		.amdhsa_reserve_vcc 1
		.amdhsa_float_round_mode_32 0
		.amdhsa_float_round_mode_16_64 0
		.amdhsa_float_denorm_mode_32 3
		.amdhsa_float_denorm_mode_16_64 3
		.amdhsa_fp16_overflow 0
		.amdhsa_memory_ordered 1
		.amdhsa_forward_progress 1
		.amdhsa_inst_pref_size 13
		.amdhsa_round_robin_scheduling 0
		.amdhsa_exception_fp_ieee_invalid_op 0
		.amdhsa_exception_fp_denorm_src 0
		.amdhsa_exception_fp_ieee_div_zero 0
		.amdhsa_exception_fp_ieee_overflow 0
		.amdhsa_exception_fp_ieee_underflow 0
		.amdhsa_exception_fp_ieee_inexact 0
		.amdhsa_exception_int_div_zero 0
	.end_amdhsa_kernel
	.section	.text._ZN2at6native12_GLOBAL__N_118cuComputeGradInputIddLb1EEEvPKT_S5_llPKT0_S8_S5_PS3_,"axG",@progbits,_ZN2at6native12_GLOBAL__N_118cuComputeGradInputIddLb1EEEvPKT_S5_llPKT0_S8_S5_PS3_,comdat
.Lfunc_end116:
	.size	_ZN2at6native12_GLOBAL__N_118cuComputeGradInputIddLb1EEEvPKT_S5_llPKT0_S8_S5_PS3_, .Lfunc_end116-_ZN2at6native12_GLOBAL__N_118cuComputeGradInputIddLb1EEEvPKT_S5_llPKT0_S8_S5_PS3_
                                        ; -- End function
	.set _ZN2at6native12_GLOBAL__N_118cuComputeGradInputIddLb1EEEvPKT_S5_llPKT0_S8_S5_PS3_.num_vgpr, 28
	.set _ZN2at6native12_GLOBAL__N_118cuComputeGradInputIddLb1EEEvPKT_S5_llPKT0_S8_S5_PS3_.num_agpr, 0
	.set _ZN2at6native12_GLOBAL__N_118cuComputeGradInputIddLb1EEEvPKT_S5_llPKT0_S8_S5_PS3_.numbered_sgpr, 40
	.set _ZN2at6native12_GLOBAL__N_118cuComputeGradInputIddLb1EEEvPKT_S5_llPKT0_S8_S5_PS3_.num_named_barrier, 0
	.set _ZN2at6native12_GLOBAL__N_118cuComputeGradInputIddLb1EEEvPKT_S5_llPKT0_S8_S5_PS3_.private_seg_size, 0
	.set _ZN2at6native12_GLOBAL__N_118cuComputeGradInputIddLb1EEEvPKT_S5_llPKT0_S8_S5_PS3_.uses_vcc, 1
	.set _ZN2at6native12_GLOBAL__N_118cuComputeGradInputIddLb1EEEvPKT_S5_llPKT0_S8_S5_PS3_.uses_flat_scratch, 0
	.set _ZN2at6native12_GLOBAL__N_118cuComputeGradInputIddLb1EEEvPKT_S5_llPKT0_S8_S5_PS3_.has_dyn_sized_stack, 0
	.set _ZN2at6native12_GLOBAL__N_118cuComputeGradInputIddLb1EEEvPKT_S5_llPKT0_S8_S5_PS3_.has_recursion, 0
	.set _ZN2at6native12_GLOBAL__N_118cuComputeGradInputIddLb1EEEvPKT_S5_llPKT0_S8_S5_PS3_.has_indirect_call, 0
	.section	.AMDGPU.csdata,"",@progbits
; Kernel info:
; codeLenInByte = 1584
; TotalNumSgprs: 42
; NumVgprs: 28
; ScratchSize: 0
; MemoryBound: 0
; FloatMode: 240
; IeeeMode: 1
; LDSByteSize: 0 bytes/workgroup (compile time only)
; SGPRBlocks: 0
; VGPRBlocks: 1
; NumSGPRsForWavesPerEU: 42
; NumVGPRsForWavesPerEU: 28
; NamedBarCnt: 0
; Occupancy: 16
; WaveLimiterHint : 0
; COMPUTE_PGM_RSRC2:SCRATCH_EN: 0
; COMPUTE_PGM_RSRC2:USER_SGPR: 2
; COMPUTE_PGM_RSRC2:TRAP_HANDLER: 0
; COMPUTE_PGM_RSRC2:TGID_X_EN: 1
; COMPUTE_PGM_RSRC2:TGID_Y_EN: 1
; COMPUTE_PGM_RSRC2:TGID_Z_EN: 0
; COMPUTE_PGM_RSRC2:TIDIG_COMP_CNT: 1
	.section	.text._ZN2at6native12_GLOBAL__N_128layer_norm_grad_input_kernelIddLb1EEEvPKT_S5_PKT0_S8_S5_PS3_i,"axG",@progbits,_ZN2at6native12_GLOBAL__N_128layer_norm_grad_input_kernelIddLb1EEEvPKT_S5_PKT0_S8_S5_PS3_i,comdat
	.globl	_ZN2at6native12_GLOBAL__N_128layer_norm_grad_input_kernelIddLb1EEEvPKT_S5_PKT0_S8_S5_PS3_i ; -- Begin function _ZN2at6native12_GLOBAL__N_128layer_norm_grad_input_kernelIddLb1EEEvPKT_S5_PKT0_S8_S5_PS3_i
	.p2align	8
	.type	_ZN2at6native12_GLOBAL__N_128layer_norm_grad_input_kernelIddLb1EEEvPKT_S5_PKT0_S8_S5_PS3_i,@function
_ZN2at6native12_GLOBAL__N_128layer_norm_grad_input_kernelIddLb1EEEvPKT_S5_PKT0_S8_S5_PS3_i: ; @_ZN2at6native12_GLOBAL__N_128layer_norm_grad_input_kernelIddLb1EEEvPKT_S5_PKT0_S8_S5_PS3_i
; %bb.0:
	s_clause 0x1
	s_load_b128 s[4:7], s[0:1], 0x18
	s_load_b32 s2, s[0:1], 0x30
	s_bfe_u32 s3, ttmp6, 0x4000c
	s_and_b32 s8, ttmp6, 15
	s_add_co_i32 s3, s3, 1
	s_getreg_b32 s9, hwreg(HW_REG_IB_STS2, 6, 4)
	s_mul_i32 s3, ttmp9, s3
	v_lshlrev_b32_e32 v2, 2, v0
	s_add_co_i32 s3, s8, s3
	s_cmp_eq_u32 s9, 0
	s_load_b128 s[8:11], s[0:1], 0x0
	s_cselect_b32 s20, ttmp9, s3
	s_mov_b32 s21, 0
	v_mov_b64_e32 v[4:5], 0
	v_or_b32_e32 v1, 3, v2
	s_wait_kmcnt 0x0
	s_load_b64 s[4:5], s[4:5], s20 offset:0x0 scale_offset
	s_ashr_i32 s3, s2, 31
	s_delay_alu instid0(SALU_CYCLE_1) | instskip(SKIP_2) | instid1(SALU_CYCLE_1)
	s_mul_u64 s[18:19], s[2:3], s[20:21]
	s_mov_b32 s3, exec_lo
	s_lshl_b64 s[16:17], s[18:19], 3
	s_add_nc_u64 s[12:13], s[10:11], s[16:17]
	s_add_nc_u64 s[14:15], s[8:9], s[16:17]
	v_cmpx_gt_u32_e64 s2, v1
	s_cbranch_execz .LBB117_12
; %bb.1:
	s_load_b32 s22, s[0:1], 0x44
	v_mov_b64_e32 v[4:5], 0
	s_cmp_lg_u64 s[6:7], 0
	v_mov_b32_e32 v3, 0
	s_wait_xcnt 0x0
	s_cselect_b32 s20, -1, 0
	s_wait_kmcnt 0x0
	s_and_b32 s22, s22, 0xffff
	s_delay_alu instid0(SALU_CYCLE_1)
	s_lshl_b32 s22, s22, 2
	s_branch .LBB117_3
.LBB117_2:                              ;   in Loop: Header=BB117_3 Depth=1
	global_load_b64 v[20:21], v[14:15], off offset:24
	global_load_b64 v[32:33], v[10:11], off offset:24
	s_wait_loadcnt 0x6
	v_dual_mul_f64 v[8:9], v[8:9], v[16:17] :: v_dual_add_nc_u32 v2, s22, v2
	s_wait_loadcnt 0x4
	s_delay_alu instid0(VALU_DEP_1) | instskip(NEXT) | instid1(VALU_DEP_1)
	v_dual_mul_f64 v[6:7], v[6:7], v[24:25] :: v_dual_add_nc_u32 v1, 3, v2
	v_cmp_le_u32_e32 vcc_lo, s2, v1
	s_or_b32 s21, vcc_lo, s21
	s_delay_alu instid0(VALU_DEP_3) | instskip(NEXT) | instid1(VALU_DEP_3)
	v_mul_f64_e32 v[8:9], v[12:13], v[8:9]
	v_mul_f64_e32 v[6:7], v[22:23], v[6:7]
	s_delay_alu instid0(VALU_DEP_2) | instskip(SKIP_2) | instid1(VALU_DEP_2)
	v_fmac_f64_e32 v[4:5], s[4:5], v[8:9]
	s_wait_loadcnt 0x2
	v_mul_f64_e32 v[8:9], v[26:27], v[30:31]
	v_fmac_f64_e32 v[4:5], s[4:5], v[6:7]
	s_delay_alu instid0(VALU_DEP_2) | instskip(NEXT) | instid1(VALU_DEP_1)
	v_mul_f64_e32 v[6:7], v[28:29], v[8:9]
	v_fmac_f64_e32 v[4:5], s[4:5], v[6:7]
	s_wait_loadcnt 0x1
	v_mul_f64_e32 v[8:9], v[18:19], v[20:21]
	s_wait_loadcnt 0x0
	s_delay_alu instid0(VALU_DEP_1) | instskip(NEXT) | instid1(VALU_DEP_1)
	v_mul_f64_e32 v[6:7], v[32:33], v[8:9]
	v_fmac_f64_e32 v[4:5], s[4:5], v[6:7]
	s_and_not1_b32 exec_lo, exec_lo, s21
	s_cbranch_execz .LBB117_11
.LBB117_3:                              ; =>This Inner Loop Header: Depth=1
	v_mov_b64_e32 v[6:7], 1.0
	v_mov_b64_e32 v[8:9], 1.0
	v_lshl_add_u64 v[20:21], v[2:3], 3, s[6:7]
	s_and_b32 vcc_lo, exec_lo, s20
	s_cbranch_vccz .LBB117_5
; %bb.4:                                ;   in Loop: Header=BB117_3 Depth=1
	global_load_b64 v[8:9], v[20:21], off
.LBB117_5:                              ;   in Loop: Header=BB117_3 Depth=1
	v_lshlrev_b64_e32 v[12:13], 3, v[2:3]
	s_and_not1_b32 vcc_lo, exec_lo, s20
	s_delay_alu instid0(VALU_DEP_1)
	v_add_nc_u64_e32 v[10:11], s[12:13], v[12:13]
	v_add_nc_u64_e32 v[14:15], s[14:15], v[12:13]
	global_load_b64 v[12:13], v[10:11], off
	global_load_b64 v[16:17], v[14:15], off
	s_cbranch_vccnz .LBB117_7
; %bb.6:                                ;   in Loop: Header=BB117_3 Depth=1
	global_load_b64 v[6:7], v[20:21], off offset:8
.LBB117_7:                              ;   in Loop: Header=BB117_3 Depth=1
	global_load_b64 v[22:23], v[10:11], off offset:8
	global_load_b64 v[24:25], v[14:15], off offset:8
	v_mov_b64_e32 v[18:19], 1.0
	v_mov_b64_e32 v[26:27], 1.0
	s_and_not1_b32 vcc_lo, exec_lo, s20
	s_cbranch_vccnz .LBB117_9
; %bb.8:                                ;   in Loop: Header=BB117_3 Depth=1
	global_load_b64 v[26:27], v[20:21], off offset:16
.LBB117_9:                              ;   in Loop: Header=BB117_3 Depth=1
	global_load_b64 v[28:29], v[10:11], off offset:16
	global_load_b64 v[30:31], v[14:15], off offset:16
	s_and_not1_b32 vcc_lo, exec_lo, s20
	s_cbranch_vccnz .LBB117_2
; %bb.10:                               ;   in Loop: Header=BB117_3 Depth=1
	global_load_b64 v[18:19], v[20:21], off offset:24
	s_branch .LBB117_2
.LBB117_11:
	s_or_b32 exec_lo, exec_lo, s21
.LBB117_12:
	s_delay_alu instid0(SALU_CYCLE_1) | instskip(NEXT) | instid1(SALU_CYCLE_1)
	s_or_b32 exec_lo, exec_lo, s3
	s_mov_b32 s3, exec_lo
	v_cmpx_gt_u32_e64 s2, v2
	s_cbranch_execz .LBB117_19
; %bb.13:
	v_mov_b32_e32 v3, 0
	s_cmp_lg_u64 s[6:7], 0
	s_delay_alu instid0(VALU_DEP_1) | instskip(NEXT) | instid1(VALU_DEP_1)
	v_lshlrev_b64_e32 v[6:7], 3, v[2:3]
	v_lshl_add_u64 v[10:11], s[18:19], 3, v[6:7]
	v_add_nc_u64_e32 v[6:7], s[6:7], v[6:7]
	s_delay_alu instid0(VALU_DEP_2)
	v_add_nc_u64_e32 v[8:9], s[10:11], v[10:11]
	v_add_nc_u64_e32 v[10:11], s[8:9], v[10:11]
	s_cselect_b32 s8, -1, 0
	s_mov_b32 s9, 0
	s_branch .LBB117_16
.LBB117_14:                             ;   in Loop: Header=BB117_16 Depth=1
	global_load_b64 v[12:13], v[6:7], off
.LBB117_15:                             ;   in Loop: Header=BB117_16 Depth=1
	global_load_b64 v[14:15], v[10:11], off
	global_load_b64 v[16:17], v[8:9], off
	v_add_nc_u64_e32 v[6:7], 8, v[6:7]
	s_wait_xcnt 0x0
	v_add_nc_u64_e32 v[8:9], 8, v[8:9]
	v_add_nc_u64_e32 v[10:11], 8, v[10:11]
	v_add_nc_u32_e32 v2, 1, v2
	s_delay_alu instid0(VALU_DEP_1) | instskip(SKIP_4) | instid1(VALU_DEP_1)
	v_cmp_le_u32_e32 vcc_lo, s2, v2
	s_or_b32 s9, vcc_lo, s9
	s_wait_loadcnt 0x1
	v_mul_f64_e32 v[12:13], v[12:13], v[14:15]
	s_wait_loadcnt 0x0
	v_mul_f64_e32 v[12:13], v[16:17], v[12:13]
	s_wait_kmcnt 0x0
	s_delay_alu instid0(VALU_DEP_1)
	v_fmac_f64_e32 v[4:5], s[4:5], v[12:13]
	s_and_not1_b32 exec_lo, exec_lo, s9
	s_cbranch_execz .LBB117_18
.LBB117_16:                             ; =>This Inner Loop Header: Depth=1
	s_and_not1_b32 vcc_lo, exec_lo, s8
	s_cbranch_vccz .LBB117_14
; %bb.17:                               ;   in Loop: Header=BB117_16 Depth=1
	v_mov_b64_e32 v[12:13], 1.0
	s_branch .LBB117_15
.LBB117_18:
	s_or_b32 exec_lo, exec_lo, s9
.LBB117_19:
	s_delay_alu instid0(SALU_CYCLE_1) | instskip(SKIP_4) | instid1(VALU_DEP_2)
	s_or_b32 exec_lo, exec_lo, s3
	v_mbcnt_lo_u32_b32 v9, -1, 0
	v_and_b32_e32 v10, 31, v0
	s_mov_b32 s3, exec_lo
	s_barrier_signal -1
	v_lshl_or_b32 v1, v9, 2, 64
	v_cmp_gt_u32_e32 vcc_lo, 24, v9
	s_barrier_wait -1
	ds_bpermute_b32 v2, v1, v4
	ds_bpermute_b32 v3, v1, v5
	s_wait_dscnt 0x0
	v_add_f64_e32 v[2:3], v[4:5], v[2:3]
	v_cndmask_b32_e64 v4, 0, 8, vcc_lo
	v_cmp_gt_u32_e32 vcc_lo, 28, v9
	s_delay_alu instid0(VALU_DEP_2)
	v_add_lshl_u32 v6, v4, v9, 2
	ds_bpermute_b32 v4, v6, v2
	ds_bpermute_b32 v5, v6, v3
	s_wait_dscnt 0x0
	v_add_f64_e32 v[2:3], v[2:3], v[4:5]
	v_cndmask_b32_e64 v4, 0, 4, vcc_lo
	v_cmp_gt_u32_e32 vcc_lo, 30, v9
	s_delay_alu instid0(VALU_DEP_2)
	v_add_lshl_u32 v7, v4, v9, 2
	ds_bpermute_b32 v4, v7, v2
	ds_bpermute_b32 v5, v7, v3
	s_wait_dscnt 0x0
	v_add_f64_e32 v[2:3], v[2:3], v[4:5]
	v_cndmask_b32_e64 v4, 0, 2, vcc_lo
	v_cmp_ne_u32_e32 vcc_lo, 31, v9
	s_delay_alu instid0(VALU_DEP_2)
	v_add_lshl_u32 v8, v4, v9, 2
	ds_bpermute_b32 v4, v8, v2
	ds_bpermute_b32 v5, v8, v3
	s_wait_dscnt 0x0
	v_add_f64_e32 v[2:3], v[2:3], v[4:5]
	v_add_co_ci_u32_e64 v4, null, 0, v9, vcc_lo
	s_delay_alu instid0(VALU_DEP_1)
	v_lshlrev_b32_e32 v9, 2, v4
	ds_bpermute_b32 v4, v9, v2
	ds_bpermute_b32 v5, v9, v3
	v_cmpx_eq_u32_e32 0, v10
	s_cbranch_execz .LBB117_21
; %bb.20:
	s_wait_dscnt 0x0
	v_add_f64_e32 v[2:3], v[2:3], v[4:5]
	v_lshrrev_b32_e32 v4, 2, v0
	s_delay_alu instid0(VALU_DEP_1)
	v_add_nc_u32_e32 v4, 0, v4
	ds_store_b64 v4, v[2:3]
.LBB117_21:
	s_or_b32 exec_lo, exec_lo, s3
	s_wait_dscnt 0x0
	s_barrier_signal -1
	s_barrier_wait -1
	s_load_b32 s3, s[0:1], 0x44
	v_mov_b64_e32 v[2:3], 0
	s_wait_kmcnt 0x0
	s_bfe_u32 s8, s3, 0xb0005
	s_delay_alu instid0(SALU_CYCLE_1)
	v_cmp_gt_u32_e32 vcc_lo, s8, v0
	s_and_saveexec_b32 s8, vcc_lo
; %bb.22:
	v_lshl_add_u32 v2, v10, 3, 0
	ds_load_b64 v[2:3], v2
; %bb.23:
	s_or_b32 exec_lo, exec_lo, s8
	s_delay_alu instid0(SALU_CYCLE_1)
	s_mov_b32 s8, exec_lo
	v_cmpx_gt_u32_e32 32, v0
	s_cbranch_execz .LBB117_25
; %bb.24:
	s_wait_dscnt 0x0
	ds_bpermute_b32 v4, v1, v2
	ds_bpermute_b32 v5, v1, v3
	s_wait_dscnt 0x0
	v_add_f64_e32 v[2:3], v[2:3], v[4:5]
	ds_bpermute_b32 v4, v6, v2
	ds_bpermute_b32 v5, v6, v3
	s_wait_dscnt 0x0
	v_add_f64_e32 v[2:3], v[2:3], v[4:5]
	ds_bpermute_b32 v4, v7, v2
	ds_bpermute_b32 v5, v7, v3
	s_wait_dscnt 0x0
	v_add_f64_e32 v[2:3], v[2:3], v[4:5]
	ds_bpermute_b32 v4, v8, v2
	ds_bpermute_b32 v5, v8, v3
	s_wait_dscnt 0x0
	v_add_f64_e32 v[2:3], v[2:3], v[4:5]
	ds_bpermute_b32 v4, v9, v2
	ds_bpermute_b32 v5, v9, v3
	s_wait_dscnt 0x0
	v_add_f64_e32 v[2:3], v[2:3], v[4:5]
.LBB117_25:
	s_or_b32 exec_lo, exec_lo, s8
	s_delay_alu instid0(SALU_CYCLE_1)
	s_mov_b32 s8, exec_lo
	v_cmpx_eq_u32_e32 0, v0
	s_cbranch_execz .LBB117_27
; %bb.26:
	v_mov_b32_e32 v1, 0
	s_wait_dscnt 0x0
	ds_store_b64 v1, v[2:3] offset:8
.LBB117_27:
	s_or_b32 exec_lo, exec_lo, s8
	s_wait_dscnt 0x0
	s_barrier_signal -1
	s_barrier_wait -1
	s_mov_b32 s8, exec_lo
	v_cmpx_gt_i32_e64 s2, v0
	s_cbranch_execz .LBB117_33
; %bb.28:
	v_cvt_f64_i32_e32 v[2:3], s2
	s_load_b64 s[0:1], s[0:1], 0x28
	s_and_b32 s3, 0xffff, s3
	s_cmp_lg_u64 s[6:7], 0
	s_mov_b32 s9, 0
	s_cselect_b32 s8, -1, 0
	v_mov_b32_e32 v1, 0
	s_wait_kmcnt 0x0
	s_add_nc_u64 s[0:1], s[0:1], s[16:17]
	s_delay_alu instid0(VALU_DEP_2) | instskip(NEXT) | instid1(VALU_DEP_1)
	v_div_scale_f64 v[4:5], null, v[2:3], v[2:3], 1.0
	v_rcp_f64_e32 v[6:7], v[4:5]
	v_nop
	s_delay_alu instid0(TRANS32_DEP_1) | instskip(NEXT) | instid1(VALU_DEP_1)
	v_fma_f64 v[8:9], -v[4:5], v[6:7], 1.0
	v_fmac_f64_e32 v[6:7], v[6:7], v[8:9]
	s_delay_alu instid0(VALU_DEP_1) | instskip(NEXT) | instid1(VALU_DEP_1)
	v_fma_f64 v[8:9], -v[4:5], v[6:7], 1.0
	v_fmac_f64_e32 v[6:7], v[6:7], v[8:9]
	v_div_scale_f64 v[8:9], vcc_lo, 1.0, v[2:3], 1.0
	s_delay_alu instid0(VALU_DEP_1) | instskip(NEXT) | instid1(VALU_DEP_1)
	v_mul_f64_e32 v[10:11], v[8:9], v[6:7]
	v_fma_f64 v[4:5], -v[4:5], v[10:11], v[8:9]
	s_delay_alu instid0(VALU_DEP_1) | instskip(SKIP_2) | instid1(VALU_DEP_1)
	v_div_fmas_f64 v[4:5], v[4:5], v[6:7], v[10:11]
	ds_load_b64 v[6:7], v1 offset:8
	v_div_fixup_f64 v[4:5], v[4:5], v[2:3], 1.0
	v_mul_f64_e32 v[4:5], s[4:5], v[4:5]
	s_branch .LBB117_31
.LBB117_29:                             ;   in Loop: Header=BB117_31 Depth=1
	s_delay_alu instid0(VALU_DEP_1)
	v_lshl_add_u64 v[12:13], v[0:1], 3, s[6:7]
	global_load_b64 v[12:13], v[12:13], off
.LBB117_30:                             ;   in Loop: Header=BB117_31 Depth=1
	s_wait_loadcnt 0x1
	v_mul_f64_e32 v[10:11], s[4:5], v[10:11]
	s_wait_loadcnt 0x0
	s_wait_xcnt 0x0
	s_delay_alu instid0(VALU_DEP_2) | instskip(SKIP_1) | instid1(VALU_DEP_2)
	v_mul_f64_e32 v[12:13], v[12:13], v[2:3]
	s_wait_dscnt 0x0
	v_mul_f64_e32 v[10:11], v[6:7], v[10:11]
	s_delay_alu instid0(VALU_DEP_1) | instskip(SKIP_2) | instid1(VALU_DEP_1)
	v_fma_f64 v[8:9], v[8:9], v[12:13], -v[10:11]
	v_lshl_add_u64 v[10:11], v[0:1], 3, s[0:1]
	v_add_nc_u32_e32 v0, s3, v0
	v_cmp_le_i32_e32 vcc_lo, s2, v0
	s_or_b32 s9, vcc_lo, s9
	s_delay_alu instid0(VALU_DEP_4)
	v_mul_f64_e32 v[8:9], v[4:5], v[8:9]
	global_store_b64 v[10:11], v[8:9], off
	s_wait_xcnt 0x0
	s_and_not1_b32 exec_lo, exec_lo, s9
	s_cbranch_execz .LBB117_33
.LBB117_31:                             ; =>This Inner Loop Header: Depth=1
	s_clause 0x1
	global_load_b64 v[10:11], v0, s[12:13] scale_offset
	global_load_b64 v[8:9], v0, s[14:15] scale_offset
	v_ashrrev_i32_e32 v1, 31, v0
	s_and_not1_b32 vcc_lo, exec_lo, s8
	s_cbranch_vccz .LBB117_29
; %bb.32:                               ;   in Loop: Header=BB117_31 Depth=1
	v_mov_b64_e32 v[12:13], 1.0
	s_branch .LBB117_30
.LBB117_33:
	s_endpgm
	.section	.rodata,"a",@progbits
	.p2align	6, 0x0
	.amdhsa_kernel _ZN2at6native12_GLOBAL__N_128layer_norm_grad_input_kernelIddLb1EEEvPKT_S5_PKT0_S8_S5_PS3_i
		.amdhsa_group_segment_fixed_size 0
		.amdhsa_private_segment_fixed_size 0
		.amdhsa_kernarg_size 312
		.amdhsa_user_sgpr_count 2
		.amdhsa_user_sgpr_dispatch_ptr 0
		.amdhsa_user_sgpr_queue_ptr 0
		.amdhsa_user_sgpr_kernarg_segment_ptr 1
		.amdhsa_user_sgpr_dispatch_id 0
		.amdhsa_user_sgpr_kernarg_preload_length 0
		.amdhsa_user_sgpr_kernarg_preload_offset 0
		.amdhsa_user_sgpr_private_segment_size 0
		.amdhsa_wavefront_size32 1
		.amdhsa_uses_dynamic_stack 0
		.amdhsa_enable_private_segment 0
		.amdhsa_system_sgpr_workgroup_id_x 1
		.amdhsa_system_sgpr_workgroup_id_y 0
		.amdhsa_system_sgpr_workgroup_id_z 0
		.amdhsa_system_sgpr_workgroup_info 0
		.amdhsa_system_vgpr_workitem_id 0
		.amdhsa_next_free_vgpr 34
		.amdhsa_next_free_sgpr 23
		.amdhsa_named_barrier_count 0
		.amdhsa_reserve_vcc 1
		.amdhsa_float_round_mode_32 0
		.amdhsa_float_round_mode_16_64 0
		.amdhsa_float_denorm_mode_32 3
		.amdhsa_float_denorm_mode_16_64 3
		.amdhsa_fp16_overflow 0
		.amdhsa_memory_ordered 1
		.amdhsa_forward_progress 1
		.amdhsa_inst_pref_size 13
		.amdhsa_round_robin_scheduling 0
		.amdhsa_exception_fp_ieee_invalid_op 0
		.amdhsa_exception_fp_denorm_src 0
		.amdhsa_exception_fp_ieee_div_zero 0
		.amdhsa_exception_fp_ieee_overflow 0
		.amdhsa_exception_fp_ieee_underflow 0
		.amdhsa_exception_fp_ieee_inexact 0
		.amdhsa_exception_int_div_zero 0
	.end_amdhsa_kernel
	.section	.text._ZN2at6native12_GLOBAL__N_128layer_norm_grad_input_kernelIddLb1EEEvPKT_S5_PKT0_S8_S5_PS3_i,"axG",@progbits,_ZN2at6native12_GLOBAL__N_128layer_norm_grad_input_kernelIddLb1EEEvPKT_S5_PKT0_S8_S5_PS3_i,comdat
.Lfunc_end117:
	.size	_ZN2at6native12_GLOBAL__N_128layer_norm_grad_input_kernelIddLb1EEEvPKT_S5_PKT0_S8_S5_PS3_i, .Lfunc_end117-_ZN2at6native12_GLOBAL__N_128layer_norm_grad_input_kernelIddLb1EEEvPKT_S5_PKT0_S8_S5_PS3_i
                                        ; -- End function
	.set _ZN2at6native12_GLOBAL__N_128layer_norm_grad_input_kernelIddLb1EEEvPKT_S5_PKT0_S8_S5_PS3_i.num_vgpr, 34
	.set _ZN2at6native12_GLOBAL__N_128layer_norm_grad_input_kernelIddLb1EEEvPKT_S5_PKT0_S8_S5_PS3_i.num_agpr, 0
	.set _ZN2at6native12_GLOBAL__N_128layer_norm_grad_input_kernelIddLb1EEEvPKT_S5_PKT0_S8_S5_PS3_i.numbered_sgpr, 23
	.set _ZN2at6native12_GLOBAL__N_128layer_norm_grad_input_kernelIddLb1EEEvPKT_S5_PKT0_S8_S5_PS3_i.num_named_barrier, 0
	.set _ZN2at6native12_GLOBAL__N_128layer_norm_grad_input_kernelIddLb1EEEvPKT_S5_PKT0_S8_S5_PS3_i.private_seg_size, 0
	.set _ZN2at6native12_GLOBAL__N_128layer_norm_grad_input_kernelIddLb1EEEvPKT_S5_PKT0_S8_S5_PS3_i.uses_vcc, 1
	.set _ZN2at6native12_GLOBAL__N_128layer_norm_grad_input_kernelIddLb1EEEvPKT_S5_PKT0_S8_S5_PS3_i.uses_flat_scratch, 0
	.set _ZN2at6native12_GLOBAL__N_128layer_norm_grad_input_kernelIddLb1EEEvPKT_S5_PKT0_S8_S5_PS3_i.has_dyn_sized_stack, 0
	.set _ZN2at6native12_GLOBAL__N_128layer_norm_grad_input_kernelIddLb1EEEvPKT_S5_PKT0_S8_S5_PS3_i.has_recursion, 0
	.set _ZN2at6native12_GLOBAL__N_128layer_norm_grad_input_kernelIddLb1EEEvPKT_S5_PKT0_S8_S5_PS3_i.has_indirect_call, 0
	.section	.AMDGPU.csdata,"",@progbits
; Kernel info:
; codeLenInByte = 1616
; TotalNumSgprs: 25
; NumVgprs: 34
; ScratchSize: 0
; MemoryBound: 0
; FloatMode: 240
; IeeeMode: 1
; LDSByteSize: 0 bytes/workgroup (compile time only)
; SGPRBlocks: 0
; VGPRBlocks: 2
; NumSGPRsForWavesPerEU: 25
; NumVGPRsForWavesPerEU: 34
; NamedBarCnt: 0
; Occupancy: 16
; WaveLimiterHint : 0
; COMPUTE_PGM_RSRC2:SCRATCH_EN: 0
; COMPUTE_PGM_RSRC2:USER_SGPR: 2
; COMPUTE_PGM_RSRC2:TRAP_HANDLER: 0
; COMPUTE_PGM_RSRC2:TGID_X_EN: 1
; COMPUTE_PGM_RSRC2:TGID_Y_EN: 0
; COMPUTE_PGM_RSRC2:TGID_Z_EN: 0
; COMPUTE_PGM_RSRC2:TIDIG_COMP_CNT: 0
	.section	.text._ZN2at6native12_GLOBAL__N_133GammaBetaBackwardSimpleCUDAKernelIddLb1EEEvllPKT_S5_PKT0_S8_PS3_S9_,"axG",@progbits,_ZN2at6native12_GLOBAL__N_133GammaBetaBackwardSimpleCUDAKernelIddLb1EEEvllPKT_S5_PKT0_S8_PS3_S9_,comdat
	.globl	_ZN2at6native12_GLOBAL__N_133GammaBetaBackwardSimpleCUDAKernelIddLb1EEEvllPKT_S5_PKT0_S8_PS3_S9_ ; -- Begin function _ZN2at6native12_GLOBAL__N_133GammaBetaBackwardSimpleCUDAKernelIddLb1EEEvllPKT_S5_PKT0_S8_PS3_S9_
	.p2align	8
	.type	_ZN2at6native12_GLOBAL__N_133GammaBetaBackwardSimpleCUDAKernelIddLb1EEEvllPKT_S5_PKT0_S8_PS3_S9_,@function
_ZN2at6native12_GLOBAL__N_133GammaBetaBackwardSimpleCUDAKernelIddLb1EEEvllPKT_S5_PKT0_S8_PS3_S9_: ; @_ZN2at6native12_GLOBAL__N_133GammaBetaBackwardSimpleCUDAKernelIddLb1EEEvllPKT_S5_PKT0_S8_PS3_S9_
; %bb.0:
	s_load_b32 s2, s[0:1], 0x4c
	s_bfe_u32 s12, ttmp6, 0x4000c
	s_load_b256 s[4:11], s[0:1], 0x0
	s_add_co_i32 s12, s12, 1
	s_and_b32 s3, ttmp6, 15
	s_mul_i32 s12, ttmp9, s12
	s_getreg_b32 s13, hwreg(HW_REG_IB_STS2, 6, 4)
	v_mov_b32_e32 v1, 0
	s_add_co_i32 s3, s3, s12
	s_wait_kmcnt 0x0
	s_and_b32 s2, s2, 0xffff
	s_cmp_eq_u32 s13, 0
	s_cselect_b32 s3, ttmp9, s3
	s_delay_alu instid0(SALU_CYCLE_1) | instskip(SKIP_1) | instid1(VALU_DEP_1)
	v_mad_nc_u64_u32 v[0:1], s2, s3, v[0:1]
	s_mov_b32 s2, exec_lo
	v_cmpx_gt_i64_e64 s[6:7], v[0:1]
	s_cbranch_execz .LBB118_9
; %bb.1:
	s_load_b128 s[12:15], s[0:1], 0x28
	s_wait_xcnt 0x0
	v_cmp_lt_i64_e64 s0, s[4:5], 1
	s_and_b32 vcc_lo, exec_lo, s0
	s_cbranch_vccnz .LBB118_6
; %bb.2:
	v_lshlrev_b64_e32 v[4:5], 3, v[0:1]
	v_mov_b64_e32 v[2:3], 0
	s_wait_kmcnt 0x0
	s_cmp_lg_u64 s[14:15], 0
	s_cselect_b32 s2, -1, 0
	s_lshl_b64 s[0:1], s[6:7], 3
	s_branch .LBB118_4
.LBB118_3:                              ;   in Loop: Header=BB118_4 Depth=1
	s_delay_alu instid0(VALU_DEP_1)
	v_add_f64_e32 v[2:3], v[2:3], v[6:7]
	v_add_nc_u64_e32 v[4:5], s[0:1], v[4:5]
	s_add_nc_u64 s[4:5], s[4:5], -1
	s_add_nc_u64 s[12:13], s[12:13], 8
	s_cmp_eq_u64 s[4:5], 0
	s_cbranch_scc1 .LBB118_7
.LBB118_4:                              ; =>This Inner Loop Header: Depth=1
	v_mov_b64_e32 v[6:7], 0
	s_and_not1_b32 vcc_lo, exec_lo, s2
	s_cbranch_vccnz .LBB118_3
; %bb.5:                                ;   in Loop: Header=BB118_4 Depth=1
	v_add_nc_u64_e32 v[6:7], s[8:9], v[4:5]
	v_add_nc_u64_e32 v[8:9], s[10:11], v[4:5]
	global_load_b64 v[10:11], v[6:7], off
	global_load_b64 v[12:13], v[8:9], off
	s_load_b64 s[6:7], s[12:13], 0x0
	s_wait_loadcnt 0x0
	v_mul_f64_e32 v[6:7], v[10:11], v[12:13]
	s_wait_kmcnt 0x0
	s_delay_alu instid0(VALU_DEP_1)
	v_mul_f64_e32 v[6:7], s[6:7], v[6:7]
	s_branch .LBB118_3
.LBB118_6:
	v_mov_b64_e32 v[2:3], 0
.LBB118_7:
	s_wait_kmcnt 0x0
	s_cmp_lg_u64 s[14:15], 0
	s_cbranch_scc0 .LBB118_9
; %bb.8:
	v_lshl_add_u64 v[0:1], v[0:1], 3, s[14:15]
	global_store_b64 v[0:1], v[2:3], off
.LBB118_9:
	s_endpgm
	.section	.rodata,"a",@progbits
	.p2align	6, 0x0
	.amdhsa_kernel _ZN2at6native12_GLOBAL__N_133GammaBetaBackwardSimpleCUDAKernelIddLb1EEEvllPKT_S5_PKT0_S8_PS3_S9_
		.amdhsa_group_segment_fixed_size 0
		.amdhsa_private_segment_fixed_size 0
		.amdhsa_kernarg_size 320
		.amdhsa_user_sgpr_count 2
		.amdhsa_user_sgpr_dispatch_ptr 0
		.amdhsa_user_sgpr_queue_ptr 0
		.amdhsa_user_sgpr_kernarg_segment_ptr 1
		.amdhsa_user_sgpr_dispatch_id 0
		.amdhsa_user_sgpr_kernarg_preload_length 0
		.amdhsa_user_sgpr_kernarg_preload_offset 0
		.amdhsa_user_sgpr_private_segment_size 0
		.amdhsa_wavefront_size32 1
		.amdhsa_uses_dynamic_stack 0
		.amdhsa_enable_private_segment 0
		.amdhsa_system_sgpr_workgroup_id_x 1
		.amdhsa_system_sgpr_workgroup_id_y 0
		.amdhsa_system_sgpr_workgroup_id_z 0
		.amdhsa_system_sgpr_workgroup_info 0
		.amdhsa_system_vgpr_workitem_id 0
		.amdhsa_next_free_vgpr 14
		.amdhsa_next_free_sgpr 16
		.amdhsa_named_barrier_count 0
		.amdhsa_reserve_vcc 1
		.amdhsa_float_round_mode_32 0
		.amdhsa_float_round_mode_16_64 0
		.amdhsa_float_denorm_mode_32 3
		.amdhsa_float_denorm_mode_16_64 3
		.amdhsa_fp16_overflow 0
		.amdhsa_memory_ordered 1
		.amdhsa_forward_progress 1
		.amdhsa_inst_pref_size 3
		.amdhsa_round_robin_scheduling 0
		.amdhsa_exception_fp_ieee_invalid_op 0
		.amdhsa_exception_fp_denorm_src 0
		.amdhsa_exception_fp_ieee_div_zero 0
		.amdhsa_exception_fp_ieee_overflow 0
		.amdhsa_exception_fp_ieee_underflow 0
		.amdhsa_exception_fp_ieee_inexact 0
		.amdhsa_exception_int_div_zero 0
	.end_amdhsa_kernel
	.section	.text._ZN2at6native12_GLOBAL__N_133GammaBetaBackwardSimpleCUDAKernelIddLb1EEEvllPKT_S5_PKT0_S8_PS3_S9_,"axG",@progbits,_ZN2at6native12_GLOBAL__N_133GammaBetaBackwardSimpleCUDAKernelIddLb1EEEvllPKT_S5_PKT0_S8_PS3_S9_,comdat
.Lfunc_end118:
	.size	_ZN2at6native12_GLOBAL__N_133GammaBetaBackwardSimpleCUDAKernelIddLb1EEEvllPKT_S5_PKT0_S8_PS3_S9_, .Lfunc_end118-_ZN2at6native12_GLOBAL__N_133GammaBetaBackwardSimpleCUDAKernelIddLb1EEEvllPKT_S5_PKT0_S8_PS3_S9_
                                        ; -- End function
	.set _ZN2at6native12_GLOBAL__N_133GammaBetaBackwardSimpleCUDAKernelIddLb1EEEvllPKT_S5_PKT0_S8_PS3_S9_.num_vgpr, 14
	.set _ZN2at6native12_GLOBAL__N_133GammaBetaBackwardSimpleCUDAKernelIddLb1EEEvllPKT_S5_PKT0_S8_PS3_S9_.num_agpr, 0
	.set _ZN2at6native12_GLOBAL__N_133GammaBetaBackwardSimpleCUDAKernelIddLb1EEEvllPKT_S5_PKT0_S8_PS3_S9_.numbered_sgpr, 16
	.set _ZN2at6native12_GLOBAL__N_133GammaBetaBackwardSimpleCUDAKernelIddLb1EEEvllPKT_S5_PKT0_S8_PS3_S9_.num_named_barrier, 0
	.set _ZN2at6native12_GLOBAL__N_133GammaBetaBackwardSimpleCUDAKernelIddLb1EEEvllPKT_S5_PKT0_S8_PS3_S9_.private_seg_size, 0
	.set _ZN2at6native12_GLOBAL__N_133GammaBetaBackwardSimpleCUDAKernelIddLb1EEEvllPKT_S5_PKT0_S8_PS3_S9_.uses_vcc, 1
	.set _ZN2at6native12_GLOBAL__N_133GammaBetaBackwardSimpleCUDAKernelIddLb1EEEvllPKT_S5_PKT0_S8_PS3_S9_.uses_flat_scratch, 0
	.set _ZN2at6native12_GLOBAL__N_133GammaBetaBackwardSimpleCUDAKernelIddLb1EEEvllPKT_S5_PKT0_S8_PS3_S9_.has_dyn_sized_stack, 0
	.set _ZN2at6native12_GLOBAL__N_133GammaBetaBackwardSimpleCUDAKernelIddLb1EEEvllPKT_S5_PKT0_S8_PS3_S9_.has_recursion, 0
	.set _ZN2at6native12_GLOBAL__N_133GammaBetaBackwardSimpleCUDAKernelIddLb1EEEvllPKT_S5_PKT0_S8_PS3_S9_.has_indirect_call, 0
	.section	.AMDGPU.csdata,"",@progbits
; Kernel info:
; codeLenInByte = 296
; TotalNumSgprs: 18
; NumVgprs: 14
; ScratchSize: 0
; MemoryBound: 1
; FloatMode: 240
; IeeeMode: 1
; LDSByteSize: 0 bytes/workgroup (compile time only)
; SGPRBlocks: 0
; VGPRBlocks: 0
; NumSGPRsForWavesPerEU: 18
; NumVGPRsForWavesPerEU: 14
; NamedBarCnt: 0
; Occupancy: 16
; WaveLimiterHint : 0
; COMPUTE_PGM_RSRC2:SCRATCH_EN: 0
; COMPUTE_PGM_RSRC2:USER_SGPR: 2
; COMPUTE_PGM_RSRC2:TRAP_HANDLER: 0
; COMPUTE_PGM_RSRC2:TGID_X_EN: 1
; COMPUTE_PGM_RSRC2:TGID_Y_EN: 0
; COMPUTE_PGM_RSRC2:TGID_Z_EN: 0
; COMPUTE_PGM_RSRC2:TIDIG_COMP_CNT: 0
	.section	.text._ZN2at6native12_GLOBAL__N_135GammaBetaBackwardCUDAKernelTemplateIddLj64ELj1ELj32ELb1ELb1ELb1EEEvllPKT_S5_PKT0_S8_PS3_S9_,"axG",@progbits,_ZN2at6native12_GLOBAL__N_135GammaBetaBackwardCUDAKernelTemplateIddLj64ELj1ELj32ELb1ELb1ELb1EEEvllPKT_S5_PKT0_S8_PS3_S9_,comdat
	.globl	_ZN2at6native12_GLOBAL__N_135GammaBetaBackwardCUDAKernelTemplateIddLj64ELj1ELj32ELb1ELb1ELb1EEEvllPKT_S5_PKT0_S8_PS3_S9_ ; -- Begin function _ZN2at6native12_GLOBAL__N_135GammaBetaBackwardCUDAKernelTemplateIddLj64ELj1ELj32ELb1ELb1ELb1EEEvllPKT_S5_PKT0_S8_PS3_S9_
	.p2align	8
	.type	_ZN2at6native12_GLOBAL__N_135GammaBetaBackwardCUDAKernelTemplateIddLj64ELj1ELj32ELb1ELb1ELb1EEEvllPKT_S5_PKT0_S8_PS3_S9_,@function
_ZN2at6native12_GLOBAL__N_135GammaBetaBackwardCUDAKernelTemplateIddLj64ELj1ELj32ELb1ELb1ELb1EEEvllPKT_S5_PKT0_S8_PS3_S9_: ; @_ZN2at6native12_GLOBAL__N_135GammaBetaBackwardCUDAKernelTemplateIddLj64ELj1ELj32ELb1ELb1ELb1EEEvllPKT_S5_PKT0_S8_PS3_S9_
; %bb.0:
	s_load_b128 s[4:7], s[0:1], 0x0
	s_bfe_u32 s2, ttmp6, 0x40010
	s_bfe_u32 s3, ttmp6, 0x40004
	s_add_co_i32 s2, s2, 1
	s_getreg_b32 s20, hwreg(HW_REG_IB_STS2, 6, 4)
	s_mul_i32 s2, ttmp7, s2
	v_mov_b64_e32 v[4:5], 0
	s_add_co_i32 s3, s3, s2
	s_cmp_eq_u32 s20, 0
	v_bfe_u32 v2, v0, 10, 10
	s_cselect_b32 s21, ttmp7, s3
	s_mov_b32 s3, 0
	s_lshl_b32 s2, s21, 5
	v_and_b32_e32 v14, 0x3ff, v0
	s_wait_kmcnt 0x0
	v_cmp_le_i64_e64 s8, s[4:5], s[2:3]
	s_and_b32 vcc_lo, exec_lo, s8
	s_cbranch_vccnz .LBB119_5
; %bb.1:
	v_dual_mov_b32 v1, 0 :: v_dual_lshlrev_b32 v0, 5, v2
	s_clause 0x3
	s_load_b32 s12, s[0:1], 0x4c
	s_load_b32 s13, s[0:1], 0x44
	s_load_b128 s[8:11], s[0:1], 0x10
	s_load_b64 s[14:15], s[0:1], 0x28
	s_bfe_u32 s17, ttmp6, 0x4000c
	s_and_b32 s16, ttmp6, 15
	s_add_co_i32 s17, s17, 1
	v_add_nc_u64_e32 v[4:5], s[2:3], v[0:1]
	s_mul_i32 s17, ttmp9, s17
	v_dual_mov_b32 v20, 28 :: v_dual_mov_b32 v7, v1
	s_add_co_i32 s16, s16, s17
	v_dual_mov_b32 v3, 4 :: v_dual_mov_b32 v15, 8
	s_delay_alu instid0(VALU_DEP_3)
	v_mul_u64_e32 v[8:9], s[6:7], v[4:5]
	v_dual_mov_b32 v16, 12 :: v_dual_mov_b32 v17, 16
	v_dual_mov_b32 v18, 20 :: v_dual_mov_b32 v19, 24
	;; [unrolled: 1-line block ×3, first 2 shown]
	s_wait_kmcnt 0x0
	s_and_b32 s12, s12, 0xffff
	s_cmp_eq_u32 s20, 0
	v_mad_u32_u24 v0, v2, s12, v14
	s_cselect_b32 s12, ttmp9, s16
	v_mov_b32_e32 v11, v1
	v_lshl_or_b32 v10, s12, 6, v14
	s_lshl_b32 s12, s13, 5
	v_and_b32_e32 v6, 31, v0
	s_mov_b32 s13, s3
	v_dual_mov_b32 v0, 32 :: v_dual_mov_b32 v21, 36
	v_lshlrev_b64_e32 v[10:11], 3, v[10:11]
	s_delay_alu instid0(VALU_DEP_3)
	v_add_nc_u64_e32 v[6:7], v[4:5], v[6:7]
	v_mov_b64_e32 v[4:5], 0
	v_dual_mov_b32 v24, 48 :: v_dual_mov_b32 v25, 52
	v_dual_mov_b32 v26, 56 :: v_dual_mov_b32 v27, 60
	;; [unrolled: 1-line block ×3, first 2 shown]
	v_mov_b32_e32 v30, 0x48
	v_mov_b32_e32 v31, 0x4c
	;; [unrolled: 1-line block ×14, first 2 shown]
	v_lshl_add_u64 v[8:9], v[8:9], 3, v[10:11]
	v_lshl_add_u64 v[10:11], v[6:7], 3, s[14:15]
	s_mul_u64 s[16:17], s[6:7], s[12:13]
	s_lshl_b64 s[18:19], s[6:7], 3
	s_lshl_b64 s[14:15], s[16:17], 3
	;; [unrolled: 1-line block ×3, first 2 shown]
	s_branch .LBB119_3
.LBB119_2:                              ;   in Loop: Header=BB119_3 Depth=1
	s_wait_xcnt 0x0
	s_or_b32 exec_lo, exec_lo, s22
	v_add_nc_u64_e32 v[44:45], s[8:9], v[8:9]
	v_add_nc_u64_e32 v[46:47], s[10:11], v[8:9]
	s_wait_loadcnt 0x0
	ds_bpermute_b32 v58, v1, v12
	ds_bpermute_b32 v59, v1, v13
	s_add_nc_u64 s[2:3], s[2:3], s[12:13]
	v_add_nc_u64_e32 v[8:9], s[14:15], v[8:9]
	v_cmp_lt_i64_e64 s22, s[2:3], s[4:5]
	global_load_b64 v[48:49], v[44:45], off
	global_load_b64 v[50:51], v[46:47], off
	s_wait_xcnt 0x1
	v_add_nc_u64_e32 v[44:45], s[18:19], v[44:45]
	s_wait_xcnt 0x0
	v_add_nc_u64_e32 v[46:47], s[18:19], v[46:47]
	v_add_nc_u64_e32 v[10:11], s[16:17], v[10:11]
	;; [unrolled: 1-line block ×3, first 2 shown]
	global_load_b64 v[52:53], v[44:45], off
	global_load_b64 v[54:55], v[46:47], off
	s_wait_xcnt 0x1
	v_add_nc_u64_e32 v[44:45], s[18:19], v[44:45]
	s_wait_xcnt 0x0
	v_add_nc_u64_e32 v[46:47], s[18:19], v[46:47]
	s_and_b32 vcc_lo, exec_lo, s22
	s_wait_loadcnt 0x2
	v_mul_f64_e32 v[48:49], v[48:49], v[50:51]
	global_load_b64 v[50:51], v[44:45], off
	global_load_b64 v[56:57], v[46:47], off
	s_wait_xcnt 0x1
	v_add_nc_u64_e32 v[44:45], s[18:19], v[44:45]
	s_wait_xcnt 0x0
	v_add_nc_u64_e32 v[46:47], s[18:19], v[46:47]
	s_wait_loadcnt 0x2
	v_mul_f64_e32 v[52:53], v[52:53], v[54:55]
	ds_bpermute_b32 v54, v3, v12
	ds_bpermute_b32 v55, v3, v13
	s_wait_dscnt 0x2
	v_fmac_f64_e32 v[4:5], v[48:49], v[58:59]
	global_load_b64 v[48:49], v[44:45], off
	global_load_b64 v[58:59], v[46:47], off
	s_wait_xcnt 0x1
	v_add_nc_u64_e32 v[44:45], s[18:19], v[44:45]
	s_wait_xcnt 0x0
	v_add_nc_u64_e32 v[46:47], s[18:19], v[46:47]
	s_wait_dscnt 0x0
	v_fmac_f64_e32 v[4:5], v[52:53], v[54:55]
	global_load_b64 v[52:53], v[44:45], off
	global_load_b64 v[54:55], v[46:47], off
	s_wait_xcnt 0x1
	v_add_nc_u64_e32 v[44:45], s[18:19], v[44:45]
	s_wait_xcnt 0x0
	v_add_nc_u64_e32 v[46:47], s[18:19], v[46:47]
	s_wait_loadcnt 0x4
	v_mul_f64_e32 v[50:51], v[50:51], v[56:57]
	ds_bpermute_b32 v56, v15, v12
	ds_bpermute_b32 v57, v15, v13
	s_wait_loadcnt 0x2
	v_mul_f64_e32 v[48:49], v[48:49], v[58:59]
	s_wait_dscnt 0x0
	v_fmac_f64_e32 v[4:5], v[50:51], v[56:57]
	global_load_b64 v[50:51], v[44:45], off
	global_load_b64 v[56:57], v[46:47], off
	ds_bpermute_b32 v58, v16, v12
	ds_bpermute_b32 v59, v16, v13
	s_wait_xcnt 0x1
	v_add_nc_u64_e32 v[44:45], s[18:19], v[44:45]
	s_wait_xcnt 0x0
	v_add_nc_u64_e32 v[46:47], s[18:19], v[46:47]
	s_wait_loadcnt 0x2
	v_mul_f64_e32 v[52:53], v[52:53], v[54:55]
	s_wait_dscnt 0x0
	v_fmac_f64_e32 v[4:5], v[48:49], v[58:59]
	global_load_b64 v[48:49], v[44:45], off
	global_load_b64 v[58:59], v[46:47], off
	ds_bpermute_b32 v54, v17, v12
	ds_bpermute_b32 v55, v17, v13
	s_wait_xcnt 0x1
	v_add_nc_u64_e32 v[44:45], s[18:19], v[44:45]
	s_wait_xcnt 0x0
	v_add_nc_u64_e32 v[46:47], s[18:19], v[46:47]
	s_wait_dscnt 0x0
	v_fmac_f64_e32 v[4:5], v[52:53], v[54:55]
	global_load_b64 v[52:53], v[44:45], off
	global_load_b64 v[54:55], v[46:47], off
	s_wait_xcnt 0x1
	v_add_nc_u64_e32 v[44:45], s[18:19], v[44:45]
	s_wait_xcnt 0x0
	v_add_nc_u64_e32 v[46:47], s[18:19], v[46:47]
	s_wait_loadcnt 0x4
	v_mul_f64_e32 v[50:51], v[50:51], v[56:57]
	ds_bpermute_b32 v56, v18, v12
	ds_bpermute_b32 v57, v18, v13
	s_wait_loadcnt 0x2
	v_mul_f64_e32 v[48:49], v[48:49], v[58:59]
	s_wait_dscnt 0x0
	v_fmac_f64_e32 v[4:5], v[50:51], v[56:57]
	global_load_b64 v[50:51], v[44:45], off
	global_load_b64 v[56:57], v[46:47], off
	ds_bpermute_b32 v58, v19, v12
	ds_bpermute_b32 v59, v19, v13
	s_wait_xcnt 0x1
	v_add_nc_u64_e32 v[44:45], s[18:19], v[44:45]
	s_wait_xcnt 0x0
	v_add_nc_u64_e32 v[46:47], s[18:19], v[46:47]
	s_wait_loadcnt 0x2
	v_mul_f64_e32 v[52:53], v[52:53], v[54:55]
	s_wait_dscnt 0x0
	v_fmac_f64_e32 v[4:5], v[48:49], v[58:59]
	global_load_b64 v[48:49], v[44:45], off
	global_load_b64 v[58:59], v[46:47], off
	ds_bpermute_b32 v54, v20, v12
	ds_bpermute_b32 v55, v20, v13
	;; [unrolled: 36-line block ×8, first 2 shown]
	s_wait_xcnt 0x1
	v_add_nc_u64_e32 v[44:45], s[18:19], v[44:45]
	s_wait_xcnt 0x0
	v_add_nc_u64_e32 v[46:47], s[18:19], v[46:47]
	s_wait_dscnt 0x0
	v_fmac_f64_e32 v[4:5], v[52:53], v[54:55]
	global_load_b64 v[52:53], v[44:45], off
	global_load_b64 v[54:55], v[46:47], off
	s_wait_xcnt 0x1
	v_add_nc_u64_e32 v[44:45], s[18:19], v[44:45]
	s_wait_xcnt 0x0
	v_add_nc_u64_e32 v[46:47], s[18:19], v[46:47]
	s_wait_loadcnt 0x4
	v_mul_f64_e32 v[50:51], v[50:51], v[56:57]
	ds_bpermute_b32 v56, v38, v12
	ds_bpermute_b32 v57, v38, v13
	s_wait_loadcnt 0x2
	v_mul_f64_e32 v[48:49], v[48:49], v[58:59]
	s_wait_dscnt 0x0
	v_fmac_f64_e32 v[4:5], v[50:51], v[56:57]
	global_load_b64 v[50:51], v[44:45], off
	global_load_b64 v[56:57], v[46:47], off
	ds_bpermute_b32 v58, v39, v12
	ds_bpermute_b32 v59, v39, v13
	s_wait_xcnt 0x1
	v_add_nc_u64_e32 v[44:45], s[18:19], v[44:45]
	s_wait_xcnt 0x0
	v_add_nc_u64_e32 v[46:47], s[18:19], v[46:47]
	s_wait_dscnt 0x0
	v_fmac_f64_e32 v[4:5], v[48:49], v[58:59]
	global_load_b64 v[48:49], v[44:45], off
	global_load_b64 v[58:59], v[46:47], off
	s_wait_xcnt 0x1
	v_add_nc_u64_e32 v[44:45], s[18:19], v[44:45]
	s_wait_xcnt 0x0
	v_add_nc_u64_e32 v[46:47], s[18:19], v[46:47]
	global_load_b64 v[60:61], v[44:45], off
	global_load_b64 v[62:63], v[46:47], off
	s_wait_loadcnt 0x6
	s_wait_xcnt 0x1
	v_mul_f64_e32 v[44:45], v[52:53], v[54:55]
	s_wait_xcnt 0x0
	ds_bpermute_b32 v46, v40, v12
	ds_bpermute_b32 v47, v40, v13
	s_wait_dscnt 0x0
	v_fmac_f64_e32 v[4:5], v[44:45], v[46:47]
	ds_bpermute_b32 v44, v41, v12
	ds_bpermute_b32 v45, v41, v13
	s_wait_loadcnt 0x4
	v_mul_f64_e32 v[50:51], v[50:51], v[56:57]
	s_wait_loadcnt 0x2
	v_mul_f64_e32 v[46:47], v[48:49], v[58:59]
	s_wait_dscnt 0x0
	s_delay_alu instid0(VALU_DEP_2)
	v_fmac_f64_e32 v[4:5], v[50:51], v[44:45]
	ds_bpermute_b32 v44, v42, v12
	ds_bpermute_b32 v45, v42, v13
	;; [unrolled: 1-line block ×4, first 2 shown]
	s_wait_dscnt 0x2
	v_fmac_f64_e32 v[4:5], v[46:47], v[44:45]
	s_wait_loadcnt 0x0
	v_mul_f64_e32 v[44:45], v[60:61], v[62:63]
	s_wait_dscnt 0x0
	s_delay_alu instid0(VALU_DEP_1)
	v_fmac_f64_e32 v[4:5], v[44:45], v[12:13]
	s_cbranch_vccz .LBB119_5
.LBB119_3:                              ; =>This Inner Loop Header: Depth=1
	v_mov_b64_e32 v[12:13], 0
	s_mov_b32 s22, exec_lo
	v_cmpx_gt_i64_e64 s[4:5], v[6:7]
	s_cbranch_execz .LBB119_2
; %bb.4:                                ;   in Loop: Header=BB119_3 Depth=1
	global_load_b64 v[12:13], v[10:11], off
	s_branch .LBB119_2
.LBB119_5:
	s_load_b64 s[2:3], s[0:1], 0x30
	s_wait_kmcnt 0x0
	s_cmp_eq_u64 s[2:3], 0
	s_cbranch_scc1 .LBB119_7
; %bb.6:
	s_load_u16 s0, s[0:1], 0x4e
	v_mov_b32_e32 v3, 0
	s_and_b32 s4, ttmp6, 15
	s_wait_xcnt 0x0
	s_mov_b32 s1, 0
	s_wait_kmcnt 0x0
	v_mad_nc_u64_u32 v[0:1], s0, s21, v[2:3]
	s_bfe_u32 s0, ttmp6, 0x4000c
	v_lshlrev_b32_e32 v2, 3, v14
	s_add_co_i32 s0, s0, 1
	s_delay_alu instid0(SALU_CYCLE_1) | instskip(NEXT) | instid1(SALU_CYCLE_1)
	s_mul_i32 s0, ttmp9, s0
	s_add_co_i32 s4, s4, s0
	s_cmp_eq_u32 s20, 0
	s_cselect_b32 s0, ttmp9, s4
	s_delay_alu instid0(VALU_DEP_2) | instskip(SKIP_1) | instid1(VALU_DEP_1)
	v_mul_u64_e32 v[0:1], s[6:7], v[0:1]
	s_lshl_b64 s[0:1], s[0:1], 9
	v_lshl_add_u64 v[0:1], v[0:1], 3, s[2:3]
	s_delay_alu instid0(VALU_DEP_1) | instskip(NEXT) | instid1(VALU_DEP_1)
	v_add_nc_u64_e32 v[0:1], s[0:1], v[0:1]
	v_add_nc_u64_e32 v[0:1], v[0:1], v[2:3]
	global_store_b64 v[0:1], v[4:5], off
.LBB119_7:
	s_endpgm
	.section	.rodata,"a",@progbits
	.p2align	6, 0x0
	.amdhsa_kernel _ZN2at6native12_GLOBAL__N_135GammaBetaBackwardCUDAKernelTemplateIddLj64ELj1ELj32ELb1ELb1ELb1EEEvllPKT_S5_PKT0_S8_PS3_S9_
		.amdhsa_group_segment_fixed_size 0
		.amdhsa_private_segment_fixed_size 0
		.amdhsa_kernarg_size 320
		.amdhsa_user_sgpr_count 2
		.amdhsa_user_sgpr_dispatch_ptr 0
		.amdhsa_user_sgpr_queue_ptr 0
		.amdhsa_user_sgpr_kernarg_segment_ptr 1
		.amdhsa_user_sgpr_dispatch_id 0
		.amdhsa_user_sgpr_kernarg_preload_length 0
		.amdhsa_user_sgpr_kernarg_preload_offset 0
		.amdhsa_user_sgpr_private_segment_size 0
		.amdhsa_wavefront_size32 1
		.amdhsa_uses_dynamic_stack 0
		.amdhsa_enable_private_segment 0
		.amdhsa_system_sgpr_workgroup_id_x 1
		.amdhsa_system_sgpr_workgroup_id_y 1
		.amdhsa_system_sgpr_workgroup_id_z 0
		.amdhsa_system_sgpr_workgroup_info 0
		.amdhsa_system_vgpr_workitem_id 1
		.amdhsa_next_free_vgpr 64
		.amdhsa_next_free_sgpr 23
		.amdhsa_named_barrier_count 0
		.amdhsa_reserve_vcc 1
		.amdhsa_float_round_mode_32 0
		.amdhsa_float_round_mode_16_64 0
		.amdhsa_float_denorm_mode_32 3
		.amdhsa_float_denorm_mode_16_64 3
		.amdhsa_fp16_overflow 0
		.amdhsa_memory_ordered 1
		.amdhsa_forward_progress 1
		.amdhsa_inst_pref_size 24
		.amdhsa_round_robin_scheduling 0
		.amdhsa_exception_fp_ieee_invalid_op 0
		.amdhsa_exception_fp_denorm_src 0
		.amdhsa_exception_fp_ieee_div_zero 0
		.amdhsa_exception_fp_ieee_overflow 0
		.amdhsa_exception_fp_ieee_underflow 0
		.amdhsa_exception_fp_ieee_inexact 0
		.amdhsa_exception_int_div_zero 0
	.end_amdhsa_kernel
	.section	.text._ZN2at6native12_GLOBAL__N_135GammaBetaBackwardCUDAKernelTemplateIddLj64ELj1ELj32ELb1ELb1ELb1EEEvllPKT_S5_PKT0_S8_PS3_S9_,"axG",@progbits,_ZN2at6native12_GLOBAL__N_135GammaBetaBackwardCUDAKernelTemplateIddLj64ELj1ELj32ELb1ELb1ELb1EEEvllPKT_S5_PKT0_S8_PS3_S9_,comdat
.Lfunc_end119:
	.size	_ZN2at6native12_GLOBAL__N_135GammaBetaBackwardCUDAKernelTemplateIddLj64ELj1ELj32ELb1ELb1ELb1EEEvllPKT_S5_PKT0_S8_PS3_S9_, .Lfunc_end119-_ZN2at6native12_GLOBAL__N_135GammaBetaBackwardCUDAKernelTemplateIddLj64ELj1ELj32ELb1ELb1ELb1EEEvllPKT_S5_PKT0_S8_PS3_S9_
                                        ; -- End function
	.set _ZN2at6native12_GLOBAL__N_135GammaBetaBackwardCUDAKernelTemplateIddLj64ELj1ELj32ELb1ELb1ELb1EEEvllPKT_S5_PKT0_S8_PS3_S9_.num_vgpr, 64
	.set _ZN2at6native12_GLOBAL__N_135GammaBetaBackwardCUDAKernelTemplateIddLj64ELj1ELj32ELb1ELb1ELb1EEEvllPKT_S5_PKT0_S8_PS3_S9_.num_agpr, 0
	.set _ZN2at6native12_GLOBAL__N_135GammaBetaBackwardCUDAKernelTemplateIddLj64ELj1ELj32ELb1ELb1ELb1EEEvllPKT_S5_PKT0_S8_PS3_S9_.numbered_sgpr, 23
	.set _ZN2at6native12_GLOBAL__N_135GammaBetaBackwardCUDAKernelTemplateIddLj64ELj1ELj32ELb1ELb1ELb1EEEvllPKT_S5_PKT0_S8_PS3_S9_.num_named_barrier, 0
	.set _ZN2at6native12_GLOBAL__N_135GammaBetaBackwardCUDAKernelTemplateIddLj64ELj1ELj32ELb1ELb1ELb1EEEvllPKT_S5_PKT0_S8_PS3_S9_.private_seg_size, 0
	.set _ZN2at6native12_GLOBAL__N_135GammaBetaBackwardCUDAKernelTemplateIddLj64ELj1ELj32ELb1ELb1ELb1EEEvllPKT_S5_PKT0_S8_PS3_S9_.uses_vcc, 1
	.set _ZN2at6native12_GLOBAL__N_135GammaBetaBackwardCUDAKernelTemplateIddLj64ELj1ELj32ELb1ELb1ELb1EEEvllPKT_S5_PKT0_S8_PS3_S9_.uses_flat_scratch, 0
	.set _ZN2at6native12_GLOBAL__N_135GammaBetaBackwardCUDAKernelTemplateIddLj64ELj1ELj32ELb1ELb1ELb1EEEvllPKT_S5_PKT0_S8_PS3_S9_.has_dyn_sized_stack, 0
	.set _ZN2at6native12_GLOBAL__N_135GammaBetaBackwardCUDAKernelTemplateIddLj64ELj1ELj32ELb1ELb1ELb1EEEvllPKT_S5_PKT0_S8_PS3_S9_.has_recursion, 0
	.set _ZN2at6native12_GLOBAL__N_135GammaBetaBackwardCUDAKernelTemplateIddLj64ELj1ELj32ELb1ELb1ELb1EEEvllPKT_S5_PKT0_S8_PS3_S9_.has_indirect_call, 0
	.section	.AMDGPU.csdata,"",@progbits
; Kernel info:
; codeLenInByte = 3004
; TotalNumSgprs: 25
; NumVgprs: 64
; ScratchSize: 0
; MemoryBound: 0
; FloatMode: 240
; IeeeMode: 1
; LDSByteSize: 0 bytes/workgroup (compile time only)
; SGPRBlocks: 0
; VGPRBlocks: 3
; NumSGPRsForWavesPerEU: 25
; NumVGPRsForWavesPerEU: 64
; NamedBarCnt: 0
; Occupancy: 16
; WaveLimiterHint : 0
; COMPUTE_PGM_RSRC2:SCRATCH_EN: 0
; COMPUTE_PGM_RSRC2:USER_SGPR: 2
; COMPUTE_PGM_RSRC2:TRAP_HANDLER: 0
; COMPUTE_PGM_RSRC2:TGID_X_EN: 1
; COMPUTE_PGM_RSRC2:TGID_Y_EN: 1
; COMPUTE_PGM_RSRC2:TGID_Z_EN: 0
; COMPUTE_PGM_RSRC2:TIDIG_COMP_CNT: 1
	.section	.text._ZN2at6native12_GLOBAL__N_135GammaBetaBackwardCUDAKernelTemplateIddLj64ELj1ELj32ELb1ELb0ELb1EEEvllPKT_S5_PKT0_S8_PS3_S9_,"axG",@progbits,_ZN2at6native12_GLOBAL__N_135GammaBetaBackwardCUDAKernelTemplateIddLj64ELj1ELj32ELb1ELb0ELb1EEEvllPKT_S5_PKT0_S8_PS3_S9_,comdat
	.globl	_ZN2at6native12_GLOBAL__N_135GammaBetaBackwardCUDAKernelTemplateIddLj64ELj1ELj32ELb1ELb0ELb1EEEvllPKT_S5_PKT0_S8_PS3_S9_ ; -- Begin function _ZN2at6native12_GLOBAL__N_135GammaBetaBackwardCUDAKernelTemplateIddLj64ELj1ELj32ELb1ELb0ELb1EEEvllPKT_S5_PKT0_S8_PS3_S9_
	.p2align	8
	.type	_ZN2at6native12_GLOBAL__N_135GammaBetaBackwardCUDAKernelTemplateIddLj64ELj1ELj32ELb1ELb0ELb1EEEvllPKT_S5_PKT0_S8_PS3_S9_,@function
_ZN2at6native12_GLOBAL__N_135GammaBetaBackwardCUDAKernelTemplateIddLj64ELj1ELj32ELb1ELb0ELb1EEEvllPKT_S5_PKT0_S8_PS3_S9_: ; @_ZN2at6native12_GLOBAL__N_135GammaBetaBackwardCUDAKernelTemplateIddLj64ELj1ELj32ELb1ELb0ELb1EEEvllPKT_S5_PKT0_S8_PS3_S9_
; %bb.0:
	s_load_b256 s[4:11], s[0:1], 0x0
	s_bfe_u32 s3, ttmp6, 0x4000c
	s_bfe_u32 s12, ttmp6, 0x40010
	s_add_co_i32 s3, s3, 1
	s_add_co_i32 s12, s12, 1
	s_and_b32 s2, ttmp6, 15
	s_bfe_u32 s13, ttmp6, 0x40004
	s_mul_i32 s3, ttmp9, s3
	s_mul_i32 s12, ttmp7, s12
	s_getreg_b32 s14, hwreg(HW_REG_IB_STS2, 6, 4)
	s_add_co_i32 s2, s2, s3
	s_add_co_i32 s13, s13, s12
	s_cmp_eq_u32 s14, 0
	s_mov_b32 s17, 0
	s_cselect_b32 s12, ttmp9, s2
	s_cselect_b32 s30, ttmp7, s13
	s_lshl_b32 s13, s12, 6
	s_load_b64 s[14:15], s[0:1], 0x28
	s_or_b32 s16, s13, 63
	s_wait_kmcnt 0x0
	v_cmp_le_i64_e64 s2, s[6:7], s[16:17]
	s_lshl_b32 s16, s30, 5
	s_delay_alu instid0(SALU_CYCLE_1) | instskip(SKIP_2) | instid1(VALU_DEP_1)
	v_cmp_gt_i64_e64 s31, s[4:5], s[16:17]
	s_and_b32 vcc_lo, exec_lo, s2
	v_cndmask_b32_e64 v1, 0, 1, s31
	v_cmp_ne_u32_e64 s2, 1, v1
	s_cbranch_vccz .LBB120_141
; %bb.1:
	s_set_vgpr_msb 64                       ;  msbs: dst=1 src0=0 src1=0 src2=0
	v_mov_b64_e32 v[6:7] /*v[262:263]*/, 0
	s_and_b32 vcc_lo, exec_lo, s2
	s_set_vgpr_msb 0                        ;  msbs: dst=0 src0=0 src1=0 src2=0
	s_cbranch_vccnz .LBB120_142
; %bb.2:
	v_bfe_u32 v1, v0, 10, 10
	v_mov_b32_e32 v3, 0
	s_set_vgpr_msb 64                       ;  msbs: dst=1 src0=0 src1=0 src2=0
	v_and_b32_e32 v14 /*v270*/, 0x3ff, v0
	s_load_b32 s3, s[0:1], 0x44
	s_mov_b32 s19, 0
	s_set_vgpr_msb 0                        ;  msbs: dst=0 src0=0 src1=0 src2=0
	v_dual_mov_b32 v5, v3 :: v_dual_lshlrev_b32 v4, 5, v1
	s_set_vgpr_msb 4                        ;  msbs: dst=0 src0=0 src1=1 src2=0
	v_add_nc_u32_e32 v2, s13, v14 /*v270*/
	v_mov_b64_e32 v[136:137], 0
	s_mov_b32 s21, s19
	s_add_nc_u64 s[22:23], s[0:1], 64
	s_set_vgpr_msb 0                        ;  msbs: dst=0 src0=0 src1=0 src2=0
	v_add_nc_u64_e32 v[74:75], s[16:17], v[4:5]
	v_cmp_gt_i64_e64 s2, s[6:7], v[2:3]
	s_mov_b64 s[26:27], 31
	s_mov_b64 s[28:29], s[16:17]
	v_add_nc_u64_e32 v[8:9], 30, v[74:75]
	v_add_nc_u64_e32 v[10:11], 29, v[74:75]
	;; [unrolled: 1-line block ×7, first 2 shown]
	v_mul_u64_e32 v[22:23], s[6:7], v[8:9]
	v_mul_u64_e32 v[24:25], s[6:7], v[10:11]
	v_add_nc_u64_e32 v[8:9], 24, v[74:75]
	v_add_nc_u64_e32 v[10:11], 23, v[74:75]
	v_mul_u64_e32 v[18:19], s[6:7], v[18:19]
	v_mul_u64_e32 v[42:43], s[6:7], v[26:27]
	;; [unrolled: 1-line block ×4, first 2 shown]
	v_add_nc_u64_e32 v[40:41], 17, v[74:75]
	v_mul_u64_e32 v[36:37], s[6:7], v[8:9]
	v_mul_u64_e32 v[38:39], s[6:7], v[10:11]
	v_add_nc_u64_e32 v[8:9], 18, v[74:75]
	v_mul_u64_e32 v[56:57], s[6:7], v[32:33]
	v_add_nc_u64_e32 v[54:55], 16, v[74:75]
	v_add_nc_u64_e32 v[84:85], 10, v[74:75]
	v_mul_u64_e32 v[66:67], s[6:7], v[40:41]
	v_add_nc_u64_e32 v[64:65], 15, v[74:75]
	;; [unrolled: 3-line block ×3, first 2 shown]
	v_mul_u64_e32 v[68:69], s[6:7], v[54:55]
	v_mul_u64_e32 v[92:93], s[6:7], v[84:85]
	v_add_nc_u64_e32 v[84:85], 7, v[74:75]
	v_mul_u64_e32 v[76:77], s[6:7], v[64:65]
	v_add_nc_u64_e32 v[64:65], 13, v[74:75]
	v_mul_u64_e32 v[78:79], s[6:7], v[72:73]
	v_mul_u64_e32 v[88:89], s[6:7], v[80:81]
	;; [unrolled: 1-line block ×3, first 2 shown]
	v_add_nc_u64_e32 v[6:7], 31, v[74:75]
	v_mul_u64_e32 v[100:101], s[6:7], v[84:85]
	v_add_nc_u64_e32 v[84:85], 5, v[74:75]
	v_add_nc_u64_e32 v[12:13], 28, v[74:75]
	;; [unrolled: 1-line block ×4, first 2 shown]
	v_mul_u64_e32 v[82:83], s[6:7], v[64:65]
	v_add_nc_u64_e32 v[90:91], 8, v[74:75]
	v_lshlrev_b64_e32 v[44:45], 3, v[18:19]
	v_lshlrev_b64_e32 v[58:59], 3, v[42:43]
	v_lshlrev_b64_e32 v[62:63], 3, v[46:47]
	v_lshlrev_b64_e32 v[70:71], 3, v[50:51]
	v_add_nc_u64_e32 v[104:105], 3, v[74:75]
	v_lshlrev_b64_e32 v[48:49], 3, v[36:37]
	v_lshlrev_b64_e32 v[52:53], 3, v[38:39]
	v_add_nc_u64_e32 v[36:37], s[8:9], v[44:45]
	v_add_nc_u64_e32 v[38:39], s[10:11], v[44:45]
	;; [unrolled: 1-line block ×4, first 2 shown]
	v_lshlrev_b64_e32 v[80:81], 3, v[66:67]
	v_add_nc_u64_e32 v[40:41], s[8:9], v[48:49]
	v_add_nc_u64_e32 v[42:43], s[10:11], v[48:49]
	;; [unrolled: 1-line block ×6, first 2 shown]
	v_lshlrev_b64_e32 v[62:63], 3, v[56:57]
	v_add_nc_u64_e32 v[56:57], s[8:9], v[70:71]
	v_add_nc_u64_e32 v[58:59], s[10:11], v[70:71]
	;; [unrolled: 1-line block ×3, first 2 shown]
	v_lshlrev_b64_e32 v[72:73], 3, v[60:61]
	v_lshlrev_b64_e32 v[96:97], 3, v[68:69]
	v_add_nc_u64_e32 v[68:69], s[8:9], v[80:81]
	v_mul_u64_e32 v[110:111], s[6:7], v[84:85]
	v_add_nc_u64_e32 v[84:85], 2, v[74:75]
	v_mul_u64_e32 v[20:21], s[6:7], v[6:7]
	v_mul_u64_e32 v[86:87], s[6:7], v[70:71]
	v_add_nc_u64_e32 v[70:71], 9, v[74:75]
	v_add_nc_u64_e32 v[64:65], s[8:9], v[72:73]
	;; [unrolled: 1-line block ×4, first 2 shown]
	v_mul_u64_e32 v[12:13], s[6:7], v[12:13]
	v_mul_u64_e32 v[14:15], s[6:7], v[14:15]
	;; [unrolled: 1-line block ×4, first 2 shown]
	v_add_nc_u64_e32 v[70:71], s[10:11], v[80:81]
	v_add_nc_u64_e32 v[80:81], 4, v[74:75]
	v_mul_u64_e32 v[98:99], s[6:7], v[90:91]
	v_mul_u64_e32 v[102:103], s[6:7], v[72:73]
	;; [unrolled: 1-line block ×4, first 2 shown]
	v_add_nc_u64_e32 v[72:73], s[8:9], v[96:97]
	v_lshlrev_b64_e32 v[90:91], 3, v[76:77]
	v_mul_u64_e32 v[116:117], s[6:7], v[80:81]
	v_add_nc_u64_e32 v[74:75], s[10:11], v[96:97]
	v_lshlrev_b64_e32 v[96:97], 3, v[78:79]
	v_lshlrev_b64_e32 v[104:105], 3, v[82:83]
	v_add_nc_u64_e32 v[126:127], s[6:7], v[114:115]
	v_lshlrev_b64_e32 v[10:11], 3, v[114:115]
	v_lshlrev_b64_e32 v[22:23], 3, v[22:23]
	;; [unrolled: 1-line block ×3, first 2 shown]
	v_add_nc_u64_e32 v[76:77], s[8:9], v[90:91]
	v_add_nc_u64_e32 v[78:79], s[10:11], v[90:91]
	v_add_nc_u64_e32 v[80:81], s[8:9], v[96:97]
	v_add_nc_u64_e32 v[82:83], s[10:11], v[96:97]
	v_lshlrev_b64_e32 v[96:97], 3, v[88:89]
	v_add_nc_u64_e32 v[84:85], s[8:9], v[104:105]
	v_lshlrev_b64_e32 v[20:21], 3, v[20:21]
	v_lshlrev_b64_e32 v[90:91], 3, v[86:87]
	v_add_nc_u64_e32 v[86:87], s[10:11], v[104:105]
	v_lshlrev_b64_e32 v[104:105], 3, v[92:93]
	v_lshlrev_b64_e32 v[112:113], 3, v[100:101]
	;; [unrolled: 1-line block ×13, first 2 shown]
	v_add_nc_u64_e32 v[8:9], s[8:9], v[10:11]
	v_add_nc_u64_e32 v[10:11], s[10:11], v[10:11]
	v_lshlrev_b64_e32 v[128:129], 3, v[116:117]
	v_add_nc_u64_e32 v[12:13], s[8:9], v[20:21]
	v_add_nc_u64_e32 v[14:15], s[10:11], v[20:21]
	v_add_nc_u64_e32 v[16:17], s[8:9], v[22:23]
	v_add_nc_u64_e32 v[18:19], s[10:11], v[22:23]
	v_add_nc_u64_e32 v[20:21], s[8:9], v[24:25]
	v_add_nc_u64_e32 v[22:23], s[10:11], v[24:25]
	v_add_nc_u64_e32 v[24:25], s[8:9], v[26:27]
	v_add_nc_u64_e32 v[26:27], s[10:11], v[26:27]
	v_add_nc_u64_e32 v[28:29], s[8:9], v[30:31]
	v_add_nc_u64_e32 v[30:31], s[10:11], v[30:31]
	v_add_nc_u64_e32 v[32:33], s[8:9], v[34:35]
	v_add_nc_u64_e32 v[34:35], s[10:11], v[34:35]
	v_add_nc_u64_e32 v[60:61], s[8:9], v[62:63]
	v_add_nc_u64_e32 v[62:63], s[10:11], v[62:63]
	v_add_nc_u64_e32 v[88:89], s[8:9], v[90:91]
	v_add_nc_u64_e32 v[90:91], s[10:11], v[90:91]
	v_add_nc_u64_e32 v[92:93], s[8:9], v[96:97]
	v_add_nc_u64_e32 v[94:95], s[10:11], v[96:97]
	v_add_nc_u64_e32 v[96:97], s[8:9], v[104:105]
	v_add_nc_u64_e32 v[98:99], s[10:11], v[104:105]
	v_add_nc_u64_e32 v[100:101], s[8:9], v[106:107]
	v_add_nc_u64_e32 v[102:103], s[10:11], v[106:107]
	v_add_nc_u64_e32 v[104:105], s[8:9], v[108:109]
	v_add_nc_u64_e32 v[106:107], s[10:11], v[108:109]
	v_add_nc_u64_e32 v[108:109], s[8:9], v[112:113]
	v_add_nc_u64_e32 v[110:111], s[10:11], v[112:113]
	v_add_nc_u64_e32 v[112:113], s[8:9], v[122:123]
	v_add_nc_u64_e32 v[114:115], s[10:11], v[122:123]
	v_add_nc_u64_e32 v[116:117], s[8:9], v[124:125]
	v_add_nc_u64_e32 v[118:119], s[10:11], v[124:125]
	v_add_nc_u64_e32 v[120:121], s[8:9], v[128:129]
	v_add_nc_u64_e32 v[122:123], s[10:11], v[128:129]
	v_add_nc_u64_e32 v[124:125], s[8:9], v[130:131]
	v_add_nc_u64_e32 v[126:127], s[10:11], v[130:131]
	v_add_nc_u64_e32 v[128:129], s[8:9], v[132:133]
	v_add_nc_u64_e32 v[130:131], s[10:11], v[132:133]
	v_add_nc_u64_e32 v[132:133], s[8:9], v[134:135]
	v_add_nc_u64_e32 v[134:135], s[10:11], v[134:135]
	s_wait_kmcnt 0x0
	s_lshl_b32 s20, s3, 5
	s_delay_alu instid0(SALU_CYCLE_1) | instskip(NEXT) | instid1(SALU_CYCLE_1)
	s_mul_u64 s[24:25], s[6:7], s[20:21]
	s_lshl_b64 s[24:25], s[24:25], 3
.LBB120_3:                              ; =>This Inner Loop Header: Depth=1
	s_add_nc_u64 s[34:35], s[16:17], s[26:27]
	v_add_nc_u64_e32 v[138:139], s[16:17], v[4:5]
	v_cmp_ge_i64_e64 s3, s[34:35], s[4:5]
                                        ; implicit-def: $vgpr262_vgpr263
                                        ; implicit-def: $vgpr176_vgpr177
                                        ; implicit-def: $vgpr140
	s_and_b32 vcc_lo, exec_lo, s3
	s_mov_b32 s3, -1
	s_cbranch_vccz .LBB120_71
; %bb.4:                                ;   in Loop: Header=BB120_3 Depth=1
	s_load_b32 s3, s[22:23], 0xc
	v_mov_b64_e32 v[142:143], 0
	v_mov_b64_e32 v[140:141], 0
	s_wait_kmcnt 0x0
	s_and_b32 s3, s3, 0xffff
	s_set_vgpr_msb 16                       ;  msbs: dst=0 src0=0 src1=0 src2=1
	v_mad_u32_u24 v2, v1, s3, v14 /*v270*/
	s_mov_b32 s3, exec_lo
	s_delay_alu instid0(VALU_DEP_1) | instskip(NEXT) | instid1(VALU_DEP_1)
	v_and_b32_e32 v2, 31, v2
	v_add_nc_u64_e32 v[144:145], v[138:139], v[2:3]
	s_delay_alu instid0(VALU_DEP_1)
	v_cmpx_gt_i64_e64 s[4:5], v[144:145]
	s_set_vgpr_msb 0                        ;  msbs: dst=0 src0=0 src1=0 src2=0
	s_cbranch_execz .LBB120_6
; %bb.5:                                ;   in Loop: Header=BB120_3 Depth=1
	v_lshl_add_u64 v[140:141], v[144:145], 3, s[14:15]
	global_load_b64 v[140:141], v[140:141], off
.LBB120_6:                              ;   in Loop: Header=BB120_3 Depth=1
	s_wait_xcnt 0x0
	s_or_b32 exec_lo, exec_lo, s3
	v_cmp_gt_i64_e32 vcc_lo, s[4:5], v[138:139]
	v_mov_b64_e32 v[144:145], 0
	s_and_b32 s18, s2, vcc_lo
	s_delay_alu instid0(SALU_CYCLE_1)
	s_and_saveexec_b32 s3, s18
	s_cbranch_execz .LBB120_8
; %bb.7:                                ;   in Loop: Header=BB120_3 Depth=1
	v_add_nc_u64_e32 v[146:147], v[8:9], v[6:7]
	v_add_nc_u64_e32 v[148:149], v[10:11], v[6:7]
	global_load_b64 v[142:143], v[146:147], off
	global_load_b64 v[144:145], v[148:149], off
.LBB120_8:                              ;   in Loop: Header=BB120_3 Depth=1
	s_wait_xcnt 0x0
	s_or_b32 exec_lo, exec_lo, s3
	v_add_nc_u64_e32 v[146:147], 1, v[138:139]
	v_mov_b64_e32 v[148:149], 0
	v_mov_b64_e32 v[150:151], 0
	s_delay_alu instid0(VALU_DEP_3) | instskip(SKIP_2) | instid1(SALU_CYCLE_1)
	v_cmp_gt_i64_e32 vcc_lo, s[4:5], v[146:147]
	v_mov_b64_e32 v[146:147], 0
	s_and_b32 s18, s2, vcc_lo
	s_and_saveexec_b32 s3, s18
	s_cbranch_execz .LBB120_10
; %bb.9:                                ;   in Loop: Header=BB120_3 Depth=1
	v_add_nc_u64_e32 v[152:153], v[132:133], v[6:7]
	v_add_nc_u64_e32 v[154:155], v[134:135], v[6:7]
	global_load_b64 v[148:149], v[152:153], off
	global_load_b64 v[150:151], v[154:155], off
.LBB120_10:                             ;   in Loop: Header=BB120_3 Depth=1
	s_wait_xcnt 0x0
	s_or_b32 exec_lo, exec_lo, s3
	v_add_nc_u64_e32 v[152:153], 2, v[138:139]
	s_delay_alu instid0(VALU_DEP_1) | instskip(SKIP_2) | instid1(SALU_CYCLE_1)
	v_cmp_gt_i64_e32 vcc_lo, s[4:5], v[152:153]
	v_mov_b64_e32 v[152:153], 0
	s_and_b32 s18, s2, vcc_lo
	s_and_saveexec_b32 s3, s18
	s_cbranch_execz .LBB120_12
; %bb.11:                               ;   in Loop: Header=BB120_3 Depth=1
	v_add_nc_u64_e32 v[154:155], v[128:129], v[6:7]
	v_add_nc_u64_e32 v[156:157], v[130:131], v[6:7]
	global_load_b64 v[146:147], v[154:155], off
	global_load_b64 v[152:153], v[156:157], off
.LBB120_12:                             ;   in Loop: Header=BB120_3 Depth=1
	s_wait_xcnt 0x0
	s_or_b32 exec_lo, exec_lo, s3
	v_add_nc_u64_e32 v[154:155], 3, v[138:139]
	v_mov_b64_e32 v[156:157], 0
	v_mov_b64_e32 v[158:159], 0
	s_delay_alu instid0(VALU_DEP_3) | instskip(SKIP_2) | instid1(SALU_CYCLE_1)
	v_cmp_gt_i64_e32 vcc_lo, s[4:5], v[154:155]
	v_mov_b64_e32 v[154:155], 0
	s_and_b32 s18, s2, vcc_lo
	s_and_saveexec_b32 s3, s18
	s_cbranch_execz .LBB120_14
; %bb.13:                               ;   in Loop: Header=BB120_3 Depth=1
	v_add_nc_u64_e32 v[160:161], v[124:125], v[6:7]
	v_add_nc_u64_e32 v[162:163], v[126:127], v[6:7]
	global_load_b64 v[156:157], v[160:161], off
	global_load_b64 v[158:159], v[162:163], off
.LBB120_14:                             ;   in Loop: Header=BB120_3 Depth=1
	s_wait_xcnt 0x0
	s_or_b32 exec_lo, exec_lo, s3
	v_add_nc_u64_e32 v[160:161], 4, v[138:139]
	s_delay_alu instid0(VALU_DEP_1) | instskip(SKIP_2) | instid1(SALU_CYCLE_1)
	v_cmp_gt_i64_e32 vcc_lo, s[4:5], v[160:161]
	v_mov_b64_e32 v[160:161], 0
	s_and_b32 s18, s2, vcc_lo
	s_and_saveexec_b32 s3, s18
	s_cbranch_execz .LBB120_16
; %bb.15:                               ;   in Loop: Header=BB120_3 Depth=1
	v_add_nc_u64_e32 v[162:163], v[120:121], v[6:7]
	v_add_nc_u64_e32 v[164:165], v[122:123], v[6:7]
	global_load_b64 v[154:155], v[162:163], off
	global_load_b64 v[160:161], v[164:165], off
.LBB120_16:                             ;   in Loop: Header=BB120_3 Depth=1
	s_wait_xcnt 0x0
	s_or_b32 exec_lo, exec_lo, s3
	v_add_nc_u64_e32 v[162:163], 5, v[138:139]
	v_mov_b64_e32 v[164:165], 0
	v_mov_b64_e32 v[166:167], 0
	s_delay_alu instid0(VALU_DEP_3) | instskip(SKIP_2) | instid1(SALU_CYCLE_1)
	v_cmp_gt_i64_e32 vcc_lo, s[4:5], v[162:163]
	v_mov_b64_e32 v[162:163], 0
	s_and_b32 s18, s2, vcc_lo
	s_and_saveexec_b32 s3, s18
	s_cbranch_execz .LBB120_18
; %bb.17:                               ;   in Loop: Header=BB120_3 Depth=1
	v_add_nc_u64_e32 v[168:169], v[116:117], v[6:7]
	v_add_nc_u64_e32 v[170:171], v[118:119], v[6:7]
	global_load_b64 v[164:165], v[168:169], off
	global_load_b64 v[166:167], v[170:171], off
.LBB120_18:                             ;   in Loop: Header=BB120_3 Depth=1
	s_wait_xcnt 0x0
	s_or_b32 exec_lo, exec_lo, s3
	v_add_nc_u64_e32 v[168:169], 6, v[138:139]
	s_delay_alu instid0(VALU_DEP_1) | instskip(SKIP_2) | instid1(SALU_CYCLE_1)
	v_cmp_gt_i64_e32 vcc_lo, s[4:5], v[168:169]
	v_mov_b64_e32 v[168:169], 0
	s_and_b32 s18, s2, vcc_lo
	s_and_saveexec_b32 s3, s18
	s_cbranch_execz .LBB120_20
; %bb.19:                               ;   in Loop: Header=BB120_3 Depth=1
	v_add_nc_u64_e32 v[170:171], v[112:113], v[6:7]
	v_add_nc_u64_e32 v[172:173], v[114:115], v[6:7]
	global_load_b64 v[162:163], v[170:171], off
	global_load_b64 v[168:169], v[172:173], off
.LBB120_20:                             ;   in Loop: Header=BB120_3 Depth=1
	s_wait_xcnt 0x0
	s_or_b32 exec_lo, exec_lo, s3
	v_add_nc_u64_e32 v[170:171], 7, v[138:139]
	v_mov_b64_e32 v[172:173], 0
	v_mov_b64_e32 v[174:175], 0
	s_delay_alu instid0(VALU_DEP_3) | instskip(SKIP_2) | instid1(SALU_CYCLE_1)
	v_cmp_gt_i64_e32 vcc_lo, s[4:5], v[170:171]
	v_mov_b64_e32 v[170:171], 0
	s_and_b32 s18, s2, vcc_lo
	s_and_saveexec_b32 s3, s18
	s_cbranch_execz .LBB120_22
; %bb.21:                               ;   in Loop: Header=BB120_3 Depth=1
	v_add_nc_u64_e32 v[176:177], v[108:109], v[6:7]
	v_add_nc_u64_e32 v[178:179], v[110:111], v[6:7]
	global_load_b64 v[172:173], v[176:177], off
	global_load_b64 v[174:175], v[178:179], off
.LBB120_22:                             ;   in Loop: Header=BB120_3 Depth=1
	s_wait_xcnt 0x0
	s_or_b32 exec_lo, exec_lo, s3
	v_add_nc_u64_e32 v[176:177], 8, v[138:139]
	v_mov_b64_e32 v[178:179], 0
	s_delay_alu instid0(VALU_DEP_2) | instskip(SKIP_1) | instid1(SALU_CYCLE_1)
	v_cmp_gt_i64_e32 vcc_lo, s[4:5], v[176:177]
	s_and_b32 s18, s2, vcc_lo
	s_and_saveexec_b32 s3, s18
	s_cbranch_execz .LBB120_24
; %bb.23:                               ;   in Loop: Header=BB120_3 Depth=1
	v_add_nc_u64_e32 v[176:177], v[104:105], v[6:7]
	v_add_nc_u64_e32 v[180:181], v[106:107], v[6:7]
	global_load_b64 v[170:171], v[176:177], off
	global_load_b64 v[178:179], v[180:181], off
.LBB120_24:                             ;   in Loop: Header=BB120_3 Depth=1
	s_wait_xcnt 0x0
	s_or_b32 exec_lo, exec_lo, s3
	v_add_nc_u64_e32 v[176:177], 9, v[138:139]
	v_mov_b64_e32 v[180:181], 0
	v_mov_b64_e32 v[182:183], 0
	v_mov_b64_e32 v[184:185], 0
	s_delay_alu instid0(VALU_DEP_4) | instskip(SKIP_1) | instid1(SALU_CYCLE_1)
	v_cmp_gt_i64_e32 vcc_lo, s[4:5], v[176:177]
	s_and_b32 s18, s2, vcc_lo
	s_and_saveexec_b32 s3, s18
	s_cbranch_execz .LBB120_26
; %bb.25:                               ;   in Loop: Header=BB120_3 Depth=1
	v_add_nc_u64_e32 v[176:177], v[100:101], v[6:7]
	v_add_nc_u64_e32 v[186:187], v[102:103], v[6:7]
	global_load_b64 v[182:183], v[176:177], off
	global_load_b64 v[184:185], v[186:187], off
.LBB120_26:                             ;   in Loop: Header=BB120_3 Depth=1
	s_wait_xcnt 0x0
	s_or_b32 exec_lo, exec_lo, s3
	v_add_nc_u64_e32 v[176:177], 10, v[138:139]
	v_mov_b64_e32 v[186:187], 0
	s_delay_alu instid0(VALU_DEP_2) | instskip(SKIP_1) | instid1(SALU_CYCLE_1)
	v_cmp_gt_i64_e32 vcc_lo, s[4:5], v[176:177]
	s_and_b32 s18, s2, vcc_lo
	s_and_saveexec_b32 s3, s18
	s_cbranch_execz .LBB120_28
; %bb.27:                               ;   in Loop: Header=BB120_3 Depth=1
	v_add_nc_u64_e32 v[176:177], v[96:97], v[6:7]
	v_add_nc_u64_e32 v[188:189], v[98:99], v[6:7]
	global_load_b64 v[180:181], v[176:177], off
	global_load_b64 v[186:187], v[188:189], off
.LBB120_28:                             ;   in Loop: Header=BB120_3 Depth=1
	s_wait_xcnt 0x0
	s_or_b32 exec_lo, exec_lo, s3
	v_add_nc_u64_e32 v[176:177], 11, v[138:139]
	v_mov_b64_e32 v[188:189], 0
	v_mov_b64_e32 v[190:191], 0
	v_mov_b64_e32 v[192:193], 0
	s_delay_alu instid0(VALU_DEP_4) | instskip(SKIP_1) | instid1(SALU_CYCLE_1)
	v_cmp_gt_i64_e32 vcc_lo, s[4:5], v[176:177]
	s_and_b32 s18, s2, vcc_lo
	s_and_saveexec_b32 s3, s18
	s_cbranch_execz .LBB120_30
; %bb.29:                               ;   in Loop: Header=BB120_3 Depth=1
	v_add_nc_u64_e32 v[176:177], v[92:93], v[6:7]
	v_add_nc_u64_e32 v[194:195], v[94:95], v[6:7]
	global_load_b64 v[190:191], v[176:177], off
	global_load_b64 v[192:193], v[194:195], off
.LBB120_30:                             ;   in Loop: Header=BB120_3 Depth=1
	;; [unrolled: 32-line block ×9, first 2 shown]
	s_wait_xcnt 0x0
	s_or_b32 exec_lo, exec_lo, s3
	v_add_nc_u64_e32 v[176:177], 26, v[138:139]
	v_mov_b64_e32 v[250:251], 0
	s_delay_alu instid0(VALU_DEP_2) | instskip(SKIP_1) | instid1(SALU_CYCLE_1)
	v_cmp_gt_i64_e32 vcc_lo, s[4:5], v[176:177]
	s_and_b32 s18, s2, vcc_lo
	s_and_saveexec_b32 s3, s18
	s_cbranch_execz .LBB120_60
; %bb.59:                               ;   in Loop: Header=BB120_3 Depth=1
	v_add_nc_u64_e32 v[176:177], v[32:33], v[6:7]
	v_add_nc_u64_e32 v[252:253], v[34:35], v[6:7]
	global_load_b64 v[244:245], v[176:177], off
	global_load_b64 v[250:251], v[252:253], off
.LBB120_60:                             ;   in Loop: Header=BB120_3 Depth=1
	s_wait_xcnt 0x0
	s_or_b32 exec_lo, exec_lo, s3
	v_add_nc_u64_e32 v[176:177], 27, v[138:139]
	v_mov_b64_e32 v[252:253], 0
	v_mov_b64_e32 v[254:255], 0
	s_set_vgpr_msb 64                       ;  msbs: dst=1 src0=0 src1=0 src2=0
	v_mov_b64_e32 v[0:1] /*v[256:257]*/, 0
	s_delay_alu instid0(VALU_DEP_4) | instskip(SKIP_1) | instid1(SALU_CYCLE_1)
	v_cmp_gt_i64_e32 vcc_lo, s[4:5], v[176:177]
	s_and_b32 s18, s2, vcc_lo
	s_and_saveexec_b32 s3, s18
	s_set_vgpr_msb 0                        ;  msbs: dst=0 src0=0 src1=0 src2=0
	s_cbranch_execz .LBB120_62
; %bb.61:                               ;   in Loop: Header=BB120_3 Depth=1
	v_add_nc_u64_e32 v[176:177], v[28:29], v[6:7]
	s_set_vgpr_msb 64                       ;  msbs: dst=1 src0=0 src1=0 src2=0
	v_add_nc_u64_e32 v[2:3] /*v[258:259]*/, v[30:31], v[6:7]
	s_set_vgpr_msb 0                        ;  msbs: dst=0 src0=0 src1=0 src2=0
	global_load_b64 v[254:255], v[176:177], off
	s_set_vgpr_msb 0x41                     ;  msbs: dst=1 src0=1 src1=0 src2=0
	global_load_b64 v[0:1] /*v[256:257]*/, v[2:3] /*v[258:259]*/, off
.LBB120_62:                             ;   in Loop: Header=BB120_3 Depth=1
	s_wait_xcnt 0x0
	s_or_b32 exec_lo, exec_lo, s3
	s_set_vgpr_msb 0                        ;  msbs: dst=0 src0=0 src1=0 src2=0
	v_add_nc_u64_e32 v[176:177], 28, v[138:139]
	s_set_vgpr_msb 64                       ;  msbs: dst=1 src0=0 src1=0 src2=0
	v_mov_b64_e32 v[2:3] /*v[258:259]*/, 0
	s_delay_alu instid0(VALU_DEP_2) | instskip(SKIP_1) | instid1(SALU_CYCLE_1)
	v_cmp_gt_i64_e32 vcc_lo, s[4:5], v[176:177]
	s_and_b32 s18, s2, vcc_lo
	s_and_saveexec_b32 s3, s18
	s_set_vgpr_msb 0                        ;  msbs: dst=0 src0=0 src1=0 src2=0
	s_cbranch_execz .LBB120_64
; %bb.63:                               ;   in Loop: Header=BB120_3 Depth=1
	v_add_nc_u64_e32 v[176:177], v[24:25], v[6:7]
	s_set_vgpr_msb 64                       ;  msbs: dst=1 src0=0 src1=0 src2=0
	v_add_nc_u64_e32 v[4:5] /*v[260:261]*/, v[26:27], v[6:7]
	s_set_vgpr_msb 0                        ;  msbs: dst=0 src0=0 src1=0 src2=0
	global_load_b64 v[252:253], v[176:177], off
	s_set_vgpr_msb 0x41                     ;  msbs: dst=1 src0=1 src1=0 src2=0
	global_load_b64 v[2:3] /*v[258:259]*/, v[4:5] /*v[260:261]*/, off
.LBB120_64:                             ;   in Loop: Header=BB120_3 Depth=1
	s_wait_xcnt 0x0
	s_or_b32 exec_lo, exec_lo, s3
	s_set_vgpr_msb 0                        ;  msbs: dst=0 src0=0 src1=0 src2=0
	v_add_nc_u64_e32 v[176:177], 29, v[138:139]
	s_set_vgpr_msb 64                       ;  msbs: dst=1 src0=0 src1=0 src2=0
	v_mov_b64_e32 v[4:5] /*v[260:261]*/, 0
	v_mov_b64_e32 v[8:9] /*v[264:265]*/, 0
	;; [unrolled: 1-line block ×3, first 2 shown]
	s_delay_alu instid0(VALU_DEP_4) | instskip(SKIP_1) | instid1(SALU_CYCLE_1)
	v_cmp_gt_i64_e32 vcc_lo, s[4:5], v[176:177]
	s_and_b32 s18, s2, vcc_lo
	s_and_saveexec_b32 s3, s18
	s_set_vgpr_msb 0                        ;  msbs: dst=0 src0=0 src1=0 src2=0
	s_cbranch_execz .LBB120_66
; %bb.65:                               ;   in Loop: Header=BB120_3 Depth=1
	v_add_nc_u64_e32 v[176:177], v[20:21], v[6:7]
	s_set_vgpr_msb 64                       ;  msbs: dst=1 src0=0 src1=0 src2=0
	v_add_nc_u64_e32 v[6:7] /*v[262:263]*/, v[22:23], v[6:7]
	global_load_b64 v[8:9] /*v[264:265]*/, v[176:177], off
	s_set_vgpr_msb 0x41                     ;  msbs: dst=1 src0=1 src1=0 src2=0
	global_load_b64 v[10:11] /*v[266:267]*/, v[6:7] /*v[262:263]*/, off
.LBB120_66:                             ;   in Loop: Header=BB120_3 Depth=1
	s_wait_xcnt 0x0
	s_or_b32 exec_lo, exec_lo, s3
	s_set_vgpr_msb 0                        ;  msbs: dst=0 src0=0 src1=0 src2=0
	v_add_nc_u64_e32 v[176:177], 30, v[138:139]
	s_set_vgpr_msb 64                       ;  msbs: dst=1 src0=0 src1=0 src2=0
	v_mov_b64_e32 v[12:13] /*v[268:269]*/, 0
	s_delay_alu instid0(VALU_DEP_2) | instskip(SKIP_1) | instid1(SALU_CYCLE_1)
	v_cmp_gt_i64_e32 vcc_lo, s[4:5], v[176:177]
	s_and_b32 s18, s2, vcc_lo
	s_and_saveexec_b32 s3, s18
	s_set_vgpr_msb 0                        ;  msbs: dst=0 src0=0 src1=0 src2=0
	s_cbranch_execz .LBB120_68
; %bb.67:                               ;   in Loop: Header=BB120_3 Depth=1
	v_add_nc_u64_e32 v[176:177], v[16:17], v[6:7]
	s_set_vgpr_msb 64                       ;  msbs: dst=1 src0=0 src1=0 src2=0
	v_add_nc_u64_e32 v[6:7] /*v[262:263]*/, v[18:19], v[6:7]
	global_load_b64 v[4:5] /*v[260:261]*/, v[176:177], off
	s_set_vgpr_msb 0x41                     ;  msbs: dst=1 src0=1 src1=0 src2=0
	global_load_b64 v[12:13] /*v[268:269]*/, v[6:7] /*v[262:263]*/, off
.LBB120_68:                             ;   in Loop: Header=BB120_3 Depth=1
	s_wait_xcnt 0x0
	s_or_b32 exec_lo, exec_lo, s3
	s_set_vgpr_msb 0                        ;  msbs: dst=0 src0=0 src1=0 src2=0
	v_add_nc_u64_e32 v[176:177], 31, v[138:139]
	s_delay_alu instid0(VALU_DEP_1) | instskip(SKIP_2) | instid1(SALU_CYCLE_1)
	v_cmp_gt_i64_e32 vcc_lo, s[4:5], v[176:177]
	v_mov_b64_e32 v[176:177], 0
	s_and_b32 s18, s2, vcc_lo
	s_and_saveexec_b32 s3, s18
	s_cbranch_execz .LBB120_70
; %bb.69:                               ;   in Loop: Header=BB120_3 Depth=1
	v_add_nc_u64_e32 v[176:177], v[12:13], v[6:7]
	s_set_vgpr_msb 64                       ;  msbs: dst=1 src0=0 src1=0 src2=0
	v_add_nc_u64_e32 v[6:7] /*v[262:263]*/, v[14:15], v[6:7]
	global_load_b64 v[16:17] /*v[272:273]*/, v[176:177], off
	s_set_vgpr_msb 0x41                     ;  msbs: dst=1 src0=1 src1=0 src2=0
	global_load_b64 v[18:19] /*v[274:275]*/, v[6:7] /*v[262:263]*/, off
	s_wait_loadcnt 0x0
	s_set_vgpr_msb 5                        ;  msbs: dst=0 src0=1 src1=1 src2=0
	v_mul_f64_e32 v[176:177], v[16:17] /*v[272:273]*/, v[18:19] /*v[274:275]*/
.LBB120_70:                             ;   in Loop: Header=BB120_3 Depth=1
	s_or_b32 exec_lo, exec_lo, s3
	s_wait_loadcnt 0x0
	s_set_vgpr_msb 0                        ;  msbs: dst=0 src0=0 src1=0 src2=0
	v_mul_f64_e32 v[142:143], v[142:143], v[144:145]
	ds_bpermute_b32 v144, v3, v140
	ds_bpermute_b32 v145, v3, v141
	v_mul_f64_e32 v[148:149], v[148:149], v[150:151]
	s_mov_b32 s3, 0
	s_wait_dscnt 0x0
	s_set_vgpr_msb 64                       ;  msbs: dst=1 src0=0 src1=0 src2=0
	v_fma_f64 v[6:7] /*v[262:263]*/, v[142:143], v[144:145], v[136:137]
	s_set_vgpr_msb 0                        ;  msbs: dst=0 src0=0 src1=0 src2=0
	ds_bpermute_b32 v142, v3, v140 offset:4
	ds_bpermute_b32 v143, v3, v141 offset:4
	v_mul_f64_e32 v[144:145], v[146:147], v[152:153]
	v_mul_f64_e32 v[146:147], v[156:157], v[158:159]
	s_wait_dscnt 0x0
	s_set_vgpr_msb 64                       ;  msbs: dst=1 src0=0 src1=0 src2=0
	v_fmac_f64_e32 v[6:7] /*v[262:263]*/, v[148:149], v[142:143]
	s_set_vgpr_msb 0                        ;  msbs: dst=0 src0=0 src1=0 src2=0
	ds_bpermute_b32 v142, v3, v140 offset:8
	ds_bpermute_b32 v143, v3, v141 offset:8
	s_wait_dscnt 0x0
	s_set_vgpr_msb 64                       ;  msbs: dst=1 src0=0 src1=0 src2=0
	v_fmac_f64_e32 v[6:7] /*v[262:263]*/, v[144:145], v[142:143]
	s_set_vgpr_msb 0                        ;  msbs: dst=0 src0=0 src1=0 src2=0
	ds_bpermute_b32 v142, v3, v140 offset:12
	ds_bpermute_b32 v143, v3, v141 offset:12
	v_mul_f64_e32 v[144:145], v[154:155], v[160:161]
	s_wait_dscnt 0x0
	s_set_vgpr_msb 64                       ;  msbs: dst=1 src0=0 src1=0 src2=0
	v_fmac_f64_e32 v[6:7] /*v[262:263]*/, v[146:147], v[142:143]
	s_set_vgpr_msb 0                        ;  msbs: dst=0 src0=0 src1=0 src2=0
	ds_bpermute_b32 v142, v3, v140 offset:16
	ds_bpermute_b32 v143, v3, v141 offset:16
	v_mul_f64_e32 v[146:147], v[164:165], v[166:167]
	;; [unrolled: 7-line block ×23, first 2 shown]
	s_wait_dscnt 0x0
	s_set_vgpr_msb 64                       ;  msbs: dst=1 src0=0 src1=0 src2=0
	v_fmac_f64_e32 v[6:7] /*v[262:263]*/, v[146:147], v[142:143]
	s_set_vgpr_msb 0                        ;  msbs: dst=0 src0=0 src1=0 src2=0
	ds_bpermute_b32 v142, v3, v140 offset:104
	ds_bpermute_b32 v143, v3, v141 offset:104
	s_set_vgpr_msb 4                        ;  msbs: dst=0 src0=0 src1=1 src2=0
	v_mul_f64_e32 v[146:147], v[254:255], v[0:1] /*v[256:257]*/
	s_wait_dscnt 0x0
	s_set_vgpr_msb 64                       ;  msbs: dst=1 src0=0 src1=0 src2=0
	v_fmac_f64_e32 v[6:7] /*v[262:263]*/, v[144:145], v[142:143]
	s_set_vgpr_msb 0                        ;  msbs: dst=0 src0=0 src1=0 src2=0
	ds_bpermute_b32 v142, v3, v140 offset:108
	ds_bpermute_b32 v143, v3, v141 offset:108
	s_set_vgpr_msb 4                        ;  msbs: dst=0 src0=0 src1=1 src2=0
	v_mul_f64_e32 v[144:145], v[252:253], v[2:3] /*v[258:259]*/
	s_wait_dscnt 0x0
	s_set_vgpr_msb 64                       ;  msbs: dst=1 src0=0 src1=0 src2=0
	v_fmac_f64_e32 v[6:7] /*v[262:263]*/, v[146:147], v[142:143]
	s_set_vgpr_msb 0                        ;  msbs: dst=0 src0=0 src1=0 src2=0
	ds_bpermute_b32 v142, v3, v140 offset:112
	ds_bpermute_b32 v143, v3, v141 offset:112
	s_set_vgpr_msb 5                        ;  msbs: dst=0 src0=1 src1=1 src2=0
	v_mul_f64_e32 v[146:147], v[8:9] /*v[264:265]*/, v[10:11] /*v[266:267]*/
	s_wait_dscnt 0x0
	s_set_vgpr_msb 64                       ;  msbs: dst=1 src0=0 src1=0 src2=0
	v_fmac_f64_e32 v[6:7] /*v[262:263]*/, v[144:145], v[142:143]
	s_set_vgpr_msb 0                        ;  msbs: dst=0 src0=0 src1=0 src2=0
	ds_bpermute_b32 v142, v3, v140 offset:116
	ds_bpermute_b32 v143, v3, v141 offset:116
	;; [unrolled: 1-line block ×6, first 2 shown]
	s_wait_dscnt 0x4
	s_set_vgpr_msb 64                       ;  msbs: dst=1 src0=0 src1=0 src2=0
	v_fmac_f64_e32 v[6:7] /*v[262:263]*/, v[146:147], v[142:143]
	s_set_vgpr_msb 5                        ;  msbs: dst=0 src0=1 src1=1 src2=0
	v_mul_f64_e32 v[142:143], v[4:5] /*v[260:261]*/, v[12:13] /*v[268:269]*/
	s_wait_dscnt 0x2
	s_set_vgpr_msb 64                       ;  msbs: dst=1 src0=0 src1=0 src2=0
	s_delay_alu instid0(VALU_DEP_1)
	v_fmac_f64_e32 v[6:7] /*v[262:263]*/, v[142:143], v[144:145]
.LBB120_71:                             ;   in Loop: Header=BB120_3 Depth=1
	s_and_b32 vcc_lo, exec_lo, s3
	s_set_vgpr_msb 0                        ;  msbs: dst=0 src0=0 src1=0 src2=0
	s_cbranch_vccz .LBB120_137
; %bb.72:                               ;   in Loop: Header=BB120_3 Depth=1
	s_load_b32 s3, s[22:23], 0x0
	s_wait_dscnt 0x0
	v_mov_b64_e32 v[140:141], 0
	s_wait_kmcnt 0x0
	s_cmp_lt_u32 s12, s3
	s_cselect_b32 s18, 12, 18
	s_delay_alu instid0(SALU_CYCLE_1)
	s_add_nc_u64 s[34:35], s[22:23], s[18:19]
	s_load_u16 s3, s[34:35], 0x0
	s_wait_kmcnt 0x0
	s_set_vgpr_msb 16                       ;  msbs: dst=0 src0=0 src1=0 src2=1
	v_mad_u32_u24 v2, v1, s3, v14 /*v270*/
	s_mov_b32 s3, exec_lo
	s_delay_alu instid0(VALU_DEP_1) | instskip(NEXT) | instid1(VALU_DEP_1)
	v_and_b32_e32 v2, 31, v2
	v_add_nc_u64_e32 v[142:143], v[138:139], v[2:3]
	v_mov_b64_e32 v[138:139], 0
	s_delay_alu instid0(VALU_DEP_2)
	v_cmpx_gt_i64_e64 s[4:5], v[142:143]
	s_set_vgpr_msb 0                        ;  msbs: dst=0 src0=0 src1=0 src2=0
	s_cbranch_execz .LBB120_74
; %bb.73:                               ;   in Loop: Header=BB120_3 Depth=1
	v_lshl_add_u64 v[138:139], v[142:143], 3, s[14:15]
	global_load_b64 v[138:139], v[138:139], off
.LBB120_74:                             ;   in Loop: Header=BB120_3 Depth=1
	s_wait_xcnt 0x0
	s_or_b32 exec_lo, exec_lo, s3
	v_mov_b64_e32 v[142:143], 0
	s_and_saveexec_b32 s3, s2
	s_cbranch_execz .LBB120_76
; %bb.75:                               ;   in Loop: Header=BB120_3 Depth=1
	v_add_nc_u64_e32 v[144:145], v[8:9], v[6:7]
	v_add_nc_u64_e32 v[146:147], v[10:11], v[6:7]
	global_load_b64 v[140:141], v[144:145], off
	global_load_b64 v[142:143], v[146:147], off
.LBB120_76:                             ;   in Loop: Header=BB120_3 Depth=1
	s_wait_xcnt 0x0
	s_or_b32 exec_lo, exec_lo, s3
	v_mov_b64_e32 v[144:145], 0
	v_mov_b64_e32 v[146:147], 0
	v_mov_b64_e32 v[148:149], 0
	s_and_saveexec_b32 s3, s2
	s_cbranch_execz .LBB120_78
; %bb.77:                               ;   in Loop: Header=BB120_3 Depth=1
	v_add_nc_u64_e32 v[150:151], v[132:133], v[6:7]
	v_add_nc_u64_e32 v[152:153], v[134:135], v[6:7]
	global_load_b64 v[146:147], v[150:151], off
	global_load_b64 v[148:149], v[152:153], off
.LBB120_78:                             ;   in Loop: Header=BB120_3 Depth=1
	s_wait_xcnt 0x0
	s_or_b32 exec_lo, exec_lo, s3
	v_mov_b64_e32 v[152:153], 0
	s_and_saveexec_b32 s3, s2
	s_cbranch_execz .LBB120_80
; %bb.79:                               ;   in Loop: Header=BB120_3 Depth=1
	v_add_nc_u64_e32 v[150:151], v[128:129], v[6:7]
	v_add_nc_u64_e32 v[154:155], v[130:131], v[6:7]
	global_load_b64 v[144:145], v[150:151], off
	global_load_b64 v[152:153], v[154:155], off
.LBB120_80:                             ;   in Loop: Header=BB120_3 Depth=1
	s_wait_xcnt 0x0
	s_or_b32 exec_lo, exec_lo, s3
	v_mov_b64_e32 v[150:151], 0
	v_mov_b64_e32 v[154:155], 0
	v_mov_b64_e32 v[156:157], 0
	s_and_saveexec_b32 s3, s2
	s_cbranch_execz .LBB120_82
; %bb.81:                               ;   in Loop: Header=BB120_3 Depth=1
	v_add_nc_u64_e32 v[158:159], v[124:125], v[6:7]
	v_add_nc_u64_e32 v[160:161], v[126:127], v[6:7]
	global_load_b64 v[154:155], v[158:159], off
	global_load_b64 v[156:157], v[160:161], off
.LBB120_82:                             ;   in Loop: Header=BB120_3 Depth=1
	;; [unrolled: 24-line block ×6, first 2 shown]
	s_wait_xcnt 0x0
	s_or_b32 exec_lo, exec_lo, s3
	v_mov_b64_e32 v[194:195], 0
	s_and_saveexec_b32 s3, s2
	s_cbranch_execz .LBB120_100
; %bb.99:                               ;   in Loop: Header=BB120_3 Depth=1
	v_add_nc_u64_e32 v[176:177], v[88:89], v[6:7]
	v_add_nc_u64_e32 v[192:193], v[90:91], v[6:7]
	global_load_b64 v[184:185], v[176:177], off
	global_load_b64 v[194:195], v[192:193], off
.LBB120_100:                            ;   in Loop: Header=BB120_3 Depth=1
	s_wait_xcnt 0x0
	s_or_b32 exec_lo, exec_lo, s3
	v_mov_b64_e32 v[192:193], 0
	v_mov_b64_e32 v[196:197], 0
	v_mov_b64_e32 v[198:199], 0
	s_and_saveexec_b32 s3, s2
	s_cbranch_execz .LBB120_102
; %bb.101:                              ;   in Loop: Header=BB120_3 Depth=1
	v_add_nc_u64_e32 v[176:177], v[84:85], v[6:7]
	v_add_nc_u64_e32 v[200:201], v[86:87], v[6:7]
	global_load_b64 v[196:197], v[176:177], off
	global_load_b64 v[198:199], v[200:201], off
.LBB120_102:                            ;   in Loop: Header=BB120_3 Depth=1
	s_wait_xcnt 0x0
	s_or_b32 exec_lo, exec_lo, s3
	v_mov_b64_e32 v[202:203], 0
	s_and_saveexec_b32 s3, s2
	s_cbranch_execz .LBB120_104
; %bb.103:                              ;   in Loop: Header=BB120_3 Depth=1
	v_add_nc_u64_e32 v[176:177], v[80:81], v[6:7]
	v_add_nc_u64_e32 v[200:201], v[82:83], v[6:7]
	global_load_b64 v[192:193], v[176:177], off
	global_load_b64 v[202:203], v[200:201], off
.LBB120_104:                            ;   in Loop: Header=BB120_3 Depth=1
	s_wait_xcnt 0x0
	s_or_b32 exec_lo, exec_lo, s3
	v_mov_b64_e32 v[200:201], 0
	v_mov_b64_e32 v[204:205], 0
	v_mov_b64_e32 v[206:207], 0
	s_and_saveexec_b32 s3, s2
	s_cbranch_execz .LBB120_106
; %bb.105:                              ;   in Loop: Header=BB120_3 Depth=1
	v_add_nc_u64_e32 v[176:177], v[76:77], v[6:7]
	v_add_nc_u64_e32 v[208:209], v[78:79], v[6:7]
	global_load_b64 v[204:205], v[176:177], off
	global_load_b64 v[206:207], v[208:209], off
.LBB120_106:                            ;   in Loop: Header=BB120_3 Depth=1
	s_wait_xcnt 0x0
	s_or_b32 exec_lo, exec_lo, s3
	v_mov_b64_e32 v[210:211], 0
	s_and_saveexec_b32 s3, s2
	s_cbranch_execz .LBB120_108
; %bb.107:                              ;   in Loop: Header=BB120_3 Depth=1
	v_add_nc_u64_e32 v[176:177], v[72:73], v[6:7]
	v_add_nc_u64_e32 v[208:209], v[74:75], v[6:7]
	global_load_b64 v[200:201], v[176:177], off
	global_load_b64 v[210:211], v[208:209], off
.LBB120_108:                            ;   in Loop: Header=BB120_3 Depth=1
	s_wait_xcnt 0x0
	s_or_b32 exec_lo, exec_lo, s3
	v_mov_b64_e32 v[208:209], 0
	v_mov_b64_e32 v[212:213], 0
	v_mov_b64_e32 v[214:215], 0
	s_and_saveexec_b32 s3, s2
	s_cbranch_execz .LBB120_110
; %bb.109:                              ;   in Loop: Header=BB120_3 Depth=1
	v_add_nc_u64_e32 v[176:177], v[68:69], v[6:7]
	v_add_nc_u64_e32 v[216:217], v[70:71], v[6:7]
	global_load_b64 v[212:213], v[176:177], off
	global_load_b64 v[214:215], v[216:217], off
.LBB120_110:                            ;   in Loop: Header=BB120_3 Depth=1
	s_wait_xcnt 0x0
	s_or_b32 exec_lo, exec_lo, s3
	v_mov_b64_e32 v[218:219], 0
	s_and_saveexec_b32 s3, s2
	s_cbranch_execz .LBB120_112
; %bb.111:                              ;   in Loop: Header=BB120_3 Depth=1
	v_add_nc_u64_e32 v[176:177], v[64:65], v[6:7]
	v_add_nc_u64_e32 v[216:217], v[66:67], v[6:7]
	global_load_b64 v[208:209], v[176:177], off
	global_load_b64 v[218:219], v[216:217], off
.LBB120_112:                            ;   in Loop: Header=BB120_3 Depth=1
	s_wait_xcnt 0x0
	s_or_b32 exec_lo, exec_lo, s3
	v_mov_b64_e32 v[216:217], 0
	v_mov_b64_e32 v[220:221], 0
	v_mov_b64_e32 v[222:223], 0
	s_and_saveexec_b32 s3, s2
	s_cbranch_execz .LBB120_114
; %bb.113:                              ;   in Loop: Header=BB120_3 Depth=1
	v_add_nc_u64_e32 v[176:177], v[60:61], v[6:7]
	v_add_nc_u64_e32 v[224:225], v[62:63], v[6:7]
	global_load_b64 v[220:221], v[176:177], off
	global_load_b64 v[222:223], v[224:225], off
.LBB120_114:                            ;   in Loop: Header=BB120_3 Depth=1
	s_wait_xcnt 0x0
	s_or_b32 exec_lo, exec_lo, s3
	v_mov_b64_e32 v[226:227], 0
	s_and_saveexec_b32 s3, s2
	s_cbranch_execz .LBB120_116
; %bb.115:                              ;   in Loop: Header=BB120_3 Depth=1
	v_add_nc_u64_e32 v[176:177], v[56:57], v[6:7]
	v_add_nc_u64_e32 v[224:225], v[58:59], v[6:7]
	global_load_b64 v[216:217], v[176:177], off
	global_load_b64 v[226:227], v[224:225], off
.LBB120_116:                            ;   in Loop: Header=BB120_3 Depth=1
	s_wait_xcnt 0x0
	s_or_b32 exec_lo, exec_lo, s3
	v_mov_b64_e32 v[224:225], 0
	v_mov_b64_e32 v[228:229], 0
	v_mov_b64_e32 v[230:231], 0
	s_and_saveexec_b32 s3, s2
	s_cbranch_execz .LBB120_118
; %bb.117:                              ;   in Loop: Header=BB120_3 Depth=1
	v_add_nc_u64_e32 v[176:177], v[52:53], v[6:7]
	v_add_nc_u64_e32 v[232:233], v[54:55], v[6:7]
	global_load_b64 v[228:229], v[176:177], off
	global_load_b64 v[230:231], v[232:233], off
.LBB120_118:                            ;   in Loop: Header=BB120_3 Depth=1
	s_wait_xcnt 0x0
	s_or_b32 exec_lo, exec_lo, s3
	v_mov_b64_e32 v[234:235], 0
	s_and_saveexec_b32 s3, s2
	s_cbranch_execz .LBB120_120
; %bb.119:                              ;   in Loop: Header=BB120_3 Depth=1
	v_add_nc_u64_e32 v[176:177], v[48:49], v[6:7]
	v_add_nc_u64_e32 v[232:233], v[50:51], v[6:7]
	global_load_b64 v[224:225], v[176:177], off
	global_load_b64 v[234:235], v[232:233], off
.LBB120_120:                            ;   in Loop: Header=BB120_3 Depth=1
	s_wait_xcnt 0x0
	s_or_b32 exec_lo, exec_lo, s3
	v_mov_b64_e32 v[232:233], 0
	v_mov_b64_e32 v[236:237], 0
	v_mov_b64_e32 v[238:239], 0
	s_and_saveexec_b32 s3, s2
	s_cbranch_execz .LBB120_122
; %bb.121:                              ;   in Loop: Header=BB120_3 Depth=1
	v_add_nc_u64_e32 v[176:177], v[44:45], v[6:7]
	v_add_nc_u64_e32 v[240:241], v[46:47], v[6:7]
	global_load_b64 v[236:237], v[176:177], off
	global_load_b64 v[238:239], v[240:241], off
.LBB120_122:                            ;   in Loop: Header=BB120_3 Depth=1
	s_wait_xcnt 0x0
	s_or_b32 exec_lo, exec_lo, s3
	v_mov_b64_e32 v[242:243], 0
	s_and_saveexec_b32 s3, s2
	s_cbranch_execz .LBB120_124
; %bb.123:                              ;   in Loop: Header=BB120_3 Depth=1
	v_add_nc_u64_e32 v[176:177], v[40:41], v[6:7]
	v_add_nc_u64_e32 v[240:241], v[42:43], v[6:7]
	global_load_b64 v[232:233], v[176:177], off
	global_load_b64 v[242:243], v[240:241], off
.LBB120_124:                            ;   in Loop: Header=BB120_3 Depth=1
	s_wait_xcnt 0x0
	s_or_b32 exec_lo, exec_lo, s3
	v_mov_b64_e32 v[240:241], 0
	v_mov_b64_e32 v[244:245], 0
	v_mov_b64_e32 v[246:247], 0
	s_and_saveexec_b32 s3, s2
	s_cbranch_execz .LBB120_126
; %bb.125:                              ;   in Loop: Header=BB120_3 Depth=1
	v_add_nc_u64_e32 v[176:177], v[36:37], v[6:7]
	v_add_nc_u64_e32 v[248:249], v[38:39], v[6:7]
	global_load_b64 v[244:245], v[176:177], off
	global_load_b64 v[246:247], v[248:249], off
.LBB120_126:                            ;   in Loop: Header=BB120_3 Depth=1
	s_wait_xcnt 0x0
	s_or_b32 exec_lo, exec_lo, s3
	v_mov_b64_e32 v[250:251], 0
	s_and_saveexec_b32 s3, s2
	s_cbranch_execz .LBB120_128
; %bb.127:                              ;   in Loop: Header=BB120_3 Depth=1
	v_add_nc_u64_e32 v[176:177], v[32:33], v[6:7]
	v_add_nc_u64_e32 v[248:249], v[34:35], v[6:7]
	global_load_b64 v[240:241], v[176:177], off
	global_load_b64 v[250:251], v[248:249], off
.LBB120_128:                            ;   in Loop: Header=BB120_3 Depth=1
	s_wait_xcnt 0x0
	s_or_b32 exec_lo, exec_lo, s3
	v_mov_b64_e32 v[248:249], 0
	v_mov_b64_e32 v[252:253], 0
	;; [unrolled: 1-line block ×3, first 2 shown]
	s_and_saveexec_b32 s3, s2
	s_cbranch_execz .LBB120_130
; %bb.129:                              ;   in Loop: Header=BB120_3 Depth=1
	v_add_nc_u64_e32 v[176:177], v[28:29], v[6:7]
	s_set_vgpr_msb 64                       ;  msbs: dst=1 src0=0 src1=0 src2=0
	v_add_nc_u64_e32 v[0:1] /*v[256:257]*/, v[30:31], v[6:7]
	s_set_vgpr_msb 0                        ;  msbs: dst=0 src0=0 src1=0 src2=0
	global_load_b64 v[252:253], v[176:177], off
	s_set_vgpr_msb 1                        ;  msbs: dst=0 src0=1 src1=0 src2=0
	global_load_b64 v[254:255], v[0:1] /*v[256:257]*/, off
.LBB120_130:                            ;   in Loop: Header=BB120_3 Depth=1
	s_wait_xcnt 0x0
	s_or_b32 exec_lo, exec_lo, s3
	s_set_vgpr_msb 64                       ;  msbs: dst=1 src0=0 src1=0 src2=0
	v_mov_b64_e32 v[2:3] /*v[258:259]*/, 0
	s_and_saveexec_b32 s3, s2
	s_set_vgpr_msb 0                        ;  msbs: dst=0 src0=0 src1=0 src2=0
	s_cbranch_execz .LBB120_132
; %bb.131:                              ;   in Loop: Header=BB120_3 Depth=1
	v_add_nc_u64_e32 v[176:177], v[24:25], v[6:7]
	s_set_vgpr_msb 64                       ;  msbs: dst=1 src0=0 src1=0 src2=0
	v_add_nc_u64_e32 v[0:1] /*v[256:257]*/, v[26:27], v[6:7]
	s_set_vgpr_msb 0                        ;  msbs: dst=0 src0=0 src1=0 src2=0
	global_load_b64 v[248:249], v[176:177], off
	s_set_vgpr_msb 0x41                     ;  msbs: dst=1 src0=1 src1=0 src2=0
	global_load_b64 v[2:3] /*v[258:259]*/, v[0:1] /*v[256:257]*/, off
.LBB120_132:                            ;   in Loop: Header=BB120_3 Depth=1
	s_wait_xcnt 0x0
	s_or_b32 exec_lo, exec_lo, s3
	s_set_vgpr_msb 64                       ;  msbs: dst=1 src0=0 src1=0 src2=0
	v_mov_b64_e32 v[0:1] /*v[256:257]*/, 0
	v_mov_b64_e32 v[4:5] /*v[260:261]*/, 0
	;; [unrolled: 1-line block ×3, first 2 shown]
	s_and_saveexec_b32 s3, s2
	s_set_vgpr_msb 0                        ;  msbs: dst=0 src0=0 src1=0 src2=0
	s_cbranch_execnz .LBB120_139
; %bb.133:                              ;   in Loop: Header=BB120_3 Depth=1
	s_or_b32 exec_lo, exec_lo, s3
	s_set_vgpr_msb 64                       ;  msbs: dst=1 src0=0 src1=0 src2=0
	v_mov_b64_e32 v[8:9] /*v[264:265]*/, 0
	s_and_saveexec_b32 s3, s2
	s_set_vgpr_msb 0                        ;  msbs: dst=0 src0=0 src1=0 src2=0
	s_cbranch_execnz .LBB120_140
.LBB120_134:                            ;   in Loop: Header=BB120_3 Depth=1
	s_or_b32 exec_lo, exec_lo, s3
	v_mov_b64_e32 v[176:177], 0
	s_and_saveexec_b32 s3, s2
	s_cbranch_execz .LBB120_136
.LBB120_135:                            ;   in Loop: Header=BB120_3 Depth=1
	v_add_nc_u64_e32 v[176:177], v[12:13], v[6:7]
	s_set_vgpr_msb 64                       ;  msbs: dst=1 src0=0 src1=0 src2=0
	v_add_nc_u64_e32 v[10:11] /*v[266:267]*/, v[14:15], v[6:7]
	global_load_b64 v[12:13] /*v[268:269]*/, v[176:177], off
	s_set_vgpr_msb 0x41                     ;  msbs: dst=1 src0=1 src1=0 src2=0
	global_load_b64 v[16:17] /*v[272:273]*/, v[10:11] /*v[266:267]*/, off
	s_wait_loadcnt 0x0
	s_set_vgpr_msb 5                        ;  msbs: dst=0 src0=1 src1=1 src2=0
	v_mul_f64_e32 v[176:177], v[12:13] /*v[268:269]*/, v[16:17] /*v[272:273]*/
.LBB120_136:                            ;   in Loop: Header=BB120_3 Depth=1
	s_or_b32 exec_lo, exec_lo, s3
	s_wait_loadcnt 0x0
	s_set_vgpr_msb 0                        ;  msbs: dst=0 src0=0 src1=0 src2=0
	v_mul_f64_e32 v[140:141], v[140:141], v[142:143]
	ds_bpermute_b32 v142, v3, v138
	ds_bpermute_b32 v143, v3, v139
	v_mul_f64_e32 v[146:147], v[146:147], v[148:149]
	s_wait_dscnt 0x0
	v_fmac_f64_e32 v[136:137], v[140:141], v[142:143]
	ds_bpermute_b32 v140, v3, v138 offset:4
	ds_bpermute_b32 v141, v3, v139 offset:4
	v_mul_f64_e32 v[142:143], v[144:145], v[152:153]
	v_mul_f64_e32 v[144:145], v[154:155], v[156:157]
	s_wait_dscnt 0x0
	v_fmac_f64_e32 v[136:137], v[146:147], v[140:141]
	ds_bpermute_b32 v140, v3, v138 offset:8
	ds_bpermute_b32 v141, v3, v139 offset:8
	s_wait_dscnt 0x0
	v_fmac_f64_e32 v[136:137], v[142:143], v[140:141]
	ds_bpermute_b32 v140, v3, v138 offset:12
	ds_bpermute_b32 v141, v3, v139 offset:12
	v_mul_f64_e32 v[142:143], v[150:151], v[160:161]
	s_wait_dscnt 0x0
	v_fmac_f64_e32 v[136:137], v[144:145], v[140:141]
	ds_bpermute_b32 v140, v3, v138 offset:16
	ds_bpermute_b32 v141, v3, v139 offset:16
	v_mul_f64_e32 v[144:145], v[162:163], v[164:165]
	s_wait_dscnt 0x0
	v_fmac_f64_e32 v[136:137], v[142:143], v[140:141]
	ds_bpermute_b32 v140, v3, v138 offset:20
	ds_bpermute_b32 v141, v3, v139 offset:20
	v_mul_f64_e32 v[142:143], v[158:159], v[168:169]
	s_wait_dscnt 0x0
	v_fmac_f64_e32 v[136:137], v[144:145], v[140:141]
	ds_bpermute_b32 v140, v3, v138 offset:24
	ds_bpermute_b32 v141, v3, v139 offset:24
	v_mul_f64_e32 v[144:145], v[170:171], v[172:173]
	s_wait_dscnt 0x0
	v_fmac_f64_e32 v[136:137], v[142:143], v[140:141]
	ds_bpermute_b32 v140, v3, v138 offset:28
	ds_bpermute_b32 v141, v3, v139 offset:28
	v_mul_f64_e32 v[142:143], v[166:167], v[178:179]
	s_wait_dscnt 0x0
	v_fmac_f64_e32 v[136:137], v[144:145], v[140:141]
	ds_bpermute_b32 v140, v3, v138 offset:32
	ds_bpermute_b32 v141, v3, v139 offset:32
	v_mul_f64_e32 v[144:145], v[180:181], v[182:183]
	s_wait_dscnt 0x0
	v_fmac_f64_e32 v[136:137], v[142:143], v[140:141]
	ds_bpermute_b32 v140, v3, v138 offset:36
	ds_bpermute_b32 v141, v3, v139 offset:36
	v_mul_f64_e32 v[142:143], v[174:175], v[186:187]
	s_wait_dscnt 0x0
	v_fmac_f64_e32 v[136:137], v[144:145], v[140:141]
	ds_bpermute_b32 v140, v3, v138 offset:40
	ds_bpermute_b32 v141, v3, v139 offset:40
	v_mul_f64_e32 v[144:145], v[188:189], v[190:191]
	s_wait_dscnt 0x0
	v_fmac_f64_e32 v[136:137], v[142:143], v[140:141]
	ds_bpermute_b32 v140, v3, v138 offset:44
	ds_bpermute_b32 v141, v3, v139 offset:44
	v_mul_f64_e32 v[142:143], v[184:185], v[194:195]
	s_wait_dscnt 0x0
	v_fmac_f64_e32 v[136:137], v[144:145], v[140:141]
	ds_bpermute_b32 v140, v3, v138 offset:48
	ds_bpermute_b32 v141, v3, v139 offset:48
	v_mul_f64_e32 v[144:145], v[196:197], v[198:199]
	s_wait_dscnt 0x0
	v_fmac_f64_e32 v[136:137], v[142:143], v[140:141]
	ds_bpermute_b32 v140, v3, v138 offset:52
	ds_bpermute_b32 v141, v3, v139 offset:52
	v_mul_f64_e32 v[142:143], v[192:193], v[202:203]
	s_wait_dscnt 0x0
	v_fmac_f64_e32 v[136:137], v[144:145], v[140:141]
	ds_bpermute_b32 v140, v3, v138 offset:56
	ds_bpermute_b32 v141, v3, v139 offset:56
	v_mul_f64_e32 v[144:145], v[204:205], v[206:207]
	s_wait_dscnt 0x0
	v_fmac_f64_e32 v[136:137], v[142:143], v[140:141]
	ds_bpermute_b32 v140, v3, v138 offset:60
	ds_bpermute_b32 v141, v3, v139 offset:60
	v_mul_f64_e32 v[142:143], v[200:201], v[210:211]
	s_wait_dscnt 0x0
	v_fmac_f64_e32 v[136:137], v[144:145], v[140:141]
	ds_bpermute_b32 v140, v3, v138 offset:64
	ds_bpermute_b32 v141, v3, v139 offset:64
	v_mul_f64_e32 v[144:145], v[212:213], v[214:215]
	s_wait_dscnt 0x0
	v_fmac_f64_e32 v[136:137], v[142:143], v[140:141]
	ds_bpermute_b32 v140, v3, v138 offset:68
	ds_bpermute_b32 v141, v3, v139 offset:68
	v_mul_f64_e32 v[142:143], v[208:209], v[218:219]
	s_wait_dscnt 0x0
	v_fmac_f64_e32 v[136:137], v[144:145], v[140:141]
	ds_bpermute_b32 v140, v3, v138 offset:72
	ds_bpermute_b32 v141, v3, v139 offset:72
	v_mul_f64_e32 v[144:145], v[220:221], v[222:223]
	s_wait_dscnt 0x0
	v_fmac_f64_e32 v[136:137], v[142:143], v[140:141]
	ds_bpermute_b32 v140, v3, v138 offset:76
	ds_bpermute_b32 v141, v3, v139 offset:76
	v_mul_f64_e32 v[142:143], v[216:217], v[226:227]
	s_wait_dscnt 0x0
	v_fmac_f64_e32 v[136:137], v[144:145], v[140:141]
	ds_bpermute_b32 v140, v3, v138 offset:80
	ds_bpermute_b32 v141, v3, v139 offset:80
	v_mul_f64_e32 v[144:145], v[228:229], v[230:231]
	s_wait_dscnt 0x0
	v_fmac_f64_e32 v[136:137], v[142:143], v[140:141]
	ds_bpermute_b32 v140, v3, v138 offset:84
	ds_bpermute_b32 v141, v3, v139 offset:84
	v_mul_f64_e32 v[142:143], v[224:225], v[234:235]
	s_wait_dscnt 0x0
	v_fmac_f64_e32 v[136:137], v[144:145], v[140:141]
	ds_bpermute_b32 v140, v3, v138 offset:88
	ds_bpermute_b32 v141, v3, v139 offset:88
	v_mul_f64_e32 v[144:145], v[236:237], v[238:239]
	s_wait_dscnt 0x0
	v_fmac_f64_e32 v[136:137], v[142:143], v[140:141]
	ds_bpermute_b32 v140, v3, v138 offset:92
	ds_bpermute_b32 v141, v3, v139 offset:92
	v_mul_f64_e32 v[142:143], v[232:233], v[242:243]
	s_wait_dscnt 0x0
	v_fmac_f64_e32 v[136:137], v[144:145], v[140:141]
	ds_bpermute_b32 v140, v3, v138 offset:96
	ds_bpermute_b32 v141, v3, v139 offset:96
	v_mul_f64_e32 v[144:145], v[244:245], v[246:247]
	s_wait_dscnt 0x0
	v_fmac_f64_e32 v[136:137], v[142:143], v[140:141]
	ds_bpermute_b32 v140, v3, v138 offset:100
	ds_bpermute_b32 v141, v3, v139 offset:100
	v_mul_f64_e32 v[142:143], v[240:241], v[250:251]
	s_wait_dscnt 0x0
	v_fmac_f64_e32 v[136:137], v[144:145], v[140:141]
	ds_bpermute_b32 v140, v3, v138 offset:104
	ds_bpermute_b32 v141, v3, v139 offset:104
	v_mul_f64_e32 v[144:145], v[252:253], v[254:255]
	s_wait_dscnt 0x0
	v_fmac_f64_e32 v[136:137], v[142:143], v[140:141]
	ds_bpermute_b32 v140, v3, v138 offset:108
	ds_bpermute_b32 v141, v3, v139 offset:108
	s_set_vgpr_msb 4                        ;  msbs: dst=0 src0=0 src1=1 src2=0
	v_mul_f64_e32 v[142:143], v[248:249], v[2:3] /*v[258:259]*/
	s_wait_dscnt 0x0
	s_set_vgpr_msb 0                        ;  msbs: dst=0 src0=0 src1=0 src2=0
	v_fmac_f64_e32 v[136:137], v[144:145], v[140:141]
	ds_bpermute_b32 v140, v3, v138 offset:112
	ds_bpermute_b32 v141, v3, v139 offset:112
	s_set_vgpr_msb 5                        ;  msbs: dst=0 src0=1 src1=1 src2=0
	v_mul_f64_e32 v[144:145], v[4:5] /*v[260:261]*/, v[6:7] /*v[262:263]*/
	s_wait_dscnt 0x0
	s_set_vgpr_msb 0                        ;  msbs: dst=0 src0=0 src1=0 src2=0
	v_fmac_f64_e32 v[136:137], v[142:143], v[140:141]
	ds_bpermute_b32 v140, v3, v138 offset:116
	ds_bpermute_b32 v141, v3, v139 offset:116
	;; [unrolled: 1-line block ×4, first 2 shown]
	s_wait_dscnt 0x2
	v_fmac_f64_e32 v[136:137], v[144:145], v[140:141]
	s_set_vgpr_msb 5                        ;  msbs: dst=0 src0=1 src1=1 src2=0
	v_mul_f64_e32 v[140:141], v[0:1] /*v[256:257]*/, v[8:9] /*v[264:265]*/
	s_wait_dscnt 0x0
	s_set_vgpr_msb 0                        ;  msbs: dst=0 src0=0 src1=0 src2=0
	s_delay_alu instid0(VALU_DEP_1)
	v_fmac_f64_e32 v[136:137], v[140:141], v[142:143]
	ds_bpermute_b32 v140, v3, v138 offset:124
	ds_bpermute_b32 v141, v3, v139 offset:124
	s_set_vgpr_msb 64                       ;  msbs: dst=1 src0=0 src1=0 src2=0
	v_mov_b64_e32 v[6:7] /*v[262:263]*/, v[136:137]
.LBB120_137:                            ;   in Loop: Header=BB120_3 Depth=1
	s_wait_dscnt 0x0
	s_set_vgpr_msb 64                       ;  msbs: dst=1 src0=0 src1=0 src2=0
	s_delay_alu instid0(VALU_DEP_1)
	v_fmac_f64_e32 v[6:7] /*v[262:263]*/, v[176:177], v[140:141]
	s_add_nc_u64 s[28:29], s[28:29], s[20:21]
	s_set_vgpr_msb 0                        ;  msbs: dst=0 src0=0 src1=0 src2=0
	v_add_nc_u64_e32 v[8:9], s[24:25], v[8:9]
	v_cmp_lt_i64_e64 s3, s[28:29], s[4:5]
	v_add_nc_u64_e32 v[10:11], s[24:25], v[10:11]
	v_add_nc_u64_e32 v[12:13], s[24:25], v[12:13]
	;; [unrolled: 1-line block ×64, first 2 shown]
	s_and_b32 vcc_lo, exec_lo, s3
	s_add_nc_u64 s[26:27], s[26:27], s[20:21]
	s_cbranch_vccz .LBB120_142
; %bb.138:                              ;   in Loop: Header=BB120_3 Depth=1
	s_set_vgpr_msb 1                        ;  msbs: dst=0 src0=1 src1=0 src2=0
	v_mov_b64_e32 v[136:137], v[6:7] /*v[262:263]*/
	s_set_vgpr_msb 0                        ;  msbs: dst=0 src0=0 src1=0 src2=0
	s_branch .LBB120_3
.LBB120_139:                            ;   in Loop: Header=BB120_3 Depth=1
	v_add_nc_u64_e32 v[176:177], v[20:21], v[6:7]
	s_set_vgpr_msb 64                       ;  msbs: dst=1 src0=0 src1=0 src2=0
	v_add_nc_u64_e32 v[8:9] /*v[264:265]*/, v[22:23], v[6:7]
	global_load_b64 v[4:5] /*v[260:261]*/, v[176:177], off
	s_set_vgpr_msb 0x41                     ;  msbs: dst=1 src0=1 src1=0 src2=0
	global_load_b64 v[6:7] /*v[262:263]*/, v[8:9] /*v[264:265]*/, off
	s_wait_xcnt 0x0
	s_or_b32 exec_lo, exec_lo, s3
	v_mov_b64_e32 v[8:9] /*v[264:265]*/, 0
	s_and_saveexec_b32 s3, s2
	s_set_vgpr_msb 0                        ;  msbs: dst=0 src0=0 src1=0 src2=0
	s_cbranch_execz .LBB120_134
.LBB120_140:                            ;   in Loop: Header=BB120_3 Depth=1
	v_add_nc_u64_e32 v[176:177], v[16:17], v[6:7]
	s_set_vgpr_msb 64                       ;  msbs: dst=1 src0=0 src1=0 src2=0
	v_add_nc_u64_e32 v[10:11] /*v[266:267]*/, v[18:19], v[6:7]
	global_load_b64 v[0:1] /*v[256:257]*/, v[176:177], off
	s_set_vgpr_msb 0x41                     ;  msbs: dst=1 src0=1 src1=0 src2=0
	global_load_b64 v[8:9] /*v[264:265]*/, v[10:11] /*v[266:267]*/, off
	s_wait_xcnt 0x0
	s_or_b32 exec_lo, exec_lo, s3
	s_set_vgpr_msb 0                        ;  msbs: dst=0 src0=0 src1=0 src2=0
	v_mov_b64_e32 v[176:177], 0
	s_and_saveexec_b32 s3, s2
	s_cbranch_execnz .LBB120_135
	s_branch .LBB120_136
.LBB120_141:
                                        ; implicit-def: $vgpr262_vgpr263
	s_load_b64 s[2:3], s[0:1], 0x30
	s_branch .LBB120_143
.LBB120_142:
	s_load_b64 s[2:3], s[0:1], 0x30
	s_cbranch_execnz .LBB120_219
.LBB120_143:
	s_set_vgpr_msb 64                       ;  msbs: dst=1 src0=0 src1=0 src2=0
	v_mov_b64_e32 v[6:7] /*v[262:263]*/, 0
	s_and_not1_b32 vcc_lo, exec_lo, s31
	s_set_vgpr_msb 0                        ;  msbs: dst=0 src0=0 src1=0 src2=0
	s_cbranch_vccnz .LBB120_219
; %bb.144:
	v_and_b32_e32 v1, 0x3ff, v0
	v_mov_b32_e32 v3, 0
	s_set_vgpr_msb 64                       ;  msbs: dst=1 src0=0 src1=0 src2=0
	v_bfe_u32 v136 /*v392*/, v0, 10, 10
	s_mov_b32 s19, 0
	v_mov_b64_e32 v[4:5] /*v[260:261]*/, 0
	s_set_vgpr_msb 0                        ;  msbs: dst=0 src0=0 src1=0 src2=0
	v_add_nc_u32_e32 v2, s13, v1
	s_load_b32 s13, s[0:1], 0x44
	s_mov_b32 s21, s19
	s_mov_b64 s[22:23], 31
	s_mov_b64 s[24:25], s[16:17]
	v_lshlrev_b64_e32 v[4:5], 3, v[2:3]
	s_set_vgpr_msb 4                        ;  msbs: dst=0 src0=0 src1=1 src2=0
	v_lshlrev_b32_e32 v2, 8, v136 /*v392*/
	s_delay_alu instid0(VALU_DEP_1) | instskip(SKIP_1) | instid1(VALU_DEP_1)
	v_lshl_add_u64 v[124:125], s[16:17], 3, v[2:3]
	s_set_vgpr_msb 0                        ;  msbs: dst=0 src0=0 src1=0 src2=0
	v_add_nc_u64_e32 v[22:23], 8, v[124:125]
	v_add_nc_u64_e32 v[26:27], 24, v[124:125]
	;; [unrolled: 1-line block ×7, first 2 shown]
	v_mad_nc_u64_u32 v[6:7], s6, v22, s[8:9]
	v_mul_lo_u32 v2, s6, v23
	v_mul_lo_u32 v30, s7, v22
	v_mad_nc_u64_u32 v[10:11], s6, v26, s[8:9]
	v_mul_lo_u32 v44, s6, v27
	v_mul_lo_u32 v45, s7, v26
	v_mad_nc_u64_u32 v[22:23], s6, v22, s[10:11]
	v_mad_nc_u64_u32 v[26:27], s6, v26, s[10:11]
	v_add_nc_u64_e32 v[32:33], 40, v[124:125]
	v_add_nc_u64_e32 v[34:35], 48, v[124:125]
	v_add_nc_u64_e32 v[38:39], 64, v[124:125]
	v_mad_nc_u64_u32 v[18:19], s6, v36, s[8:9]
	v_mul_lo_u32 v56, s6, v37
	v_mul_lo_u32 v57, s7, v36
	v_add3_u32 v7, v30, v7, v2
	v_mad_nc_u64_u32 v[36:37], s6, v36, s[10:11]
	v_add3_u32 v11, v45, v11, v44
	v_add3_u32 v23, v30, v23, v2
	v_mad_nc_u64_u32 v[30:31], s6, v42, s[8:9]
	v_mul_lo_u32 v2, s6, v43
	v_add3_u32 v27, v45, v27, v44
	v_mul_lo_u32 v60, s7, v42
	v_mad_nc_u64_u32 v[42:43], s6, v42, s[10:11]
	v_mad_nc_u64_u32 v[44:45], s6, v48, s[8:9]
	v_mul_lo_u32 v61, s6, v49
	v_mul_lo_u32 v62, s7, v48
	v_mad_nc_u64_u32 v[48:49], s6, v48, s[10:11]
	v_mad_nc_u64_u32 v[8:9], s6, v24, s[8:9]
	v_mul_lo_u32 v40, s6, v25
	v_mul_lo_u32 v41, s7, v24
	v_mad_nc_u64_u32 v[12:13], s6, v28, s[8:9]
	v_mul_lo_u32 v50, s6, v29
	v_mul_lo_u32 v51, s7, v28
	v_mad_nc_u64_u32 v[24:25], s6, v24, s[10:11]
	v_mad_nc_u64_u32 v[28:29], s6, v28, s[10:11]
	v_add_nc_u64_e32 v[64:65], 0x78, v[124:125]
	v_mad_nc_u64_u32 v[14:15], s6, v32, s[8:9]
	v_mul_lo_u32 v52, s6, v33
	v_mul_lo_u32 v53, s7, v32
	v_mad_nc_u64_u32 v[16:17], s6, v34, s[8:9]
	v_mul_lo_u32 v54, s6, v35
	v_mul_lo_u32 v55, s7, v34
	;; [unrolled: 3-line block ×3, first 2 shown]
	v_mad_nc_u64_u32 v[32:33], s6, v32, s[10:11]
	v_mad_nc_u64_u32 v[34:35], s6, v34, s[10:11]
	v_add_nc_u64_e32 v[46:47], 0x50, v[124:125]
	v_mad_nc_u64_u32 v[38:39], s6, v38, s[10:11]
	v_add3_u32 v19, v57, v19, v56
	v_add3_u32 v37, v57, v37, v56
	;; [unrolled: 1-line block ×5, first 2 shown]
	v_add_nc_u64_e32 v[56:57], 0x68, v[124:125]
	v_add3_u32 v49, v62, v49, v61
	v_add_nc_u64_e32 v[60:61], 0x70, v[124:125]
	v_mul_lo_u32 v76, s6, v65
	v_mul_lo_u32 v77, s7, v64
	v_mad_nc_u64_u32 v[62:63], s6, v64, s[8:9]
	v_mad_nc_u64_u32 v[64:65], s6, v64, s[10:11]
	v_add3_u32 v9, v41, v9, v40
	v_add3_u32 v13, v51, v13, v50
	;; [unrolled: 1-line block ×4, first 2 shown]
	v_mad_nc_u64_u32 v[40:41], s6, v46, s[8:9]
	v_mul_lo_u32 v50, s6, v47
	v_mul_lo_u32 v51, s7, v46
	v_mad_nc_u64_u32 v[46:47], s6, v46, s[10:11]
	v_add3_u32 v15, v53, v15, v52
	v_add3_u32 v17, v55, v17, v54
	;; [unrolled: 1-line block ×6, first 2 shown]
	v_add_nc_u64_e32 v[52:53], 0x60, v[124:125]
	v_mul_lo_u32 v71, s6, v57
	v_mul_lo_u32 v72, s7, v56
	v_mad_nc_u64_u32 v[54:55], s6, v56, s[8:9]
	v_mad_nc_u64_u32 v[56:57], s6, v56, s[10:11]
	v_mul_lo_u32 v74, s6, v61
	v_mul_lo_u32 v75, s7, v60
	v_add_nc_u64_e32 v[68:69], 0x80, v[124:125]
	v_mad_nc_u64_u32 v[58:59], s6, v60, s[8:9]
	v_mad_nc_u64_u32 v[60:61], s6, v60, s[10:11]
	v_add3_u32 v63, v77, v63, v76
	v_add3_u32 v65, v77, v65, v76
	v_add_nc_u64_e32 v[76:77], 0x90, v[124:125]
	v_add_nc_u64_e32 v[84:85], 0xa0, v[124:125]
	v_add3_u32 v41, v51, v41, v50
	v_add3_u32 v47, v51, v47, v50
	v_mad_nc_u64_u32 v[50:51], s6, v52, s[8:9]
	v_mul_lo_u32 v2, s6, v53
	v_mul_lo_u32 v70, s7, v52
	v_mad_nc_u64_u32 v[52:53], s6, v52, s[10:11]
	v_mul_lo_u32 v78, s6, v69
	v_mul_lo_u32 v79, s7, v68
	v_mad_nc_u64_u32 v[66:67], s6, v68, s[8:9]
	v_mad_nc_u64_u32 v[68:69], s6, v68, s[10:11]
	v_add3_u32 v55, v72, v55, v71
	v_add3_u32 v57, v72, v57, v71
	v_add3_u32 v59, v75, v59, v74
	v_add_nc_u64_e32 v[72:73], 0x88, v[124:125]
	v_add3_u32 v61, v75, v61, v74
	v_add_nc_u64_e32 v[80:81], 0x98, v[124:125]
	v_mul_lo_u32 v91, s6, v77
	v_mul_lo_u32 v92, s7, v76
	v_mad_nc_u64_u32 v[74:75], s6, v76, s[8:9]
	v_mad_nc_u64_u32 v[76:77], s6, v76, s[10:11]
	v_mul_lo_u32 v96, s6, v85
	v_mul_lo_u32 v97, s7, v84
	v_mad_nc_u64_u32 v[82:83], s6, v84, s[8:9]
	v_mad_nc_u64_u32 v[84:85], s6, v84, s[10:11]
	v_add3_u32 v51, v70, v51, v2
	v_add3_u32 v53, v70, v53, v2
	;; [unrolled: 1-line block ×4, first 2 shown]
	v_mul_lo_u32 v2, s6, v73
	v_mul_lo_u32 v90, s7, v72
	v_mad_nc_u64_u32 v[70:71], s6, v72, s[8:9]
	v_mad_nc_u64_u32 v[72:73], s6, v72, s[10:11]
	v_mul_lo_u32 v94, s6, v81
	v_mul_lo_u32 v95, s7, v80
	v_mad_nc_u64_u32 v[78:79], s6, v80, s[8:9]
	v_mad_nc_u64_u32 v[80:81], s6, v80, s[10:11]
	v_add3_u32 v75, v92, v75, v91
	v_add3_u32 v77, v92, v77, v91
	v_add_nc_u64_e32 v[92:93], 0xb0, v[124:125]
	v_add3_u32 v83, v97, v83, v96
	v_add3_u32 v85, v97, v85, v96
	v_add_nc_u64_e32 v[96:97], 0xb8, v[124:125]
	;; [unrolled: 3-line block ×3, first 2 shown]
	v_add3_u32 v79, v95, v79, v94
	v_add3_u32 v81, v95, v81, v94
	v_mul_lo_u32 v2, s6, v93
	v_mul_lo_u32 v110, s7, v92
	v_mad_nc_u64_u32 v[90:91], s6, v92, s[8:9]
	v_mad_nc_u64_u32 v[92:93], s6, v92, s[10:11]
	v_mul_lo_u32 v111, s6, v97
	v_mul_lo_u32 v112, s7, v96
	v_mad_nc_u64_u32 v[94:95], s6, v96, s[8:9]
	v_mad_nc_u64_u32 v[96:97], s6, v96, s[10:11]
	v_add_nc_u64_e32 v[104:105], 0xc8, v[124:125]
	v_mul_lo_u32 v118, s6, v109
	v_mul_lo_u32 v119, s7, v108
	v_mad_nc_u64_u32 v[106:107], s6, v108, s[8:9]
	v_mad_nc_u64_u32 v[108:109], s6, v108, s[10:11]
	v_add3_u32 v91, v110, v91, v2
	v_add3_u32 v93, v110, v93, v2
	s_set_vgpr_msb 4                        ;  msbs: dst=0 src0=0 src1=1 src2=0
	v_lshlrev_b32_e32 v110, 5, v136 /*v392*/
	s_set_vgpr_msb 0                        ;  msbs: dst=0 src0=0 src1=0 src2=0
	v_add_nc_u64_e32 v[88:89], 0xa8, v[124:125]
	v_add3_u32 v95, v112, v95, v111
	v_add3_u32 v97, v112, v97, v111
	v_mov_b32_e32 v111, v3
	v_mul_lo_u32 v116, s6, v105
	v_mul_lo_u32 v117, s7, v104
	v_mad_nc_u64_u32 v[102:103], s6, v104, s[8:9]
	v_mad_nc_u64_u32 v[104:105], s6, v104, s[10:11]
	v_add_nc_u64_e32 v[196:197], s[16:17], v[110:111]
	v_mul_lo_u32 v98, s6, v89
	v_mul_lo_u32 v99, s7, v88
	v_mad_nc_u64_u32 v[86:87], s6, v88, s[8:9]
	v_mad_nc_u64_u32 v[88:89], s6, v88, s[10:11]
	v_add3_u32 v107, v119, v107, v118
	v_add3_u32 v109, v119, v109, v118
	v_add_nc_u64_e32 v[130:131], 30, v[196:197]
	v_add_nc_u64_e32 v[128:129], 31, v[196:197]
	;; [unrolled: 1-line block ×6, first 2 shown]
	v_add3_u32 v103, v117, v103, v116
	v_mul_u64_e32 v[136:137], s[6:7], v[130:131]
	v_add_nc_u64_e32 v[130:131], 29, v[196:197]
	v_mul_u64_e32 v[132:133], s[6:7], v[128:129]
	v_add3_u32 v105, v117, v105, v116
	v_mul_lo_u32 v143, s6, v119
	v_mul_lo_u32 v144, s7, v118
	v_mad_nc_u64_u32 v[116:117], s6, v118, s[8:9]
	v_mad_nc_u64_u32 v[118:119], s6, v118, s[10:11]
	v_mul_u64_e32 v[140:141], s[6:7], v[130:131]
	v_mul_lo_u32 v145, s6, v123
	v_mul_lo_u32 v146, s7, v122
	v_mad_nc_u64_u32 v[120:121], s6, v122, s[8:9]
	v_mad_nc_u64_u32 v[122:123], s6, v122, s[10:11]
	v_mul_u64_e32 v[138:139], s[6:7], v[138:139]
	v_add3_u32 v87, v99, v87, v98
	v_add3_u32 v89, v99, v89, v98
	v_mul_lo_u32 v113, s6, v101
	v_mul_lo_u32 v114, s7, v100
	v_mad_nc_u64_u32 v[98:99], s6, v100, s[8:9]
	v_mad_nc_u64_u32 v[100:101], s6, v100, s[10:11]
	v_add_nc_u64_e32 v[126:127], 0xf0, v[124:125]
	v_add3_u32 v117, v144, v117, v143
	v_add3_u32 v119, v144, v119, v143
	;; [unrolled: 1-line block ×4, first 2 shown]
	v_add_nc_u64_e32 v[144:145], 25, v[196:197]
	v_add_nc_u64_e32 v[134:135], 0xf8, v[124:125]
	v_mul_lo_u32 v147, s6, v127
	v_mul_lo_u32 v148, s7, v126
	v_add3_u32 v99, v114, v99, v113
	v_add3_u32 v101, v114, v101, v113
	v_add_nc_u64_e32 v[114:115], 0xd8, v[124:125]
	v_mad_nc_u64_u32 v[124:125], s6, v126, s[8:9]
	v_mad_nc_u64_u32 v[126:127], s6, v126, s[10:11]
	v_mul_u64_e32 v[156:157], s[6:7], v[144:145]
	v_add_nc_u64_e32 v[144:145], 22, v[196:197]
	v_mul_u64_e32 v[236:237], s[6:7], v[196:197]
	v_lshlrev_b64_e32 v[152:153], 3, v[136:137]
	v_add_nc_u64_e32 v[136:137], 24, v[196:197]
	v_mul_lo_u32 v2, s6, v115
	v_lshlrev_b64_e32 v[160:161], 3, v[140:141]
	v_mul_lo_u32 v142, s7, v114
	v_mul_u64_e32 v[166:167], s[6:7], v[144:145]
	v_add3_u32 v125, v148, v125, v147
	v_add3_u32 v127, v148, v127, v147
	v_lshlrev_b64_e32 v[146:147], 3, v[132:133]
	v_add_nc_u64_e32 v[144:145], 19, v[196:197]
	v_mul_u64_e32 v[158:159], s[6:7], v[136:137]
	v_lshlrev_b64_e32 v[164:165], 3, v[138:139]
	v_mad_nc_u64_u32 v[112:113], s6, v114, s[8:9]
	v_mad_nc_u64_u32 v[114:115], s6, v114, s[10:11]
	v_mul_lo_u32 v135, s6, v135
	v_add_nc_u64_e32 v[136:137], s[8:9], v[146:147]
	v_add_nc_u64_e32 v[138:139], s[10:11], v[146:147]
	v_mul_u64_e32 v[176:177], s[6:7], v[144:145]
	v_add_nc_u64_e32 v[144:145], s[8:9], v[160:161]
	v_add_nc_u64_e32 v[146:147], s[10:11], v[160:161]
	;; [unrolled: 1-line block ×3, first 2 shown]
	v_mul_lo_u32 v149, s7, v134
	v_mad_nc_u64_u32 v[128:129], s6, v134, s[8:9]
	v_mad_nc_u64_u32 v[130:131], s6, v134, s[10:11]
	v_add_nc_u64_e32 v[204:205], 11, v[196:197]
	v_add3_u32 v113, v142, v113, v2
	v_add3_u32 v115, v142, v115, v2
	v_mul_u64_e32 v[200:201], s[6:7], v[160:161]
	v_add_nc_u64_e32 v[142:143], 26, v[196:197]
	v_add_nc_u64_e32 v[186:187], 14, v[196:197]
	;; [unrolled: 1-line block ×3, first 2 shown]
	v_mul_u64_e32 v[210:211], s[6:7], v[204:205]
	v_add_nc_u64_e32 v[204:205], 9, v[196:197]
	v_add3_u32 v129, v149, v129, v135
	v_add3_u32 v131, v149, v131, v135
	v_add_nc_u64_e32 v[134:135], 27, v[196:197]
	v_lshlrev_b64_e32 v[148:149], 3, v[236:237]
	v_mul_u64_e32 v[154:155], s[6:7], v[142:143]
	v_add_nc_u64_e32 v[142:143], 23, v[196:197]
	v_add_nc_u64_e32 v[140:141], 20, v[196:197]
	;; [unrolled: 1-line block ×3, first 2 shown]
	v_mul_u64_e32 v[202:203], s[6:7], v[186:187]
	v_mul_u64_e32 v[150:151], s[6:7], v[134:135]
	v_add_nc_u64_e32 v[132:133], s[8:9], v[148:149]
	v_add_nc_u64_e32 v[134:135], s[10:11], v[148:149]
	v_add_nc_u64_e32 v[148:149], 21, v[196:197]
	v_add_nc_u64_e32 v[186:187], 12, v[196:197]
	v_add_nc_u64_e32 v[214:215], 7, v[196:197]
	v_mul_u64_e32 v[218:219], s[6:7], v[204:205]
	v_mul_u64_e32 v[220:221], s[6:7], v[212:213]
	v_add_nc_u64_e32 v[204:205], 6, v[196:197]
	v_add_nc_u64_e32 v[212:213], 5, v[196:197]
	v_mul_u64_e32 v[162:163], s[6:7], v[142:143]
	v_mul_u64_e32 v[168:169], s[6:7], v[148:149]
	v_add_nc_u64_e32 v[148:149], 18, v[196:197]
	v_mul_u64_e32 v[172:173], s[6:7], v[140:141]
	v_add_nc_u64_e32 v[170:171], 17, v[196:197]
	v_add_nc_u64_e32 v[140:141], s[8:9], v[152:153]
	;; [unrolled: 1-line block ×4, first 2 shown]
	v_mul_u64_e32 v[206:207], s[6:7], v[192:193]
	v_add_nc_u64_e32 v[192:193], 10, v[196:197]
	v_mul_u64_e32 v[208:209], s[6:7], v[186:187]
	v_mul_u64_e32 v[222:223], s[6:7], v[214:215]
	v_add_nc_u64_e32 v[214:215], 4, v[196:197]
	v_mul_u64_e32 v[228:229], s[6:7], v[204:205]
	v_lshlrev_b64_e32 v[204:205], 3, v[200:201]
	v_mul_u64_e32 v[238:239], s[6:7], v[212:213]
	v_add_nc_u64_e32 v[200:201], 3, v[196:197]
	v_add_nc_u64_e32 v[212:213], 2, v[196:197]
	v_mul_u64_e32 v[178:179], s[6:7], v[148:149]
	v_mul_u64_e32 v[180:181], s[6:7], v[170:171]
	;; [unrolled: 1-line block ×7, first 2 shown]
	v_lshlrev_b64_e32 v[170:171], 3, v[150:151]
	v_add_nc_u64_e32 v[148:149], s[8:9], v[164:165]
	v_add_nc_u64_e32 v[150:151], s[10:11], v[164:165]
	v_lshlrev_b64_e32 v[164:165], 3, v[154:155]
	v_lshlrev_b64_e32 v[174:175], 3, v[156:157]
	;; [unrolled: 1-line block ×4, first 2 shown]
	v_add_nc_u64_e32 v[152:153], s[8:9], v[170:171]
	v_add_nc_u64_e32 v[154:155], s[10:11], v[170:171]
	v_lshlrev_b64_e32 v[170:171], 3, v[158:159]
	v_lshlrev_b64_e32 v[182:183], 3, v[162:163]
	v_add_nc_u64_e32 v[252:253], s[6:7], v[236:237]
	v_add_nc_u64_e32 v[156:157], s[8:9], v[164:165]
	;; [unrolled: 1-line block ×4, first 2 shown]
	v_lshlrev_b64_e32 v[224:225], 3, v[206:207]
	v_add_nc_u64_e32 v[162:163], s[10:11], v[174:175]
	v_lshlrev_b64_e32 v[226:227], 3, v[208:209]
	v_lshlrev_b64_e32 v[174:175], 3, v[166:167]
	v_add_nc_u64_e32 v[164:165], s[8:9], v[170:171]
	v_add_nc_u64_e32 v[166:167], s[10:11], v[170:171]
	v_lshlrev_b64_e32 v[184:185], 3, v[168:169]
	v_add_nc_u64_e32 v[168:169], s[8:9], v[182:183]
	v_add_nc_u64_e32 v[170:171], s[10:11], v[182:183]
	v_lshlrev_b64_e32 v[182:183], 3, v[172:173]
	v_lshlrev_b64_e32 v[188:189], 3, v[176:177]
	;; [unrolled: 1-line block ×5, first 2 shown]
	v_add_nc_u64_e32 v[200:201], s[8:9], v[204:205]
	v_add_nc_u64_e32 v[202:203], s[10:11], v[204:205]
	v_add_nc_u64_e32 v[204:205], s[8:9], v[214:215]
	v_add_nc_u64_e32 v[206:207], s[10:11], v[214:215]
	v_add_nc_u64_e32 v[208:209], s[8:9], v[224:225]
	v_add_nc_u64_e32 v[210:211], s[10:11], v[224:225]
	v_lshlrev_b64_e32 v[224:225], 3, v[216:217]
	v_add_nc_u64_e32 v[212:213], s[8:9], v[226:227]
	v_add_nc_u64_e32 v[214:215], s[10:11], v[226:227]
	v_lshlrev_b64_e32 v[226:227], 3, v[218:219]
	v_add_nc_u64_e32 v[216:217], s[8:9], v[230:231]
	v_add_nc_u64_e32 v[218:219], s[10:11], v[230:231]
	v_lshlrev_b64_e32 v[230:231], 3, v[220:221]
	v_lshlrev_b64_e32 v[234:235], 3, v[222:223]
	;; [unrolled: 1-line block ×6, first 2 shown]
	s_set_vgpr_msb 64                       ;  msbs: dst=1 src0=0 src1=0 src2=0
	v_lshlrev_b64_e32 v[0:1] /*v[256:257]*/, 3, v[244:245]
	v_lshlrev_b64_e32 v[2:3] /*v[258:259]*/, 3, v[252:253]
	s_set_vgpr_msb 0                        ;  msbs: dst=0 src0=0 src1=0 src2=0
	v_add_nc_u64_e32 v[172:173], s[8:9], v[174:175]
	v_add_nc_u64_e32 v[174:175], s[10:11], v[174:175]
	;; [unrolled: 1-line block ×30, first 2 shown]
	s_set_vgpr_msb 4                        ;  msbs: dst=0 src0=0 src1=1 src2=0
	v_add_nc_u64_e32 v[252:253], s[8:9], v[0:1] /*v[256:257]*/
	v_add_nc_u64_e32 v[254:255], s[10:11], v[0:1] /*v[256:257]*/
	s_set_vgpr_msb 0x44                     ;  msbs: dst=1 src0=0 src1=1 src2=0
	v_add_nc_u64_e32 v[0:1] /*v[256:257]*/, s[8:9], v[2:3] /*v[258:259]*/
	v_add_nc_u64_e32 v[2:3] /*v[258:259]*/, s[10:11], v[2:3] /*v[258:259]*/
	s_wait_kmcnt 0x0
	s_lshl_b32 s20, s13, 5
	s_add_nc_u64 s[8:9], s[0:1], 64
	s_mul_u64 s[10:11], s[6:7], s[20:21]
	s_delay_alu instid0(SALU_CYCLE_1)
	s_lshl_b64 s[10:11], s[10:11], 3
.LBB120_145:                            ; =>This Inner Loop Header: Depth=1
	s_add_nc_u64 s[26:27], s[16:17], s[22:23]
	s_set_vgpr_msb 64                       ;  msbs: dst=1 src0=0 src1=0 src2=0
	v_add_nc_u64_e32 v[8:9] /*v[264:265]*/, s[16:17], v[110:111]
	v_cmp_ge_i64_e64 s13, s[26:27], s[4:5]
                                        ; implicit-def: $vgpr262_vgpr263
	s_and_b32 vcc_lo, exec_lo, s13
	s_mov_b32 s13, -1
	s_set_vgpr_msb 0                        ;  msbs: dst=0 src0=0 src1=0 src2=0
	s_cbranch_vccz .LBB120_213
; %bb.146:                              ;   in Loop: Header=BB120_145 Depth=1
	s_load_b32 s13, s[8:9], 0xc
	s_set_vgpr_msb 64                       ;  msbs: dst=1 src0=0 src1=0 src2=0
	v_mov_b64_e32 v[6:7] /*v[262:263]*/, 0
	v_mov_b64_e32 v[10:11] /*v[266:267]*/, 0
	s_wait_kmcnt 0x0
	s_and_b32 s13, s13, 0xffff
	s_set_vgpr_msb 1                        ;  msbs: dst=0 src0=1 src1=0 src2=0
	v_mad_u32_u24 v2, v136 /*v392*/, s13, v1
	s_mov_b32 s13, exec_lo
	s_delay_alu instid0(VALU_DEP_1) | instskip(SKIP_1) | instid1(VALU_DEP_1)
	v_and_b32_e32 v2, 31, v2
	s_set_vgpr_msb 0x41                     ;  msbs: dst=1 src0=1 src1=0 src2=0
	v_add_nc_u64_e32 v[12:13] /*v[268:269]*/, v[8:9] /*v[264:265]*/, v[2:3]
	s_set_vgpr_msb 4                        ;  msbs: dst=0 src0=0 src1=1 src2=0
	s_delay_alu instid0(VALU_DEP_1)
	v_cmpx_gt_i64_e64 s[4:5], v[12:13] /*v[268:269]*/
	s_set_vgpr_msb 0                        ;  msbs: dst=0 src0=0 src1=0 src2=0
	s_cbranch_execz .LBB120_148
; %bb.147:                              ;   in Loop: Header=BB120_145 Depth=1
	s_set_vgpr_msb 0x41                     ;  msbs: dst=1 src0=1 src1=0 src2=0
	v_lshl_add_u64 v[10:11] /*v[266:267]*/, v[12:13] /*v[268:269]*/, 3, s[14:15]
	global_load_b64 v[10:11] /*v[266:267]*/, v[10:11] /*v[266:267]*/, off
.LBB120_148:                            ;   in Loop: Header=BB120_145 Depth=1
	s_wait_xcnt 0x0
	s_or_b32 exec_lo, exec_lo, s13
	s_set_vgpr_msb 64                       ;  msbs: dst=1 src0=0 src1=0 src2=0
	v_mov_b64_e32 v[12:13] /*v[268:269]*/, 0
	s_mov_b32 s13, exec_lo
	s_set_vgpr_msb 4                        ;  msbs: dst=0 src0=0 src1=1 src2=0
	v_cmpx_gt_i64_e64 s[4:5], v[8:9] /*v[264:265]*/
	s_set_vgpr_msb 0                        ;  msbs: dst=0 src0=0 src1=0 src2=0
	s_cbranch_execz .LBB120_150
; %bb.149:                              ;   in Loop: Header=BB120_145 Depth=1
	s_set_vgpr_msb 64                       ;  msbs: dst=1 src0=0 src1=0 src2=0
	v_add_nc_u64_e32 v[14:15] /*v[270:271]*/, v[132:133], v[4:5]
	v_add_nc_u64_e32 v[16:17] /*v[272:273]*/, v[134:135], v[4:5]
	s_set_vgpr_msb 0x41                     ;  msbs: dst=1 src0=1 src1=0 src2=0
	global_load_b64 v[6:7] /*v[262:263]*/, v[14:15] /*v[270:271]*/, off
	global_load_b64 v[12:13] /*v[268:269]*/, v[16:17] /*v[272:273]*/, off
.LBB120_150:                            ;   in Loop: Header=BB120_145 Depth=1
	s_wait_xcnt 0x0
	s_or_b32 exec_lo, exec_lo, s13
	s_set_vgpr_msb 0x44                     ;  msbs: dst=1 src0=0 src1=1 src2=0
	v_add_nc_u64_e32 v[18:19] /*v[274:275]*/, 1, v[8:9] /*v[264:265]*/
	v_mov_b64_e32 v[14:15] /*v[270:271]*/, 0
	v_mov_b64_e32 v[16:17] /*v[272:273]*/, 0
	s_delay_alu instid0(VALU_DEP_3)
	v_cmp_gt_i64_e32 vcc_lo, s[4:5], v[18:19] /*v[274:275]*/
	v_mov_b64_e32 v[18:19] /*v[274:275]*/, 0
	s_and_saveexec_b32 s13, vcc_lo
	s_set_vgpr_msb 0                        ;  msbs: dst=0 src0=0 src1=0 src2=0
	s_cbranch_execz .LBB120_152
; %bb.151:                              ;   in Loop: Header=BB120_145 Depth=1
	s_set_vgpr_msb 0x41                     ;  msbs: dst=1 src0=1 src1=0 src2=0
	v_add_nc_u64_e32 v[20:21] /*v[276:277]*/, v[0:1] /*v[256:257]*/, v[4:5]
	v_add_nc_u64_e32 v[22:23] /*v[278:279]*/, v[2:3] /*v[258:259]*/, v[4:5]
	global_load_b64 v[16:17] /*v[272:273]*/, v[20:21] /*v[276:277]*/, off
	global_load_b64 v[18:19] /*v[274:275]*/, v[22:23] /*v[278:279]*/, off
.LBB120_152:                            ;   in Loop: Header=BB120_145 Depth=1
	s_wait_xcnt 0x0
	s_or_b32 exec_lo, exec_lo, s13
	s_set_vgpr_msb 0x44                     ;  msbs: dst=1 src0=0 src1=1 src2=0
	v_add_nc_u64_e32 v[20:21] /*v[276:277]*/, 2, v[8:9] /*v[264:265]*/
	s_delay_alu instid0(VALU_DEP_1)
	v_cmp_gt_i64_e32 vcc_lo, s[4:5], v[20:21] /*v[276:277]*/
	v_mov_b64_e32 v[20:21] /*v[276:277]*/, 0
	s_and_saveexec_b32 s13, vcc_lo
	s_set_vgpr_msb 0                        ;  msbs: dst=0 src0=0 src1=0 src2=0
	s_cbranch_execz .LBB120_154
; %bb.153:                              ;   in Loop: Header=BB120_145 Depth=1
	s_set_vgpr_msb 64                       ;  msbs: dst=1 src0=0 src1=0 src2=0
	v_add_nc_u64_e32 v[22:23] /*v[278:279]*/, v[252:253], v[4:5]
	v_add_nc_u64_e32 v[24:25] /*v[280:281]*/, v[254:255], v[4:5]
	s_set_vgpr_msb 0x41                     ;  msbs: dst=1 src0=1 src1=0 src2=0
	global_load_b64 v[14:15] /*v[270:271]*/, v[22:23] /*v[278:279]*/, off
	global_load_b64 v[20:21] /*v[276:277]*/, v[24:25] /*v[280:281]*/, off
.LBB120_154:                            ;   in Loop: Header=BB120_145 Depth=1
	s_wait_xcnt 0x0
	s_or_b32 exec_lo, exec_lo, s13
	s_set_vgpr_msb 0x44                     ;  msbs: dst=1 src0=0 src1=1 src2=0
	v_add_nc_u64_e32 v[26:27] /*v[282:283]*/, 3, v[8:9] /*v[264:265]*/
	v_mov_b64_e32 v[22:23] /*v[278:279]*/, 0
	v_mov_b64_e32 v[24:25] /*v[280:281]*/, 0
	s_delay_alu instid0(VALU_DEP_3)
	v_cmp_gt_i64_e32 vcc_lo, s[4:5], v[26:27] /*v[282:283]*/
	v_mov_b64_e32 v[26:27] /*v[282:283]*/, 0
	s_and_saveexec_b32 s13, vcc_lo
	s_set_vgpr_msb 0                        ;  msbs: dst=0 src0=0 src1=0 src2=0
	s_cbranch_execz .LBB120_156
; %bb.155:                              ;   in Loop: Header=BB120_145 Depth=1
	s_set_vgpr_msb 64                       ;  msbs: dst=1 src0=0 src1=0 src2=0
	v_add_nc_u64_e32 v[28:29] /*v[284:285]*/, v[248:249], v[4:5]
	v_add_nc_u64_e32 v[30:31] /*v[286:287]*/, v[250:251], v[4:5]
	s_set_vgpr_msb 0x41                     ;  msbs: dst=1 src0=1 src1=0 src2=0
	global_load_b64 v[24:25] /*v[280:281]*/, v[28:29] /*v[284:285]*/, off
	global_load_b64 v[26:27] /*v[282:283]*/, v[30:31] /*v[286:287]*/, off
.LBB120_156:                            ;   in Loop: Header=BB120_145 Depth=1
	s_wait_xcnt 0x0
	s_or_b32 exec_lo, exec_lo, s13
	s_set_vgpr_msb 0x44                     ;  msbs: dst=1 src0=0 src1=1 src2=0
	v_add_nc_u64_e32 v[28:29] /*v[284:285]*/, 4, v[8:9] /*v[264:265]*/
	s_delay_alu instid0(VALU_DEP_1)
	v_cmp_gt_i64_e32 vcc_lo, s[4:5], v[28:29] /*v[284:285]*/
	v_mov_b64_e32 v[28:29] /*v[284:285]*/, 0
	s_and_saveexec_b32 s13, vcc_lo
	s_set_vgpr_msb 0                        ;  msbs: dst=0 src0=0 src1=0 src2=0
	s_cbranch_execz .LBB120_158
; %bb.157:                              ;   in Loop: Header=BB120_145 Depth=1
	s_set_vgpr_msb 64                       ;  msbs: dst=1 src0=0 src1=0 src2=0
	v_add_nc_u64_e32 v[30:31] /*v[286:287]*/, v[244:245], v[4:5]
	v_add_nc_u64_e32 v[32:33] /*v[288:289]*/, v[246:247], v[4:5]
	s_set_vgpr_msb 0x41                     ;  msbs: dst=1 src0=1 src1=0 src2=0
	global_load_b64 v[22:23] /*v[278:279]*/, v[30:31] /*v[286:287]*/, off
	global_load_b64 v[28:29] /*v[284:285]*/, v[32:33] /*v[288:289]*/, off
.LBB120_158:                            ;   in Loop: Header=BB120_145 Depth=1
	s_wait_xcnt 0x0
	s_or_b32 exec_lo, exec_lo, s13
	s_set_vgpr_msb 0x44                     ;  msbs: dst=1 src0=0 src1=1 src2=0
	v_add_nc_u64_e32 v[34:35] /*v[290:291]*/, 5, v[8:9] /*v[264:265]*/
	v_mov_b64_e32 v[30:31] /*v[286:287]*/, 0
	v_mov_b64_e32 v[32:33] /*v[288:289]*/, 0
	s_delay_alu instid0(VALU_DEP_3)
	v_cmp_gt_i64_e32 vcc_lo, s[4:5], v[34:35] /*v[290:291]*/
	v_mov_b64_e32 v[34:35] /*v[290:291]*/, 0
	s_and_saveexec_b32 s13, vcc_lo
	s_set_vgpr_msb 0                        ;  msbs: dst=0 src0=0 src1=0 src2=0
	s_cbranch_execz .LBB120_160
; %bb.159:                              ;   in Loop: Header=BB120_145 Depth=1
	s_set_vgpr_msb 64                       ;  msbs: dst=1 src0=0 src1=0 src2=0
	v_add_nc_u64_e32 v[36:37] /*v[292:293]*/, v[240:241], v[4:5]
	v_add_nc_u64_e32 v[38:39] /*v[294:295]*/, v[242:243], v[4:5]
	s_set_vgpr_msb 0x41                     ;  msbs: dst=1 src0=1 src1=0 src2=0
	global_load_b64 v[32:33] /*v[288:289]*/, v[36:37] /*v[292:293]*/, off
	global_load_b64 v[34:35] /*v[290:291]*/, v[38:39] /*v[294:295]*/, off
.LBB120_160:                            ;   in Loop: Header=BB120_145 Depth=1
	s_wait_xcnt 0x0
	s_or_b32 exec_lo, exec_lo, s13
	s_set_vgpr_msb 0x44                     ;  msbs: dst=1 src0=0 src1=1 src2=0
	v_add_nc_u64_e32 v[36:37] /*v[292:293]*/, 6, v[8:9] /*v[264:265]*/
	s_delay_alu instid0(VALU_DEP_1)
	v_cmp_gt_i64_e32 vcc_lo, s[4:5], v[36:37] /*v[292:293]*/
	v_mov_b64_e32 v[36:37] /*v[292:293]*/, 0
	s_and_saveexec_b32 s13, vcc_lo
	s_set_vgpr_msb 0                        ;  msbs: dst=0 src0=0 src1=0 src2=0
	s_cbranch_execz .LBB120_162
; %bb.161:                              ;   in Loop: Header=BB120_145 Depth=1
	s_set_vgpr_msb 64                       ;  msbs: dst=1 src0=0 src1=0 src2=0
	v_add_nc_u64_e32 v[38:39] /*v[294:295]*/, v[236:237], v[4:5]
	v_add_nc_u64_e32 v[40:41] /*v[296:297]*/, v[238:239], v[4:5]
	s_set_vgpr_msb 0x41                     ;  msbs: dst=1 src0=1 src1=0 src2=0
	global_load_b64 v[30:31] /*v[286:287]*/, v[38:39] /*v[294:295]*/, off
	global_load_b64 v[36:37] /*v[292:293]*/, v[40:41] /*v[296:297]*/, off
.LBB120_162:                            ;   in Loop: Header=BB120_145 Depth=1
	s_wait_xcnt 0x0
	s_or_b32 exec_lo, exec_lo, s13
	s_set_vgpr_msb 0x44                     ;  msbs: dst=1 src0=0 src1=1 src2=0
	v_add_nc_u64_e32 v[42:43] /*v[298:299]*/, 7, v[8:9] /*v[264:265]*/
	v_mov_b64_e32 v[38:39] /*v[294:295]*/, 0
	v_mov_b64_e32 v[40:41] /*v[296:297]*/, 0
	s_delay_alu instid0(VALU_DEP_3)
	v_cmp_gt_i64_e32 vcc_lo, s[4:5], v[42:43] /*v[298:299]*/
	v_mov_b64_e32 v[42:43] /*v[298:299]*/, 0
	s_and_saveexec_b32 s13, vcc_lo
	s_set_vgpr_msb 0                        ;  msbs: dst=0 src0=0 src1=0 src2=0
	s_cbranch_execz .LBB120_164
; %bb.163:                              ;   in Loop: Header=BB120_145 Depth=1
	s_set_vgpr_msb 64                       ;  msbs: dst=1 src0=0 src1=0 src2=0
	v_add_nc_u64_e32 v[44:45] /*v[300:301]*/, v[232:233], v[4:5]
	v_add_nc_u64_e32 v[46:47] /*v[302:303]*/, v[234:235], v[4:5]
	s_set_vgpr_msb 0x41                     ;  msbs: dst=1 src0=1 src1=0 src2=0
	global_load_b64 v[40:41] /*v[296:297]*/, v[44:45] /*v[300:301]*/, off
	global_load_b64 v[42:43] /*v[298:299]*/, v[46:47] /*v[302:303]*/, off
.LBB120_164:                            ;   in Loop: Header=BB120_145 Depth=1
	s_wait_xcnt 0x0
	s_or_b32 exec_lo, exec_lo, s13
	s_set_vgpr_msb 0x44                     ;  msbs: dst=1 src0=0 src1=1 src2=0
	v_add_nc_u64_e32 v[44:45] /*v[300:301]*/, 8, v[8:9] /*v[264:265]*/
	s_delay_alu instid0(VALU_DEP_1)
	v_cmp_gt_i64_e32 vcc_lo, s[4:5], v[44:45] /*v[300:301]*/
	v_mov_b64_e32 v[44:45] /*v[300:301]*/, 0
	s_and_saveexec_b32 s13, vcc_lo
	s_set_vgpr_msb 0                        ;  msbs: dst=0 src0=0 src1=0 src2=0
	s_cbranch_execz .LBB120_166
; %bb.165:                              ;   in Loop: Header=BB120_145 Depth=1
	s_set_vgpr_msb 64                       ;  msbs: dst=1 src0=0 src1=0 src2=0
	v_add_nc_u64_e32 v[46:47] /*v[302:303]*/, v[228:229], v[4:5]
	v_add_nc_u64_e32 v[48:49] /*v[304:305]*/, v[230:231], v[4:5]
	s_set_vgpr_msb 0x41                     ;  msbs: dst=1 src0=1 src1=0 src2=0
	global_load_b64 v[38:39] /*v[294:295]*/, v[46:47] /*v[302:303]*/, off
	global_load_b64 v[44:45] /*v[300:301]*/, v[48:49] /*v[304:305]*/, off
.LBB120_166:                            ;   in Loop: Header=BB120_145 Depth=1
	s_wait_xcnt 0x0
	s_or_b32 exec_lo, exec_lo, s13
	s_set_vgpr_msb 0x44                     ;  msbs: dst=1 src0=0 src1=1 src2=0
	v_add_nc_u64_e32 v[50:51] /*v[306:307]*/, 9, v[8:9] /*v[264:265]*/
	v_mov_b64_e32 v[46:47] /*v[302:303]*/, 0
	v_mov_b64_e32 v[48:49] /*v[304:305]*/, 0
	s_delay_alu instid0(VALU_DEP_3)
	v_cmp_gt_i64_e32 vcc_lo, s[4:5], v[50:51] /*v[306:307]*/
	v_mov_b64_e32 v[50:51] /*v[306:307]*/, 0
	s_and_saveexec_b32 s13, vcc_lo
	s_set_vgpr_msb 0                        ;  msbs: dst=0 src0=0 src1=0 src2=0
	s_cbranch_execz .LBB120_168
; %bb.167:                              ;   in Loop: Header=BB120_145 Depth=1
	s_set_vgpr_msb 64                       ;  msbs: dst=1 src0=0 src1=0 src2=0
	v_add_nc_u64_e32 v[52:53] /*v[308:309]*/, v[224:225], v[4:5]
	v_add_nc_u64_e32 v[54:55] /*v[310:311]*/, v[226:227], v[4:5]
	s_set_vgpr_msb 0x41                     ;  msbs: dst=1 src0=1 src1=0 src2=0
	global_load_b64 v[48:49] /*v[304:305]*/, v[52:53] /*v[308:309]*/, off
	global_load_b64 v[50:51] /*v[306:307]*/, v[54:55] /*v[310:311]*/, off
.LBB120_168:                            ;   in Loop: Header=BB120_145 Depth=1
	s_wait_xcnt 0x0
	s_or_b32 exec_lo, exec_lo, s13
	s_set_vgpr_msb 0x44                     ;  msbs: dst=1 src0=0 src1=1 src2=0
	v_add_nc_u64_e32 v[52:53] /*v[308:309]*/, 10, v[8:9] /*v[264:265]*/
	s_delay_alu instid0(VALU_DEP_1)
	v_cmp_gt_i64_e32 vcc_lo, s[4:5], v[52:53] /*v[308:309]*/
	v_mov_b64_e32 v[52:53] /*v[308:309]*/, 0
	s_and_saveexec_b32 s13, vcc_lo
	s_set_vgpr_msb 0                        ;  msbs: dst=0 src0=0 src1=0 src2=0
	s_cbranch_execz .LBB120_170
; %bb.169:                              ;   in Loop: Header=BB120_145 Depth=1
	s_set_vgpr_msb 64                       ;  msbs: dst=1 src0=0 src1=0 src2=0
	v_add_nc_u64_e32 v[54:55] /*v[310:311]*/, v[220:221], v[4:5]
	v_add_nc_u64_e32 v[56:57] /*v[312:313]*/, v[222:223], v[4:5]
	s_set_vgpr_msb 0x41                     ;  msbs: dst=1 src0=1 src1=0 src2=0
	global_load_b64 v[46:47] /*v[302:303]*/, v[54:55] /*v[310:311]*/, off
	global_load_b64 v[52:53] /*v[308:309]*/, v[56:57] /*v[312:313]*/, off
.LBB120_170:                            ;   in Loop: Header=BB120_145 Depth=1
	s_wait_xcnt 0x0
	s_or_b32 exec_lo, exec_lo, s13
	s_set_vgpr_msb 0x44                     ;  msbs: dst=1 src0=0 src1=1 src2=0
	v_add_nc_u64_e32 v[58:59] /*v[314:315]*/, 11, v[8:9] /*v[264:265]*/
	v_mov_b64_e32 v[54:55] /*v[310:311]*/, 0
	v_mov_b64_e32 v[56:57] /*v[312:313]*/, 0
	s_delay_alu instid0(VALU_DEP_3)
	v_cmp_gt_i64_e32 vcc_lo, s[4:5], v[58:59] /*v[314:315]*/
	v_mov_b64_e32 v[58:59] /*v[314:315]*/, 0
	s_and_saveexec_b32 s13, vcc_lo
	s_set_vgpr_msb 0                        ;  msbs: dst=0 src0=0 src1=0 src2=0
	s_cbranch_execz .LBB120_172
; %bb.171:                              ;   in Loop: Header=BB120_145 Depth=1
	s_set_vgpr_msb 64                       ;  msbs: dst=1 src0=0 src1=0 src2=0
	v_add_nc_u64_e32 v[60:61] /*v[316:317]*/, v[216:217], v[4:5]
	v_add_nc_u64_e32 v[62:63] /*v[318:319]*/, v[218:219], v[4:5]
	s_set_vgpr_msb 0x41                     ;  msbs: dst=1 src0=1 src1=0 src2=0
	global_load_b64 v[56:57] /*v[312:313]*/, v[60:61] /*v[316:317]*/, off
	global_load_b64 v[58:59] /*v[314:315]*/, v[62:63] /*v[318:319]*/, off
.LBB120_172:                            ;   in Loop: Header=BB120_145 Depth=1
	s_wait_xcnt 0x0
	s_or_b32 exec_lo, exec_lo, s13
	s_set_vgpr_msb 0x44                     ;  msbs: dst=1 src0=0 src1=1 src2=0
	v_add_nc_u64_e32 v[60:61] /*v[316:317]*/, 12, v[8:9] /*v[264:265]*/
	s_delay_alu instid0(VALU_DEP_1)
	v_cmp_gt_i64_e32 vcc_lo, s[4:5], v[60:61] /*v[316:317]*/
	v_mov_b64_e32 v[60:61] /*v[316:317]*/, 0
	s_and_saveexec_b32 s13, vcc_lo
	s_set_vgpr_msb 0                        ;  msbs: dst=0 src0=0 src1=0 src2=0
	s_cbranch_execz .LBB120_174
; %bb.173:                              ;   in Loop: Header=BB120_145 Depth=1
	s_set_vgpr_msb 64                       ;  msbs: dst=1 src0=0 src1=0 src2=0
	v_add_nc_u64_e32 v[62:63] /*v[318:319]*/, v[212:213], v[4:5]
	v_add_nc_u64_e32 v[64:65] /*v[320:321]*/, v[214:215], v[4:5]
	s_set_vgpr_msb 0x41                     ;  msbs: dst=1 src0=1 src1=0 src2=0
	global_load_b64 v[54:55] /*v[310:311]*/, v[62:63] /*v[318:319]*/, off
	global_load_b64 v[60:61] /*v[316:317]*/, v[64:65] /*v[320:321]*/, off
.LBB120_174:                            ;   in Loop: Header=BB120_145 Depth=1
	s_wait_xcnt 0x0
	s_or_b32 exec_lo, exec_lo, s13
	s_set_vgpr_msb 0x44                     ;  msbs: dst=1 src0=0 src1=1 src2=0
	v_add_nc_u64_e32 v[66:67] /*v[322:323]*/, 13, v[8:9] /*v[264:265]*/
	v_mov_b64_e32 v[62:63] /*v[318:319]*/, 0
	v_mov_b64_e32 v[64:65] /*v[320:321]*/, 0
	s_delay_alu instid0(VALU_DEP_3)
	v_cmp_gt_i64_e32 vcc_lo, s[4:5], v[66:67] /*v[322:323]*/
	v_mov_b64_e32 v[66:67] /*v[322:323]*/, 0
	s_and_saveexec_b32 s13, vcc_lo
	s_set_vgpr_msb 0                        ;  msbs: dst=0 src0=0 src1=0 src2=0
	s_cbranch_execz .LBB120_176
; %bb.175:                              ;   in Loop: Header=BB120_145 Depth=1
	s_set_vgpr_msb 64                       ;  msbs: dst=1 src0=0 src1=0 src2=0
	v_add_nc_u64_e32 v[68:69] /*v[324:325]*/, v[208:209], v[4:5]
	v_add_nc_u64_e32 v[70:71] /*v[326:327]*/, v[210:211], v[4:5]
	s_set_vgpr_msb 0x41                     ;  msbs: dst=1 src0=1 src1=0 src2=0
	global_load_b64 v[64:65] /*v[320:321]*/, v[68:69] /*v[324:325]*/, off
	global_load_b64 v[66:67] /*v[322:323]*/, v[70:71] /*v[326:327]*/, off
.LBB120_176:                            ;   in Loop: Header=BB120_145 Depth=1
	s_wait_xcnt 0x0
	s_or_b32 exec_lo, exec_lo, s13
	s_set_vgpr_msb 0x44                     ;  msbs: dst=1 src0=0 src1=1 src2=0
	v_add_nc_u64_e32 v[68:69] /*v[324:325]*/, 14, v[8:9] /*v[264:265]*/
	s_delay_alu instid0(VALU_DEP_1)
	v_cmp_gt_i64_e32 vcc_lo, s[4:5], v[68:69] /*v[324:325]*/
	v_mov_b64_e32 v[68:69] /*v[324:325]*/, 0
	s_and_saveexec_b32 s13, vcc_lo
	s_set_vgpr_msb 0                        ;  msbs: dst=0 src0=0 src1=0 src2=0
	s_cbranch_execz .LBB120_178
; %bb.177:                              ;   in Loop: Header=BB120_145 Depth=1
	s_set_vgpr_msb 64                       ;  msbs: dst=1 src0=0 src1=0 src2=0
	v_add_nc_u64_e32 v[70:71] /*v[326:327]*/, v[204:205], v[4:5]
	v_add_nc_u64_e32 v[72:73] /*v[328:329]*/, v[206:207], v[4:5]
	s_set_vgpr_msb 0x41                     ;  msbs: dst=1 src0=1 src1=0 src2=0
	global_load_b64 v[62:63] /*v[318:319]*/, v[70:71] /*v[326:327]*/, off
	global_load_b64 v[68:69] /*v[324:325]*/, v[72:73] /*v[328:329]*/, off
.LBB120_178:                            ;   in Loop: Header=BB120_145 Depth=1
	s_wait_xcnt 0x0
	s_or_b32 exec_lo, exec_lo, s13
	s_set_vgpr_msb 0x44                     ;  msbs: dst=1 src0=0 src1=1 src2=0
	v_add_nc_u64_e32 v[74:75] /*v[330:331]*/, 15, v[8:9] /*v[264:265]*/
	v_mov_b64_e32 v[70:71] /*v[326:327]*/, 0
	v_mov_b64_e32 v[72:73] /*v[328:329]*/, 0
	s_delay_alu instid0(VALU_DEP_3)
	v_cmp_gt_i64_e32 vcc_lo, s[4:5], v[74:75] /*v[330:331]*/
	v_mov_b64_e32 v[74:75] /*v[330:331]*/, 0
	s_and_saveexec_b32 s13, vcc_lo
	s_set_vgpr_msb 0                        ;  msbs: dst=0 src0=0 src1=0 src2=0
	s_cbranch_execz .LBB120_180
; %bb.179:                              ;   in Loop: Header=BB120_145 Depth=1
	s_set_vgpr_msb 64                       ;  msbs: dst=1 src0=0 src1=0 src2=0
	v_add_nc_u64_e32 v[76:77] /*v[332:333]*/, v[200:201], v[4:5]
	v_add_nc_u64_e32 v[78:79] /*v[334:335]*/, v[202:203], v[4:5]
	s_set_vgpr_msb 0x41                     ;  msbs: dst=1 src0=1 src1=0 src2=0
	global_load_b64 v[72:73] /*v[328:329]*/, v[76:77] /*v[332:333]*/, off
	global_load_b64 v[74:75] /*v[330:331]*/, v[78:79] /*v[334:335]*/, off
.LBB120_180:                            ;   in Loop: Header=BB120_145 Depth=1
	s_wait_xcnt 0x0
	s_or_b32 exec_lo, exec_lo, s13
	s_set_vgpr_msb 0x44                     ;  msbs: dst=1 src0=0 src1=1 src2=0
	v_add_nc_u64_e32 v[76:77] /*v[332:333]*/, 16, v[8:9] /*v[264:265]*/
	s_delay_alu instid0(VALU_DEP_1)
	v_cmp_gt_i64_e32 vcc_lo, s[4:5], v[76:77] /*v[332:333]*/
	v_mov_b64_e32 v[76:77] /*v[332:333]*/, 0
	s_and_saveexec_b32 s13, vcc_lo
	s_set_vgpr_msb 0                        ;  msbs: dst=0 src0=0 src1=0 src2=0
	s_cbranch_execz .LBB120_182
; %bb.181:                              ;   in Loop: Header=BB120_145 Depth=1
	s_set_vgpr_msb 64                       ;  msbs: dst=1 src0=0 src1=0 src2=0
	v_add_nc_u64_e32 v[78:79] /*v[334:335]*/, v[196:197], v[4:5]
	v_add_nc_u64_e32 v[80:81] /*v[336:337]*/, v[198:199], v[4:5]
	s_set_vgpr_msb 0x41                     ;  msbs: dst=1 src0=1 src1=0 src2=0
	global_load_b64 v[70:71] /*v[326:327]*/, v[78:79] /*v[334:335]*/, off
	global_load_b64 v[76:77] /*v[332:333]*/, v[80:81] /*v[336:337]*/, off
.LBB120_182:                            ;   in Loop: Header=BB120_145 Depth=1
	s_wait_xcnt 0x0
	s_or_b32 exec_lo, exec_lo, s13
	s_set_vgpr_msb 0x44                     ;  msbs: dst=1 src0=0 src1=1 src2=0
	v_add_nc_u64_e32 v[82:83] /*v[338:339]*/, 17, v[8:9] /*v[264:265]*/
	v_mov_b64_e32 v[78:79] /*v[334:335]*/, 0
	v_mov_b64_e32 v[80:81] /*v[336:337]*/, 0
	s_delay_alu instid0(VALU_DEP_3)
	v_cmp_gt_i64_e32 vcc_lo, s[4:5], v[82:83] /*v[338:339]*/
	v_mov_b64_e32 v[82:83] /*v[338:339]*/, 0
	s_and_saveexec_b32 s13, vcc_lo
	s_set_vgpr_msb 0                        ;  msbs: dst=0 src0=0 src1=0 src2=0
	s_cbranch_execz .LBB120_184
; %bb.183:                              ;   in Loop: Header=BB120_145 Depth=1
	s_set_vgpr_msb 64                       ;  msbs: dst=1 src0=0 src1=0 src2=0
	v_add_nc_u64_e32 v[84:85] /*v[340:341]*/, v[192:193], v[4:5]
	v_add_nc_u64_e32 v[86:87] /*v[342:343]*/, v[194:195], v[4:5]
	s_set_vgpr_msb 0x41                     ;  msbs: dst=1 src0=1 src1=0 src2=0
	global_load_b64 v[80:81] /*v[336:337]*/, v[84:85] /*v[340:341]*/, off
	global_load_b64 v[82:83] /*v[338:339]*/, v[86:87] /*v[342:343]*/, off
.LBB120_184:                            ;   in Loop: Header=BB120_145 Depth=1
	s_wait_xcnt 0x0
	s_or_b32 exec_lo, exec_lo, s13
	s_set_vgpr_msb 0x44                     ;  msbs: dst=1 src0=0 src1=1 src2=0
	v_add_nc_u64_e32 v[84:85] /*v[340:341]*/, 18, v[8:9] /*v[264:265]*/
	s_delay_alu instid0(VALU_DEP_1)
	v_cmp_gt_i64_e32 vcc_lo, s[4:5], v[84:85] /*v[340:341]*/
	v_mov_b64_e32 v[84:85] /*v[340:341]*/, 0
	s_and_saveexec_b32 s13, vcc_lo
	s_set_vgpr_msb 0                        ;  msbs: dst=0 src0=0 src1=0 src2=0
	s_cbranch_execz .LBB120_186
; %bb.185:                              ;   in Loop: Header=BB120_145 Depth=1
	s_set_vgpr_msb 64                       ;  msbs: dst=1 src0=0 src1=0 src2=0
	v_add_nc_u64_e32 v[86:87] /*v[342:343]*/, v[188:189], v[4:5]
	v_add_nc_u64_e32 v[88:89] /*v[344:345]*/, v[190:191], v[4:5]
	s_set_vgpr_msb 0x41                     ;  msbs: dst=1 src0=1 src1=0 src2=0
	global_load_b64 v[78:79] /*v[334:335]*/, v[86:87] /*v[342:343]*/, off
	global_load_b64 v[84:85] /*v[340:341]*/, v[88:89] /*v[344:345]*/, off
.LBB120_186:                            ;   in Loop: Header=BB120_145 Depth=1
	s_wait_xcnt 0x0
	s_or_b32 exec_lo, exec_lo, s13
	s_set_vgpr_msb 0x44                     ;  msbs: dst=1 src0=0 src1=1 src2=0
	v_add_nc_u64_e32 v[90:91] /*v[346:347]*/, 19, v[8:9] /*v[264:265]*/
	v_mov_b64_e32 v[86:87] /*v[342:343]*/, 0
	v_mov_b64_e32 v[88:89] /*v[344:345]*/, 0
	s_delay_alu instid0(VALU_DEP_3)
	v_cmp_gt_i64_e32 vcc_lo, s[4:5], v[90:91] /*v[346:347]*/
	v_mov_b64_e32 v[90:91] /*v[346:347]*/, 0
	s_and_saveexec_b32 s13, vcc_lo
	s_set_vgpr_msb 0                        ;  msbs: dst=0 src0=0 src1=0 src2=0
	s_cbranch_execz .LBB120_188
; %bb.187:                              ;   in Loop: Header=BB120_145 Depth=1
	s_set_vgpr_msb 64                       ;  msbs: dst=1 src0=0 src1=0 src2=0
	v_add_nc_u64_e32 v[92:93] /*v[348:349]*/, v[184:185], v[4:5]
	v_add_nc_u64_e32 v[94:95] /*v[350:351]*/, v[186:187], v[4:5]
	s_set_vgpr_msb 0x41                     ;  msbs: dst=1 src0=1 src1=0 src2=0
	global_load_b64 v[88:89] /*v[344:345]*/, v[92:93] /*v[348:349]*/, off
	global_load_b64 v[90:91] /*v[346:347]*/, v[94:95] /*v[350:351]*/, off
.LBB120_188:                            ;   in Loop: Header=BB120_145 Depth=1
	s_wait_xcnt 0x0
	s_or_b32 exec_lo, exec_lo, s13
	s_set_vgpr_msb 0x44                     ;  msbs: dst=1 src0=0 src1=1 src2=0
	v_add_nc_u64_e32 v[92:93] /*v[348:349]*/, 20, v[8:9] /*v[264:265]*/
	s_delay_alu instid0(VALU_DEP_1)
	v_cmp_gt_i64_e32 vcc_lo, s[4:5], v[92:93] /*v[348:349]*/
	v_mov_b64_e32 v[92:93] /*v[348:349]*/, 0
	s_and_saveexec_b32 s13, vcc_lo
	s_set_vgpr_msb 0                        ;  msbs: dst=0 src0=0 src1=0 src2=0
	s_cbranch_execz .LBB120_190
; %bb.189:                              ;   in Loop: Header=BB120_145 Depth=1
	s_set_vgpr_msb 64                       ;  msbs: dst=1 src0=0 src1=0 src2=0
	v_add_nc_u64_e32 v[94:95] /*v[350:351]*/, v[180:181], v[4:5]
	v_add_nc_u64_e32 v[96:97] /*v[352:353]*/, v[182:183], v[4:5]
	s_set_vgpr_msb 0x41                     ;  msbs: dst=1 src0=1 src1=0 src2=0
	global_load_b64 v[86:87] /*v[342:343]*/, v[94:95] /*v[350:351]*/, off
	global_load_b64 v[92:93] /*v[348:349]*/, v[96:97] /*v[352:353]*/, off
.LBB120_190:                            ;   in Loop: Header=BB120_145 Depth=1
	s_wait_xcnt 0x0
	s_or_b32 exec_lo, exec_lo, s13
	s_set_vgpr_msb 0x44                     ;  msbs: dst=1 src0=0 src1=1 src2=0
	v_add_nc_u64_e32 v[98:99] /*v[354:355]*/, 21, v[8:9] /*v[264:265]*/
	v_mov_b64_e32 v[94:95] /*v[350:351]*/, 0
	v_mov_b64_e32 v[96:97] /*v[352:353]*/, 0
	s_delay_alu instid0(VALU_DEP_3)
	v_cmp_gt_i64_e32 vcc_lo, s[4:5], v[98:99] /*v[354:355]*/
	v_mov_b64_e32 v[98:99] /*v[354:355]*/, 0
	s_and_saveexec_b32 s13, vcc_lo
	s_set_vgpr_msb 0                        ;  msbs: dst=0 src0=0 src1=0 src2=0
	s_cbranch_execz .LBB120_192
; %bb.191:                              ;   in Loop: Header=BB120_145 Depth=1
	s_set_vgpr_msb 64                       ;  msbs: dst=1 src0=0 src1=0 src2=0
	v_add_nc_u64_e32 v[100:101] /*v[356:357]*/, v[176:177], v[4:5]
	v_add_nc_u64_e32 v[102:103] /*v[358:359]*/, v[178:179], v[4:5]
	s_set_vgpr_msb 0x41                     ;  msbs: dst=1 src0=1 src1=0 src2=0
	global_load_b64 v[96:97] /*v[352:353]*/, v[100:101] /*v[356:357]*/, off
	global_load_b64 v[98:99] /*v[354:355]*/, v[102:103] /*v[358:359]*/, off
.LBB120_192:                            ;   in Loop: Header=BB120_145 Depth=1
	s_wait_xcnt 0x0
	s_or_b32 exec_lo, exec_lo, s13
	s_set_vgpr_msb 0x44                     ;  msbs: dst=1 src0=0 src1=1 src2=0
	v_add_nc_u64_e32 v[100:101] /*v[356:357]*/, 22, v[8:9] /*v[264:265]*/
	s_delay_alu instid0(VALU_DEP_1)
	v_cmp_gt_i64_e32 vcc_lo, s[4:5], v[100:101] /*v[356:357]*/
	v_mov_b64_e32 v[100:101] /*v[356:357]*/, 0
	s_and_saveexec_b32 s13, vcc_lo
	s_set_vgpr_msb 0                        ;  msbs: dst=0 src0=0 src1=0 src2=0
	s_cbranch_execz .LBB120_194
; %bb.193:                              ;   in Loop: Header=BB120_145 Depth=1
	s_set_vgpr_msb 64                       ;  msbs: dst=1 src0=0 src1=0 src2=0
	v_add_nc_u64_e32 v[102:103] /*v[358:359]*/, v[172:173], v[4:5]
	v_add_nc_u64_e32 v[104:105] /*v[360:361]*/, v[174:175], v[4:5]
	s_set_vgpr_msb 0x41                     ;  msbs: dst=1 src0=1 src1=0 src2=0
	global_load_b64 v[94:95] /*v[350:351]*/, v[102:103] /*v[358:359]*/, off
	global_load_b64 v[100:101] /*v[356:357]*/, v[104:105] /*v[360:361]*/, off
.LBB120_194:                            ;   in Loop: Header=BB120_145 Depth=1
	s_wait_xcnt 0x0
	s_or_b32 exec_lo, exec_lo, s13
	s_set_vgpr_msb 0x44                     ;  msbs: dst=1 src0=0 src1=1 src2=0
	v_add_nc_u64_e32 v[106:107] /*v[362:363]*/, 23, v[8:9] /*v[264:265]*/
	v_mov_b64_e32 v[102:103] /*v[358:359]*/, 0
	v_mov_b64_e32 v[104:105] /*v[360:361]*/, 0
	s_delay_alu instid0(VALU_DEP_3)
	v_cmp_gt_i64_e32 vcc_lo, s[4:5], v[106:107] /*v[362:363]*/
	v_mov_b64_e32 v[106:107] /*v[362:363]*/, 0
	s_and_saveexec_b32 s13, vcc_lo
	s_set_vgpr_msb 0                        ;  msbs: dst=0 src0=0 src1=0 src2=0
	s_cbranch_execz .LBB120_196
; %bb.195:                              ;   in Loop: Header=BB120_145 Depth=1
	s_set_vgpr_msb 64                       ;  msbs: dst=1 src0=0 src1=0 src2=0
	v_add_nc_u64_e32 v[108:109] /*v[364:365]*/, v[168:169], v[4:5]
	v_add_nc_u64_e32 v[110:111] /*v[366:367]*/, v[170:171], v[4:5]
	s_set_vgpr_msb 0x41                     ;  msbs: dst=1 src0=1 src1=0 src2=0
	global_load_b64 v[104:105] /*v[360:361]*/, v[108:109] /*v[364:365]*/, off
	global_load_b64 v[106:107] /*v[362:363]*/, v[110:111] /*v[366:367]*/, off
.LBB120_196:                            ;   in Loop: Header=BB120_145 Depth=1
	s_wait_xcnt 0x0
	s_or_b32 exec_lo, exec_lo, s13
	s_set_vgpr_msb 0x44                     ;  msbs: dst=1 src0=0 src1=1 src2=0
	v_add_nc_u64_e32 v[108:109] /*v[364:365]*/, 24, v[8:9] /*v[264:265]*/
	s_delay_alu instid0(VALU_DEP_1)
	v_cmp_gt_i64_e32 vcc_lo, s[4:5], v[108:109] /*v[364:365]*/
	v_mov_b64_e32 v[108:109] /*v[364:365]*/, 0
	s_and_saveexec_b32 s13, vcc_lo
	s_set_vgpr_msb 0                        ;  msbs: dst=0 src0=0 src1=0 src2=0
	s_cbranch_execz .LBB120_198
; %bb.197:                              ;   in Loop: Header=BB120_145 Depth=1
	s_set_vgpr_msb 64                       ;  msbs: dst=1 src0=0 src1=0 src2=0
	v_add_nc_u64_e32 v[110:111] /*v[366:367]*/, v[164:165], v[4:5]
	v_add_nc_u64_e32 v[112:113] /*v[368:369]*/, v[166:167], v[4:5]
	s_set_vgpr_msb 0x41                     ;  msbs: dst=1 src0=1 src1=0 src2=0
	global_load_b64 v[102:103] /*v[358:359]*/, v[110:111] /*v[366:367]*/, off
	global_load_b64 v[108:109] /*v[364:365]*/, v[112:113] /*v[368:369]*/, off
.LBB120_198:                            ;   in Loop: Header=BB120_145 Depth=1
	s_wait_xcnt 0x0
	s_or_b32 exec_lo, exec_lo, s13
	s_set_vgpr_msb 0x44                     ;  msbs: dst=1 src0=0 src1=1 src2=0
	v_add_nc_u64_e32 v[114:115] /*v[370:371]*/, 25, v[8:9] /*v[264:265]*/
	v_mov_b64_e32 v[110:111] /*v[366:367]*/, 0
	v_mov_b64_e32 v[112:113] /*v[368:369]*/, 0
	s_delay_alu instid0(VALU_DEP_3)
	v_cmp_gt_i64_e32 vcc_lo, s[4:5], v[114:115] /*v[370:371]*/
	v_mov_b64_e32 v[114:115] /*v[370:371]*/, 0
	s_and_saveexec_b32 s13, vcc_lo
	s_set_vgpr_msb 0                        ;  msbs: dst=0 src0=0 src1=0 src2=0
	s_cbranch_execz .LBB120_200
; %bb.199:                              ;   in Loop: Header=BB120_145 Depth=1
	s_set_vgpr_msb 64                       ;  msbs: dst=1 src0=0 src1=0 src2=0
	v_add_nc_u64_e32 v[116:117] /*v[372:373]*/, v[160:161], v[4:5]
	v_add_nc_u64_e32 v[118:119] /*v[374:375]*/, v[162:163], v[4:5]
	s_set_vgpr_msb 0x41                     ;  msbs: dst=1 src0=1 src1=0 src2=0
	global_load_b64 v[112:113] /*v[368:369]*/, v[116:117] /*v[372:373]*/, off
	global_load_b64 v[114:115] /*v[370:371]*/, v[118:119] /*v[374:375]*/, off
.LBB120_200:                            ;   in Loop: Header=BB120_145 Depth=1
	s_wait_xcnt 0x0
	s_or_b32 exec_lo, exec_lo, s13
	s_set_vgpr_msb 0x44                     ;  msbs: dst=1 src0=0 src1=1 src2=0
	v_add_nc_u64_e32 v[116:117] /*v[372:373]*/, 26, v[8:9] /*v[264:265]*/
	s_delay_alu instid0(VALU_DEP_1)
	v_cmp_gt_i64_e32 vcc_lo, s[4:5], v[116:117] /*v[372:373]*/
	v_mov_b64_e32 v[116:117] /*v[372:373]*/, 0
	s_and_saveexec_b32 s13, vcc_lo
	s_set_vgpr_msb 0                        ;  msbs: dst=0 src0=0 src1=0 src2=0
	s_cbranch_execz .LBB120_202
; %bb.201:                              ;   in Loop: Header=BB120_145 Depth=1
	s_set_vgpr_msb 64                       ;  msbs: dst=1 src0=0 src1=0 src2=0
	v_add_nc_u64_e32 v[118:119] /*v[374:375]*/, v[156:157], v[4:5]
	v_add_nc_u64_e32 v[120:121] /*v[376:377]*/, v[158:159], v[4:5]
	s_set_vgpr_msb 0x41                     ;  msbs: dst=1 src0=1 src1=0 src2=0
	global_load_b64 v[110:111] /*v[366:367]*/, v[118:119] /*v[374:375]*/, off
	global_load_b64 v[116:117] /*v[372:373]*/, v[120:121] /*v[376:377]*/, off
.LBB120_202:                            ;   in Loop: Header=BB120_145 Depth=1
	s_wait_xcnt 0x0
	s_or_b32 exec_lo, exec_lo, s13
	s_set_vgpr_msb 0x44                     ;  msbs: dst=1 src0=0 src1=1 src2=0
	v_add_nc_u64_e32 v[122:123] /*v[378:379]*/, 27, v[8:9] /*v[264:265]*/
	v_mov_b64_e32 v[118:119] /*v[374:375]*/, 0
	v_mov_b64_e32 v[120:121] /*v[376:377]*/, 0
	s_delay_alu instid0(VALU_DEP_3)
	v_cmp_gt_i64_e32 vcc_lo, s[4:5], v[122:123] /*v[378:379]*/
	v_mov_b64_e32 v[122:123] /*v[378:379]*/, 0
	s_and_saveexec_b32 s13, vcc_lo
	s_set_vgpr_msb 0                        ;  msbs: dst=0 src0=0 src1=0 src2=0
	s_cbranch_execz .LBB120_204
; %bb.203:                              ;   in Loop: Header=BB120_145 Depth=1
	s_set_vgpr_msb 64                       ;  msbs: dst=1 src0=0 src1=0 src2=0
	v_add_nc_u64_e32 v[124:125] /*v[380:381]*/, v[152:153], v[4:5]
	v_add_nc_u64_e32 v[126:127] /*v[382:383]*/, v[154:155], v[4:5]
	s_set_vgpr_msb 0x41                     ;  msbs: dst=1 src0=1 src1=0 src2=0
	global_load_b64 v[120:121] /*v[376:377]*/, v[124:125] /*v[380:381]*/, off
	global_load_b64 v[122:123] /*v[378:379]*/, v[126:127] /*v[382:383]*/, off
.LBB120_204:                            ;   in Loop: Header=BB120_145 Depth=1
	s_wait_xcnt 0x0
	s_or_b32 exec_lo, exec_lo, s13
	s_set_vgpr_msb 0x44                     ;  msbs: dst=1 src0=0 src1=1 src2=0
	v_add_nc_u64_e32 v[124:125] /*v[380:381]*/, 28, v[8:9] /*v[264:265]*/
	s_delay_alu instid0(VALU_DEP_1)
	v_cmp_gt_i64_e32 vcc_lo, s[4:5], v[124:125] /*v[380:381]*/
	v_mov_b64_e32 v[124:125] /*v[380:381]*/, 0
	s_and_saveexec_b32 s13, vcc_lo
	s_set_vgpr_msb 0                        ;  msbs: dst=0 src0=0 src1=0 src2=0
	s_cbranch_execz .LBB120_206
; %bb.205:                              ;   in Loop: Header=BB120_145 Depth=1
	s_set_vgpr_msb 64                       ;  msbs: dst=1 src0=0 src1=0 src2=0
	v_add_nc_u64_e32 v[126:127] /*v[382:383]*/, v[148:149], v[4:5]
	v_add_nc_u64_e32 v[128:129] /*v[384:385]*/, v[150:151], v[4:5]
	s_set_vgpr_msb 0x41                     ;  msbs: dst=1 src0=1 src1=0 src2=0
	global_load_b64 v[118:119] /*v[374:375]*/, v[126:127] /*v[382:383]*/, off
	global_load_b64 v[124:125] /*v[380:381]*/, v[128:129] /*v[384:385]*/, off
.LBB120_206:                            ;   in Loop: Header=BB120_145 Depth=1
	s_wait_xcnt 0x0
	s_or_b32 exec_lo, exec_lo, s13
	s_set_vgpr_msb 0x44                     ;  msbs: dst=1 src0=0 src1=1 src2=0
	v_add_nc_u64_e32 v[130:131] /*v[386:387]*/, 29, v[8:9] /*v[264:265]*/
	v_mov_b64_e32 v[126:127] /*v[382:383]*/, 0
	v_mov_b64_e32 v[128:129] /*v[384:385]*/, 0
	s_delay_alu instid0(VALU_DEP_3)
	v_cmp_gt_i64_e32 vcc_lo, s[4:5], v[130:131] /*v[386:387]*/
	v_mov_b64_e32 v[130:131] /*v[386:387]*/, 0
	s_and_saveexec_b32 s13, vcc_lo
	s_set_vgpr_msb 0                        ;  msbs: dst=0 src0=0 src1=0 src2=0
	s_cbranch_execz .LBB120_208
; %bb.207:                              ;   in Loop: Header=BB120_145 Depth=1
	s_set_vgpr_msb 64                       ;  msbs: dst=1 src0=0 src1=0 src2=0
	v_add_nc_u64_e32 v[132:133] /*v[388:389]*/, v[144:145], v[4:5]
	v_add_nc_u64_e32 v[134:135] /*v[390:391]*/, v[146:147], v[4:5]
	s_set_vgpr_msb 0x41                     ;  msbs: dst=1 src0=1 src1=0 src2=0
	global_load_b64 v[128:129] /*v[384:385]*/, v[132:133] /*v[388:389]*/, off
	global_load_b64 v[130:131] /*v[386:387]*/, v[134:135] /*v[390:391]*/, off
.LBB120_208:                            ;   in Loop: Header=BB120_145 Depth=1
	s_wait_xcnt 0x0
	s_or_b32 exec_lo, exec_lo, s13
	s_set_vgpr_msb 0x44                     ;  msbs: dst=1 src0=0 src1=1 src2=0
	v_add_nc_u64_e32 v[132:133] /*v[388:389]*/, 30, v[8:9] /*v[264:265]*/
	s_delay_alu instid0(VALU_DEP_1)
	v_cmp_gt_i64_e32 vcc_lo, s[4:5], v[132:133] /*v[388:389]*/
	v_mov_b64_e32 v[132:133] /*v[388:389]*/, 0
	s_and_saveexec_b32 s13, vcc_lo
	s_set_vgpr_msb 0                        ;  msbs: dst=0 src0=0 src1=0 src2=0
	s_cbranch_execz .LBB120_210
; %bb.209:                              ;   in Loop: Header=BB120_145 Depth=1
	s_set_vgpr_msb 64                       ;  msbs: dst=1 src0=0 src1=0 src2=0
	v_add_nc_u64_e32 v[134:135] /*v[390:391]*/, v[140:141], v[4:5]
	v_add_nc_u64_e32 v[138:139] /*v[394:395]*/, v[142:143], v[4:5]
	s_set_vgpr_msb 0x41                     ;  msbs: dst=1 src0=1 src1=0 src2=0
	global_load_b64 v[126:127] /*v[382:383]*/, v[134:135] /*v[390:391]*/, off
	global_load_b64 v[132:133] /*v[388:389]*/, v[138:139] /*v[394:395]*/, off
.LBB120_210:                            ;   in Loop: Header=BB120_145 Depth=1
	s_wait_xcnt 0x0
	s_or_b32 exec_lo, exec_lo, s13
	s_set_vgpr_msb 0x44                     ;  msbs: dst=1 src0=0 src1=1 src2=0
	v_add_nc_u64_e32 v[134:135] /*v[390:391]*/, 31, v[8:9] /*v[264:265]*/
	s_delay_alu instid0(VALU_DEP_1)
	v_cmp_gt_i64_e32 vcc_lo, s[4:5], v[134:135] /*v[390:391]*/
	v_mov_b64_e32 v[134:135] /*v[390:391]*/, 0
	s_and_saveexec_b32 s13, vcc_lo
	s_set_vgpr_msb 0                        ;  msbs: dst=0 src0=0 src1=0 src2=0
	s_cbranch_execz .LBB120_212
; %bb.211:                              ;   in Loop: Header=BB120_145 Depth=1
	s_set_vgpr_msb 64                       ;  msbs: dst=1 src0=0 src1=0 src2=0
	v_add_nc_u64_e32 v[134:135] /*v[390:391]*/, v[136:137], v[4:5]
	v_add_nc_u64_e32 v[138:139] /*v[394:395]*/, v[138:139], v[4:5]
	s_set_vgpr_msb 0x45                     ;  msbs: dst=1 src0=1 src1=1 src2=0
	global_load_b64 v[140:141] /*v[396:397]*/, v[134:135] /*v[390:391]*/, off
	global_load_b64 v[142:143] /*v[398:399]*/, v[138:139] /*v[394:395]*/, off
	s_wait_loadcnt 0x0
	v_mul_f64_e32 v[134:135] /*v[390:391]*/, v[140:141] /*v[396:397]*/, v[142:143] /*v[398:399]*/
.LBB120_212:                            ;   in Loop: Header=BB120_145 Depth=1
	s_or_b32 exec_lo, exec_lo, s13
	s_wait_loadcnt 0x0
	s_set_vgpr_msb 0x45                     ;  msbs: dst=1 src0=1 src1=1 src2=0
	v_mul_f64_e32 v[6:7] /*v[262:263]*/, v[6:7] /*v[262:263]*/, v[12:13] /*v[268:269]*/
	s_set_vgpr_msb 0x44                     ;  msbs: dst=1 src0=0 src1=1 src2=0
	ds_bpermute_b32 v12 /*v268*/, v3, v10 /*v266*/
	ds_bpermute_b32 v13 /*v269*/, v3, v11 /*v267*/
	s_set_vgpr_msb 0x55                     ;  msbs: dst=1 src0=1 src1=1 src2=1
	v_mul_f64_e32 v[16:17] /*v[272:273]*/, v[16:17] /*v[272:273]*/, v[18:19] /*v[274:275]*/
	v_mul_f64_e32 v[14:15] /*v[270:271]*/, v[14:15] /*v[270:271]*/, v[20:21] /*v[276:277]*/
	s_mov_b32 s13, 0
	s_wait_dscnt 0x0
	v_fma_f64 v[6:7] /*v[262:263]*/, v[6:7] /*v[262:263]*/, v[12:13] /*v[268:269]*/, v[4:5] /*v[260:261]*/
	s_set_vgpr_msb 0x44                     ;  msbs: dst=1 src0=0 src1=1 src2=0
	ds_bpermute_b32 v12 /*v268*/, v3, v10 /*v266*/ offset:4
	ds_bpermute_b32 v13 /*v269*/, v3, v11 /*v267*/ offset:4
	s_wait_dscnt 0x0
	s_set_vgpr_msb 0x45                     ;  msbs: dst=1 src0=1 src1=1 src2=0
	v_fmac_f64_e32 v[6:7] /*v[262:263]*/, v[16:17] /*v[272:273]*/, v[12:13] /*v[268:269]*/
	s_set_vgpr_msb 0x44                     ;  msbs: dst=1 src0=0 src1=1 src2=0
	ds_bpermute_b32 v12 /*v268*/, v3, v10 /*v266*/ offset:8
	ds_bpermute_b32 v13 /*v269*/, v3, v11 /*v267*/ offset:8
	s_set_vgpr_msb 0x45                     ;  msbs: dst=1 src0=1 src1=1 src2=0
	v_mul_f64_e32 v[16:17] /*v[272:273]*/, v[24:25] /*v[280:281]*/, v[26:27] /*v[282:283]*/
	s_wait_dscnt 0x0
	v_fmac_f64_e32 v[6:7] /*v[262:263]*/, v[14:15] /*v[270:271]*/, v[12:13] /*v[268:269]*/
	s_set_vgpr_msb 0x44                     ;  msbs: dst=1 src0=0 src1=1 src2=0
	ds_bpermute_b32 v12 /*v268*/, v3, v10 /*v266*/ offset:12
	ds_bpermute_b32 v13 /*v269*/, v3, v11 /*v267*/ offset:12
	s_set_vgpr_msb 0x45                     ;  msbs: dst=1 src0=1 src1=1 src2=0
	v_mul_f64_e32 v[14:15] /*v[270:271]*/, v[22:23] /*v[278:279]*/, v[28:29] /*v[284:285]*/
	s_wait_dscnt 0x0
	;; [unrolled: 7-line block ×27, first 2 shown]
	v_fmac_f64_e32 v[6:7] /*v[262:263]*/, v[14:15] /*v[270:271]*/, v[12:13] /*v[268:269]*/
	s_set_vgpr_msb 0x44                     ;  msbs: dst=1 src0=0 src1=1 src2=0
	ds_bpermute_b32 v12 /*v268*/, v3, v10 /*v266*/ offset:116
	ds_bpermute_b32 v13 /*v269*/, v3, v11 /*v267*/ offset:116
	;; [unrolled: 1-line block ×6, first 2 shown]
	s_wait_dscnt 0x4
	s_set_vgpr_msb 0x45                     ;  msbs: dst=1 src0=1 src1=1 src2=0
	v_fmac_f64_e32 v[6:7] /*v[262:263]*/, v[16:17] /*v[272:273]*/, v[12:13] /*v[268:269]*/
	v_mul_f64_e32 v[12:13] /*v[268:269]*/, v[126:127] /*v[382:383]*/, v[132:133] /*v[388:389]*/
	s_wait_dscnt 0x2
	s_delay_alu instid0(VALU_DEP_1) | instskip(SKIP_1) | instid1(VALU_DEP_1)
	v_fmac_f64_e32 v[6:7] /*v[262:263]*/, v[12:13] /*v[268:269]*/, v[14:15] /*v[270:271]*/
	s_wait_dscnt 0x0
	v_fmac_f64_e32 v[6:7] /*v[262:263]*/, v[134:135] /*v[390:391]*/, v[10:11] /*v[266:267]*/
.LBB120_213:                            ;   in Loop: Header=BB120_145 Depth=1
	s_and_b32 vcc_lo, exec_lo, s13
	s_set_vgpr_msb 0                        ;  msbs: dst=0 src0=0 src1=0 src2=0
	s_cbranch_vccz .LBB120_217
; %bb.214:                              ;   in Loop: Header=BB120_145 Depth=1
	s_load_b32 s13, s[8:9], 0x0
	s_set_vgpr_msb 64                       ;  msbs: dst=1 src0=0 src1=0 src2=0
	v_mov_b64_e32 v[6:7] /*v[262:263]*/, 0
	s_wait_kmcnt 0x0
	s_cmp_lt_u32 s12, s13
	s_cselect_b32 s18, 12, 18
	s_delay_alu instid0(SALU_CYCLE_1)
	s_add_nc_u64 s[26:27], s[8:9], s[18:19]
	s_load_u16 s13, s[26:27], 0x0
	s_wait_kmcnt 0x0
	s_set_vgpr_msb 1                        ;  msbs: dst=0 src0=1 src1=0 src2=0
	v_mad_u32_u24 v2, v136 /*v392*/, s13, v1
	s_mov_b32 s13, exec_lo
	s_delay_alu instid0(VALU_DEP_1) | instskip(SKIP_1) | instid1(VALU_DEP_1)
	v_and_b32_e32 v2, 31, v2
	s_set_vgpr_msb 0x41                     ;  msbs: dst=1 src0=1 src1=0 src2=0
	v_add_nc_u64_e32 v[8:9] /*v[264:265]*/, v[8:9] /*v[264:265]*/, v[2:3]
	s_set_vgpr_msb 4                        ;  msbs: dst=0 src0=0 src1=1 src2=0
	s_delay_alu instid0(VALU_DEP_1)
	v_cmpx_gt_i64_e64 s[4:5], v[8:9] /*v[264:265]*/
	s_set_vgpr_msb 0                        ;  msbs: dst=0 src0=0 src1=0 src2=0
	s_cbranch_execz .LBB120_216
; %bb.215:                              ;   in Loop: Header=BB120_145 Depth=1
	s_set_vgpr_msb 0x41                     ;  msbs: dst=1 src0=1 src1=0 src2=0
	v_lshl_add_u64 v[6:7] /*v[262:263]*/, v[8:9] /*v[264:265]*/, 3, s[14:15]
	global_load_b64 v[6:7] /*v[262:263]*/, v[6:7] /*v[262:263]*/, off
.LBB120_216:                            ;   in Loop: Header=BB120_145 Depth=1
	s_wait_xcnt 0x0
	s_or_b32 exec_lo, exec_lo, s13
	s_set_vgpr_msb 64                       ;  msbs: dst=1 src0=0 src1=0 src2=0
	v_add_nc_u64_e32 v[8:9] /*v[264:265]*/, v[132:133], v[4:5]
	v_add_nc_u64_e32 v[10:11] /*v[266:267]*/, v[134:135], v[4:5]
	s_set_vgpr_msb 0x41                     ;  msbs: dst=1 src0=1 src1=0 src2=0
	global_load_b64 v[12:13] /*v[268:269]*/, v[8:9] /*v[264:265]*/, off
	global_load_b64 v[14:15] /*v[270:271]*/, v[10:11] /*v[266:267]*/, off
	s_wait_xcnt 0x1
	s_set_vgpr_msb 64                       ;  msbs: dst=1 src0=0 src1=0 src2=0
	v_add_nc_u64_e32 v[8:9] /*v[264:265]*/, v[6:7], v[4:5]
	s_wait_xcnt 0x0
	v_add_nc_u64_e32 v[10:11] /*v[266:267]*/, v[22:23], v[4:5]
	s_set_vgpr_msb 0x41                     ;  msbs: dst=1 src0=1 src1=0 src2=0
	global_load_b64 v[16:17] /*v[272:273]*/, v[8:9] /*v[264:265]*/, off
	global_load_b64 v[18:19] /*v[274:275]*/, v[10:11] /*v[266:267]*/, off
	s_wait_xcnt 0x1
	s_set_vgpr_msb 64                       ;  msbs: dst=1 src0=0 src1=0 src2=0
	v_add_nc_u64_e32 v[8:9] /*v[264:265]*/, v[8:9], v[4:5]
	s_wait_xcnt 0x0
	;; [unrolled: 8-line block ×10, first 2 shown]
	v_add_nc_u64_e32 v[10:11] /*v[266:267]*/, v[46:47], v[4:5]
	s_set_vgpr_msb 0x41                     ;  msbs: dst=1 src0=1 src1=0 src2=0
	global_load_b64 v[52:53] /*v[308:309]*/, v[8:9] /*v[264:265]*/, off
	global_load_b64 v[54:55] /*v[310:311]*/, v[10:11] /*v[266:267]*/, off
	s_wait_loadcnt 0x16
	s_wait_xcnt 0x0
	s_set_vgpr_msb 0x44                     ;  msbs: dst=1 src0=0 src1=1 src2=0
	ds_bpermute_b32 v10 /*v266*/, v3, v6 /*v262*/
	ds_bpermute_b32 v11 /*v267*/, v3, v7 /*v263*/
	s_wait_loadcnt 0x14
	s_set_vgpr_msb 0x45                     ;  msbs: dst=1 src0=1 src1=1 src2=0
	v_mul_f64_e32 v[8:9] /*v[264:265]*/, v[12:13] /*v[268:269]*/, v[14:15] /*v[270:271]*/
	s_set_vgpr_msb 64                       ;  msbs: dst=1 src0=0 src1=0 src2=0
	v_add_nc_u64_e32 v[12:13] /*v[268:269]*/, v[44:45], v[4:5]
	v_add_nc_u64_e32 v[14:15] /*v[270:271]*/, v[48:49], v[4:5]
	s_set_vgpr_msb 0x45                     ;  msbs: dst=1 src0=1 src1=1 src2=0
	global_load_b64 v[56:57] /*v[312:313]*/, v[12:13] /*v[268:269]*/, off
	global_load_b64 v[58:59] /*v[314:315]*/, v[14:15] /*v[270:271]*/, off
	s_wait_loadcnt 0x14
	s_wait_xcnt 0x1
	v_mul_f64_e32 v[12:13] /*v[268:269]*/, v[16:17] /*v[272:273]*/, v[18:19] /*v[274:275]*/
	s_wait_xcnt 0x0
	s_set_vgpr_msb 64                       ;  msbs: dst=1 src0=0 src1=0 src2=0
	v_add_nc_u64_e32 v[14:15] /*v[270:271]*/, v[52:53], v[4:5]
	s_wait_dscnt 0x0
	s_set_vgpr_msb 0x45                     ;  msbs: dst=1 src0=1 src1=1 src2=0
	v_fmac_f64_e32 v[4:5] /*v[260:261]*/, v[8:9] /*v[264:265]*/, v[10:11] /*v[266:267]*/
	s_set_vgpr_msb 0x44                     ;  msbs: dst=1 src0=0 src1=1 src2=0
	ds_bpermute_b32 v8 /*v264*/, v3, v6 /*v262*/ offset:4
	ds_bpermute_b32 v9 /*v265*/, v3, v7 /*v263*/ offset:4
	s_set_vgpr_msb 64                       ;  msbs: dst=1 src0=0 src1=0 src2=0
	v_add_nc_u64_e32 v[10:11] /*v[266:267]*/, v[50:51], v[4:5]
	s_set_vgpr_msb 0x45                     ;  msbs: dst=1 src0=1 src1=1 src2=0
	global_load_b64 v[16:17] /*v[272:273]*/, v[10:11] /*v[266:267]*/, off
	global_load_b64 v[18:19] /*v[274:275]*/, v[14:15] /*v[270:271]*/, off
	s_wait_loadcnt 0x14
	s_wait_xcnt 0x1
	v_mul_f64_e32 v[10:11] /*v[266:267]*/, v[20:21] /*v[276:277]*/, v[22:23] /*v[278:279]*/
	s_wait_xcnt 0x0
	s_set_vgpr_msb 64                       ;  msbs: dst=1 src0=0 src1=0 src2=0
	v_add_nc_u64_e32 v[14:15] /*v[270:271]*/, v[56:57], v[4:5]
	s_wait_dscnt 0x0
	s_set_vgpr_msb 0x45                     ;  msbs: dst=1 src0=1 src1=1 src2=0
	v_fmac_f64_e32 v[4:5] /*v[260:261]*/, v[12:13] /*v[268:269]*/, v[8:9] /*v[264:265]*/
	s_set_vgpr_msb 0x44                     ;  msbs: dst=1 src0=0 src1=1 src2=0
	ds_bpermute_b32 v8 /*v264*/, v3, v6 /*v262*/ offset:8
	ds_bpermute_b32 v9 /*v265*/, v3, v7 /*v263*/ offset:8
	s_set_vgpr_msb 64                       ;  msbs: dst=1 src0=0 src1=0 src2=0
	;; [unrolled: 17-line block ×20, first 2 shown]
	v_add_nc_u64_e32 v[12:13] /*v[268:269]*/, v[128:129], v[4:5]
	s_set_vgpr_msb 0x45                     ;  msbs: dst=1 src0=1 src1=1 src2=0
	global_load_b64 v[12:13] /*v[268:269]*/, v[12:13] /*v[268:269]*/, off
	s_wait_loadcnt 0x13
	v_mul_f64_e32 v[48:49] /*v[304:305]*/, v[52:53] /*v[308:309]*/, v[54:55] /*v[310:311]*/
	s_wait_dscnt 0x0
	v_fmac_f64_e32 v[4:5] /*v[260:261]*/, v[10:11] /*v[266:267]*/, v[8:9] /*v[264:265]*/
	global_load_b64 v[8:9] /*v[264:265]*/, v[14:15] /*v[270:271]*/, off
	s_set_vgpr_msb 0x44                     ;  msbs: dst=1 src0=0 src1=1 src2=0
	ds_bpermute_b32 v10 /*v266*/, v3, v6 /*v262*/ offset:84
	ds_bpermute_b32 v11 /*v267*/, v3, v7 /*v263*/ offset:84
	s_wait_loadcnt 0x12
	s_wait_xcnt 0x0
	s_set_vgpr_msb 0x45                     ;  msbs: dst=1 src0=1 src1=1 src2=0
	v_mul_f64_e32 v[14:15] /*v[270:271]*/, v[56:57] /*v[312:313]*/, v[58:59] /*v[314:315]*/
	s_wait_dscnt 0x0
	v_fmac_f64_e32 v[4:5] /*v[260:261]*/, v[48:49] /*v[304:305]*/, v[10:11] /*v[266:267]*/
	s_set_vgpr_msb 0x44                     ;  msbs: dst=1 src0=0 src1=1 src2=0
	ds_bpermute_b32 v10 /*v266*/, v3, v6 /*v262*/ offset:88
	ds_bpermute_b32 v11 /*v267*/, v3, v7 /*v263*/ offset:88
	s_wait_loadcnt 0x10
	s_set_vgpr_msb 0x45                     ;  msbs: dst=1 src0=1 src1=1 src2=0
	v_mul_f64_e32 v[16:17] /*v[272:273]*/, v[16:17] /*v[272:273]*/, v[18:19] /*v[274:275]*/
	s_wait_dscnt 0x0
	v_fmac_f64_e32 v[4:5] /*v[260:261]*/, v[14:15] /*v[270:271]*/, v[10:11] /*v[266:267]*/
	s_set_vgpr_msb 0x44                     ;  msbs: dst=1 src0=0 src1=1 src2=0
	ds_bpermute_b32 v10 /*v266*/, v3, v6 /*v262*/ offset:92
	ds_bpermute_b32 v11 /*v267*/, v3, v7 /*v263*/ offset:92
	s_wait_loadcnt 0xe
	;; [unrolled: 8-line block ×8, first 2 shown]
	s_set_vgpr_msb 0x45                     ;  msbs: dst=1 src0=1 src1=1 src2=0
	v_mul_f64_e32 v[14:15] /*v[270:271]*/, v[44:45] /*v[300:301]*/, v[46:47] /*v[302:303]*/
	s_wait_dscnt 0x0
	v_fmac_f64_e32 v[4:5] /*v[260:261]*/, v[16:17] /*v[272:273]*/, v[10:11] /*v[266:267]*/
	s_set_vgpr_msb 0x44                     ;  msbs: dst=1 src0=0 src1=1 src2=0
	ds_bpermute_b32 v10 /*v266*/, v3, v6 /*v262*/ offset:120
	ds_bpermute_b32 v11 /*v267*/, v3, v7 /*v263*/ offset:120
	;; [unrolled: 1-line block ×4, first 2 shown]
	s_wait_dscnt 0x2
	s_set_vgpr_msb 0x45                     ;  msbs: dst=1 src0=1 src1=1 src2=0
	v_fmac_f64_e32 v[4:5] /*v[260:261]*/, v[14:15] /*v[270:271]*/, v[10:11] /*v[266:267]*/
	s_wait_loadcnt 0x0
	v_mul_f64_e32 v[8:9] /*v[264:265]*/, v[12:13] /*v[268:269]*/, v[8:9] /*v[264:265]*/
	s_wait_dscnt 0x0
	s_delay_alu instid0(VALU_DEP_1) | instskip(NEXT) | instid1(VALU_DEP_1)
	v_fmac_f64_e32 v[4:5] /*v[260:261]*/, v[8:9] /*v[264:265]*/, v[6:7] /*v[262:263]*/
	v_mov_b64_e32 v[6:7] /*v[262:263]*/, v[4:5] /*v[260:261]*/
.LBB120_217:                            ;   in Loop: Header=BB120_145 Depth=1
	s_add_nc_u64 s[24:25], s[24:25], s[20:21]
	s_set_vgpr_msb 0                        ;  msbs: dst=0 src0=0 src1=0 src2=0
	v_add_nc_u64_e32 v[132:133], s[10:11], v[132:133]
	v_cmp_ge_i64_e64 s13, s[24:25], s[4:5]
	v_add_nc_u64_e32 v[134:135], s[10:11], v[134:135]
	v_add_nc_u64_e32 v[6:7], s[10:11], v[6:7]
	;; [unrolled: 1-line block ×124, first 2 shown]
	s_set_vgpr_msb 0x44                     ;  msbs: dst=1 src0=0 src1=1 src2=0
	v_add_nc_u64_e32 v[0:1] /*v[256:257]*/, s[10:11], v[0:1] /*v[256:257]*/
	v_add_nc_u64_e32 v[2:3] /*v[258:259]*/, s[10:11], v[2:3] /*v[258:259]*/
	s_and_b32 vcc_lo, exec_lo, s13
	s_add_nc_u64 s[22:23], s[22:23], s[20:21]
	s_set_vgpr_msb 0                        ;  msbs: dst=0 src0=0 src1=0 src2=0
	s_cbranch_vccnz .LBB120_219
; %bb.218:                              ;   in Loop: Header=BB120_145 Depth=1
	s_set_vgpr_msb 0x41                     ;  msbs: dst=1 src0=1 src1=0 src2=0
	v_mov_b64_e32 v[4:5] /*v[260:261]*/, v[6:7] /*v[262:263]*/
	s_set_vgpr_msb 0                        ;  msbs: dst=0 src0=0 src1=0 src2=0
	s_branch .LBB120_145
.LBB120_219:
	s_mov_b32 s13, 0
	s_delay_alu instid0(SALU_CYCLE_1)
	s_lshl_b64 s[4:5], s[12:13], 6
	s_wait_kmcnt 0x0
	s_cmp_lg_u64 s[2:3], 0
	v_and_or_b32 v2, 0x3ff, v0, s4
	v_mov_b32_e32 v3, s5
	s_cselect_b32 s4, -1, 0
	s_delay_alu instid0(VALU_DEP_1) | instskip(SKIP_1) | instid1(SALU_CYCLE_1)
	v_cmp_gt_i64_e32 vcc_lo, s[6:7], v[2:3]
	s_and_b32 s4, vcc_lo, s4
	s_and_saveexec_b32 s5, s4
	s_cbranch_execz .LBB120_221
; %bb.220:
	s_load_u16 s0, s[0:1], 0x4e
	v_bfe_u32 v0, v0, 10, 10
	v_mov_b32_e32 v1, 0
	s_wait_kmcnt 0x0
	s_delay_alu instid0(VALU_DEP_1) | instskip(NEXT) | instid1(VALU_DEP_1)
	v_mad_nc_u64_u32 v[0:1], s0, s30, v[0:1]
	v_mul_u64_e32 v[0:1], s[6:7], v[0:1]
	s_delay_alu instid0(VALU_DEP_1) | instskip(NEXT) | instid1(VALU_DEP_1)
	v_lshl_add_u64 v[0:1], v[0:1], 3, s[2:3]
	v_lshl_add_u64 v[0:1], v[2:3], 3, v[0:1]
	s_set_vgpr_msb 4                        ;  msbs: dst=0 src0=0 src1=1 src2=0
	global_store_b64 v[0:1], v[6:7] /*v[262:263]*/, off
.LBB120_221:
	s_sendmsg sendmsg(MSG_DEALLOC_VGPRS)
	s_endpgm
	.section	.rodata,"a",@progbits
	.p2align	6, 0x0
	.amdhsa_kernel _ZN2at6native12_GLOBAL__N_135GammaBetaBackwardCUDAKernelTemplateIddLj64ELj1ELj32ELb1ELb0ELb1EEEvllPKT_S5_PKT0_S8_PS3_S9_
		.amdhsa_group_segment_fixed_size 0
		.amdhsa_private_segment_fixed_size 0
		.amdhsa_kernarg_size 320
		.amdhsa_user_sgpr_count 2
		.amdhsa_user_sgpr_dispatch_ptr 0
		.amdhsa_user_sgpr_queue_ptr 0
		.amdhsa_user_sgpr_kernarg_segment_ptr 1
		.amdhsa_user_sgpr_dispatch_id 0
		.amdhsa_user_sgpr_kernarg_preload_length 0
		.amdhsa_user_sgpr_kernarg_preload_offset 0
		.amdhsa_user_sgpr_private_segment_size 0
		.amdhsa_wavefront_size32 1
		.amdhsa_uses_dynamic_stack 0
		.amdhsa_enable_private_segment 0
		.amdhsa_system_sgpr_workgroup_id_x 1
		.amdhsa_system_sgpr_workgroup_id_y 1
		.amdhsa_system_sgpr_workgroup_id_z 0
		.amdhsa_system_sgpr_workgroup_info 0
		.amdhsa_system_vgpr_workitem_id 1
		.amdhsa_next_free_vgpr 400
		.amdhsa_next_free_sgpr 36
		.amdhsa_named_barrier_count 0
		.amdhsa_reserve_vcc 1
		.amdhsa_float_round_mode_32 0
		.amdhsa_float_round_mode_16_64 0
		.amdhsa_float_denorm_mode_32 3
		.amdhsa_float_denorm_mode_16_64 3
		.amdhsa_fp16_overflow 0
		.amdhsa_memory_ordered 1
		.amdhsa_forward_progress 1
		.amdhsa_inst_pref_size 142
		.amdhsa_round_robin_scheduling 0
		.amdhsa_exception_fp_ieee_invalid_op 0
		.amdhsa_exception_fp_denorm_src 0
		.amdhsa_exception_fp_ieee_div_zero 0
		.amdhsa_exception_fp_ieee_overflow 0
		.amdhsa_exception_fp_ieee_underflow 0
		.amdhsa_exception_fp_ieee_inexact 0
		.amdhsa_exception_int_div_zero 0
	.end_amdhsa_kernel
	.section	.text._ZN2at6native12_GLOBAL__N_135GammaBetaBackwardCUDAKernelTemplateIddLj64ELj1ELj32ELb1ELb0ELb1EEEvllPKT_S5_PKT0_S8_PS3_S9_,"axG",@progbits,_ZN2at6native12_GLOBAL__N_135GammaBetaBackwardCUDAKernelTemplateIddLj64ELj1ELj32ELb1ELb0ELb1EEEvllPKT_S5_PKT0_S8_PS3_S9_,comdat
.Lfunc_end120:
	.size	_ZN2at6native12_GLOBAL__N_135GammaBetaBackwardCUDAKernelTemplateIddLj64ELj1ELj32ELb1ELb0ELb1EEEvllPKT_S5_PKT0_S8_PS3_S9_, .Lfunc_end120-_ZN2at6native12_GLOBAL__N_135GammaBetaBackwardCUDAKernelTemplateIddLj64ELj1ELj32ELb1ELb0ELb1EEEvllPKT_S5_PKT0_S8_PS3_S9_
                                        ; -- End function
	.set _ZN2at6native12_GLOBAL__N_135GammaBetaBackwardCUDAKernelTemplateIddLj64ELj1ELj32ELb1ELb0ELb1EEEvllPKT_S5_PKT0_S8_PS3_S9_.num_vgpr, 400
	.set _ZN2at6native12_GLOBAL__N_135GammaBetaBackwardCUDAKernelTemplateIddLj64ELj1ELj32ELb1ELb0ELb1EEEvllPKT_S5_PKT0_S8_PS3_S9_.num_agpr, 0
	.set _ZN2at6native12_GLOBAL__N_135GammaBetaBackwardCUDAKernelTemplateIddLj64ELj1ELj32ELb1ELb0ELb1EEEvllPKT_S5_PKT0_S8_PS3_S9_.numbered_sgpr, 36
	.set _ZN2at6native12_GLOBAL__N_135GammaBetaBackwardCUDAKernelTemplateIddLj64ELj1ELj32ELb1ELb0ELb1EEEvllPKT_S5_PKT0_S8_PS3_S9_.num_named_barrier, 0
	.set _ZN2at6native12_GLOBAL__N_135GammaBetaBackwardCUDAKernelTemplateIddLj64ELj1ELj32ELb1ELb0ELb1EEEvllPKT_S5_PKT0_S8_PS3_S9_.private_seg_size, 0
	.set _ZN2at6native12_GLOBAL__N_135GammaBetaBackwardCUDAKernelTemplateIddLj64ELj1ELj32ELb1ELb0ELb1EEEvllPKT_S5_PKT0_S8_PS3_S9_.uses_vcc, 1
	.set _ZN2at6native12_GLOBAL__N_135GammaBetaBackwardCUDAKernelTemplateIddLj64ELj1ELj32ELb1ELb0ELb1EEEvllPKT_S5_PKT0_S8_PS3_S9_.uses_flat_scratch, 0
	.set _ZN2at6native12_GLOBAL__N_135GammaBetaBackwardCUDAKernelTemplateIddLj64ELj1ELj32ELb1ELb0ELb1EEEvllPKT_S5_PKT0_S8_PS3_S9_.has_dyn_sized_stack, 0
	.set _ZN2at6native12_GLOBAL__N_135GammaBetaBackwardCUDAKernelTemplateIddLj64ELj1ELj32ELb1ELb0ELb1EEEvllPKT_S5_PKT0_S8_PS3_S9_.has_recursion, 0
	.set _ZN2at6native12_GLOBAL__N_135GammaBetaBackwardCUDAKernelTemplateIddLj64ELj1ELj32ELb1ELb0ELb1EEEvllPKT_S5_PKT0_S8_PS3_S9_.has_indirect_call, 0
	.section	.AMDGPU.csdata,"",@progbits
; Kernel info:
; codeLenInByte = 18160
; TotalNumSgprs: 38
; NumVgprs: 400
; ScratchSize: 0
; MemoryBound: 1
; FloatMode: 240
; IeeeMode: 1
; LDSByteSize: 0 bytes/workgroup (compile time only)
; SGPRBlocks: 0
; VGPRBlocks: 24
; NumSGPRsForWavesPerEU: 38
; NumVGPRsForWavesPerEU: 400
; NamedBarCnt: 0
; Occupancy: 2
; WaveLimiterHint : 0
; COMPUTE_PGM_RSRC2:SCRATCH_EN: 0
; COMPUTE_PGM_RSRC2:USER_SGPR: 2
; COMPUTE_PGM_RSRC2:TRAP_HANDLER: 0
; COMPUTE_PGM_RSRC2:TGID_X_EN: 1
; COMPUTE_PGM_RSRC2:TGID_Y_EN: 1
; COMPUTE_PGM_RSRC2:TGID_Z_EN: 0
; COMPUTE_PGM_RSRC2:TIDIG_COMP_CNT: 1
	.section	.text._ZN2at6native12_GLOBAL__N_135GammaBetaBackwardCUDAKernelTemplateIddLj64ELj1ELj8ELb1ELb1ELb1EEEvllPKT_S5_PKT0_S8_PS3_S9_,"axG",@progbits,_ZN2at6native12_GLOBAL__N_135GammaBetaBackwardCUDAKernelTemplateIddLj64ELj1ELj8ELb1ELb1ELb1EEEvllPKT_S5_PKT0_S8_PS3_S9_,comdat
	.globl	_ZN2at6native12_GLOBAL__N_135GammaBetaBackwardCUDAKernelTemplateIddLj64ELj1ELj8ELb1ELb1ELb1EEEvllPKT_S5_PKT0_S8_PS3_S9_ ; -- Begin function _ZN2at6native12_GLOBAL__N_135GammaBetaBackwardCUDAKernelTemplateIddLj64ELj1ELj8ELb1ELb1ELb1EEEvllPKT_S5_PKT0_S8_PS3_S9_
	.p2align	8
	.type	_ZN2at6native12_GLOBAL__N_135GammaBetaBackwardCUDAKernelTemplateIddLj64ELj1ELj8ELb1ELb1ELb1EEEvllPKT_S5_PKT0_S8_PS3_S9_,@function
_ZN2at6native12_GLOBAL__N_135GammaBetaBackwardCUDAKernelTemplateIddLj64ELj1ELj8ELb1ELb1ELb1EEEvllPKT_S5_PKT0_S8_PS3_S9_: ; @_ZN2at6native12_GLOBAL__N_135GammaBetaBackwardCUDAKernelTemplateIddLj64ELj1ELj8ELb1ELb1ELb1EEEvllPKT_S5_PKT0_S8_PS3_S9_
; %bb.0:
	s_load_b128 s[4:7], s[0:1], 0x0
	s_bfe_u32 s2, ttmp6, 0x40010
	s_bfe_u32 s3, ttmp6, 0x40004
	s_add_co_i32 s2, s2, 1
	s_getreg_b32 s22, hwreg(HW_REG_IB_STS2, 6, 4)
	s_mul_i32 s2, ttmp7, s2
	s_mov_b32 s13, 0
	s_add_co_i32 s3, s3, s2
	s_cmp_eq_u32 s22, 0
	v_mov_b64_e32 v[4:5], 0
	s_cselect_b32 s23, ttmp7, s3
	v_bfe_u32 v2, v0, 10, 10
	s_lshl_b32 s12, s23, 3
	v_and_b32_e32 v14, 0x3ff, v0
	s_wait_kmcnt 0x0
	v_cmp_le_i64_e64 s2, s[4:5], s[12:13]
	s_and_b32 vcc_lo, exec_lo, s2
	s_cbranch_vccnz .LBB121_7
; %bb.1:
	v_dual_mov_b32 v1, 0 :: v_dual_lshlrev_b32 v0, 3, v2
	s_load_b32 s2, s[0:1], 0x4c
	s_bfe_u32 s15, ttmp6, 0x4000c
	s_clause 0x2
	s_load_b32 s3, s[0:1], 0x44
	s_load_b128 s[8:11], s[0:1], 0x10
	s_load_b64 s[16:17], s[0:1], 0x28
	s_add_co_i32 s15, s15, 1
	v_add_nc_u64_e32 v[4:5], s[12:13], v[0:1]
	s_and_b32 s14, ttmp6, 15
	s_mul_i32 s15, ttmp9, s15
	v_dual_mov_b32 v15, 12 :: v_dual_mov_b32 v9, v1
	s_add_co_i32 s14, s14, s15
	s_mov_b32 s15, s13
	s_delay_alu instid0(VALU_DEP_2)
	v_mul_u64_e32 v[10:11], s[6:7], v[4:5]
	v_dual_mov_b32 v0, 8 :: v_dual_mov_b32 v3, 4
	v_dual_mov_b32 v16, 16 :: v_dual_mov_b32 v17, 20
	;; [unrolled: 1-line block ×3, first 2 shown]
	s_wait_kmcnt 0x0
	s_and_b32 s2, s2, 0xffff
	s_cmp_eq_u32 s22, 0
	v_mad_u32_u24 v6, v2, s2, v14
	s_cselect_b32 s2, ttmp9, s14
	v_mov_b32_e32 v13, v1
	v_lshl_or_b32 v12, s2, 6, v14
	s_lshl_b32 s14, s3, 3
	v_and_b32_e32 v8, 31, v6
	s_mul_u64 s[18:19], s[6:7], s[14:15]
	s_lshl_b64 s[20:21], s[6:7], 3
	v_lshlrev_b64_e32 v[12:13], 3, v[12:13]
	s_lshl_b64 s[18:19], s[18:19], 3
	v_add_nc_u64_e32 v[6:7], v[4:5], v[8:9]
	v_mov_b64_e32 v[4:5], 0
	v_cmp_gt_u32_e64 s2, 8, v8
	s_delay_alu instid0(VALU_DEP_3)
	v_lshl_add_u64 v[8:9], v[6:7], 3, s[16:17]
	s_lshl_b64 s[16:17], s[14:15], 3
	v_lshl_add_u64 v[10:11], v[10:11], 3, v[12:13]
	s_branch .LBB121_4
.LBB121_2:                              ;   in Loop: Header=BB121_4 Depth=1
	s_wait_xcnt 0x0
	s_or_b32 exec_lo, exec_lo, s24
.LBB121_3:                              ;   in Loop: Header=BB121_4 Depth=1
	s_delay_alu instid0(SALU_CYCLE_1)
	s_or_b32 exec_lo, exec_lo, s3
	v_add_nc_u64_e32 v[20:21], s[8:9], v[10:11]
	v_add_nc_u64_e32 v[22:23], s[10:11], v[10:11]
	s_add_nc_u64 s[12:13], s[12:13], s[14:15]
	v_add_nc_u64_e32 v[8:9], s[16:17], v[8:9]
	v_cmp_lt_i64_e64 s3, s[12:13], s[4:5]
	v_add_nc_u64_e32 v[6:7], s[14:15], v[6:7]
	v_add_nc_u64_e32 v[10:11], s[18:19], v[10:11]
	global_load_b64 v[24:25], v[20:21], off
	global_load_b64 v[26:27], v[22:23], off
	s_wait_xcnt 0x1
	v_add_nc_u64_e32 v[20:21], s[20:21], v[20:21]
	s_wait_xcnt 0x0
	v_add_nc_u64_e32 v[22:23], s[20:21], v[22:23]
	global_load_b64 v[28:29], v[20:21], off
	global_load_b64 v[30:31], v[22:23], off
	s_wait_xcnt 0x1
	v_add_nc_u64_e32 v[20:21], s[20:21], v[20:21]
	s_wait_xcnt 0x0
	v_add_nc_u64_e32 v[22:23], s[20:21], v[22:23]
	s_and_b32 vcc_lo, exec_lo, s3
	global_load_b64 v[32:33], v[20:21], off
	global_load_b64 v[34:35], v[22:23], off
	s_wait_xcnt 0x1
	v_add_nc_u64_e32 v[20:21], s[20:21], v[20:21]
	s_wait_xcnt 0x0
	v_add_nc_u64_e32 v[22:23], s[20:21], v[22:23]
	global_load_b64 v[36:37], v[20:21], off
	global_load_b64 v[38:39], v[22:23], off
	s_wait_xcnt 0x1
	v_add_nc_u64_e32 v[20:21], s[20:21], v[20:21]
	s_wait_xcnt 0x0
	v_add_nc_u64_e32 v[22:23], s[20:21], v[22:23]
	global_load_b64 v[40:41], v[20:21], off
	global_load_b64 v[42:43], v[22:23], off
	s_wait_xcnt 0x1
	v_add_nc_u64_e32 v[20:21], s[20:21], v[20:21]
	s_wait_xcnt 0x0
	v_add_nc_u64_e32 v[22:23], s[20:21], v[22:23]
	global_load_b64 v[44:45], v[20:21], off
	global_load_b64 v[46:47], v[22:23], off
	s_wait_xcnt 0x1
	v_add_nc_u64_e32 v[20:21], s[20:21], v[20:21]
	s_wait_xcnt 0x0
	v_add_nc_u64_e32 v[22:23], s[20:21], v[22:23]
	global_load_b64 v[48:49], v[20:21], off
	global_load_b64 v[50:51], v[22:23], off
	s_wait_xcnt 0x1
	v_add_nc_u64_e32 v[20:21], s[20:21], v[20:21]
	s_wait_xcnt 0x0
	v_add_nc_u64_e32 v[22:23], s[20:21], v[22:23]
	global_load_b64 v[52:53], v[20:21], off
	global_load_b64 v[54:55], v[22:23], off
	s_wait_loadcnt 0x10
	s_wait_xcnt 0x0
	ds_bpermute_b32 v22, v1, v12
	ds_bpermute_b32 v23, v1, v13
	s_wait_loadcnt 0xe
	v_mul_f64_e32 v[20:21], v[24:25], v[26:27]
	s_wait_loadcnt 0xc
	v_mul_f64_e32 v[24:25], v[28:29], v[30:31]
	s_wait_dscnt 0x0
	s_delay_alu instid0(VALU_DEP_2)
	v_fmac_f64_e32 v[4:5], v[20:21], v[22:23]
	ds_bpermute_b32 v20, v3, v12
	ds_bpermute_b32 v21, v3, v13
	s_wait_loadcnt 0xa
	v_mul_f64_e32 v[22:23], v[32:33], v[34:35]
	s_wait_dscnt 0x0
	v_fmac_f64_e32 v[4:5], v[24:25], v[20:21]
	ds_bpermute_b32 v20, v0, v12
	ds_bpermute_b32 v21, v0, v13
	s_wait_loadcnt 0x8
	v_mul_f64_e32 v[24:25], v[36:37], v[38:39]
	s_wait_dscnt 0x0
	;; [unrolled: 6-line block ×5, first 2 shown]
	v_fmac_f64_e32 v[4:5], v[24:25], v[20:21]
	ds_bpermute_b32 v20, v18, v12
	ds_bpermute_b32 v21, v18, v13
	;; [unrolled: 1-line block ×4, first 2 shown]
	s_wait_dscnt 0x2
	v_fmac_f64_e32 v[4:5], v[22:23], v[20:21]
	s_wait_loadcnt 0x0
	v_mul_f64_e32 v[20:21], v[52:53], v[54:55]
	s_wait_dscnt 0x0
	s_delay_alu instid0(VALU_DEP_1)
	v_fmac_f64_e32 v[4:5], v[20:21], v[12:13]
	s_cbranch_vccz .LBB121_7
.LBB121_4:                              ; =>This Inner Loop Header: Depth=1
	v_mov_b64_e32 v[12:13], 0
	s_and_saveexec_b32 s3, s2
	s_cbranch_execz .LBB121_3
; %bb.5:                                ;   in Loop: Header=BB121_4 Depth=1
	v_mov_b64_e32 v[12:13], 0
	s_mov_b32 s24, exec_lo
	v_cmpx_gt_i64_e64 s[4:5], v[6:7]
	s_cbranch_execz .LBB121_2
; %bb.6:                                ;   in Loop: Header=BB121_4 Depth=1
	global_load_b64 v[12:13], v[8:9], off
	s_branch .LBB121_2
.LBB121_7:
	s_load_b64 s[2:3], s[0:1], 0x30
	s_wait_kmcnt 0x0
	s_cmp_eq_u64 s[2:3], 0
	s_cbranch_scc1 .LBB121_9
; %bb.8:
	s_load_u16 s0, s[0:1], 0x4e
	v_mov_b32_e32 v3, 0
	s_and_b32 s4, ttmp6, 15
	s_wait_xcnt 0x0
	s_mov_b32 s1, 0
	s_wait_kmcnt 0x0
	v_mad_nc_u64_u32 v[0:1], s0, s23, v[2:3]
	s_bfe_u32 s0, ttmp6, 0x4000c
	v_lshlrev_b32_e32 v2, 3, v14
	s_add_co_i32 s0, s0, 1
	s_delay_alu instid0(SALU_CYCLE_1) | instskip(NEXT) | instid1(SALU_CYCLE_1)
	s_mul_i32 s0, ttmp9, s0
	s_add_co_i32 s4, s4, s0
	s_cmp_eq_u32 s22, 0
	s_cselect_b32 s0, ttmp9, s4
	s_delay_alu instid0(VALU_DEP_2) | instskip(SKIP_1) | instid1(VALU_DEP_1)
	v_mul_u64_e32 v[0:1], s[6:7], v[0:1]
	s_lshl_b64 s[0:1], s[0:1], 9
	v_lshl_add_u64 v[0:1], v[0:1], 3, s[2:3]
	s_delay_alu instid0(VALU_DEP_1) | instskip(NEXT) | instid1(VALU_DEP_1)
	v_add_nc_u64_e32 v[0:1], s[0:1], v[0:1]
	v_add_nc_u64_e32 v[0:1], v[0:1], v[2:3]
	global_store_b64 v[0:1], v[4:5], off
.LBB121_9:
	s_endpgm
	.section	.rodata,"a",@progbits
	.p2align	6, 0x0
	.amdhsa_kernel _ZN2at6native12_GLOBAL__N_135GammaBetaBackwardCUDAKernelTemplateIddLj64ELj1ELj8ELb1ELb1ELb1EEEvllPKT_S5_PKT0_S8_PS3_S9_
		.amdhsa_group_segment_fixed_size 0
		.amdhsa_private_segment_fixed_size 0
		.amdhsa_kernarg_size 320
		.amdhsa_user_sgpr_count 2
		.amdhsa_user_sgpr_dispatch_ptr 0
		.amdhsa_user_sgpr_queue_ptr 0
		.amdhsa_user_sgpr_kernarg_segment_ptr 1
		.amdhsa_user_sgpr_dispatch_id 0
		.amdhsa_user_sgpr_kernarg_preload_length 0
		.amdhsa_user_sgpr_kernarg_preload_offset 0
		.amdhsa_user_sgpr_private_segment_size 0
		.amdhsa_wavefront_size32 1
		.amdhsa_uses_dynamic_stack 0
		.amdhsa_enable_private_segment 0
		.amdhsa_system_sgpr_workgroup_id_x 1
		.amdhsa_system_sgpr_workgroup_id_y 1
		.amdhsa_system_sgpr_workgroup_id_z 0
		.amdhsa_system_sgpr_workgroup_info 0
		.amdhsa_system_vgpr_workitem_id 1
		.amdhsa_next_free_vgpr 56
		.amdhsa_next_free_sgpr 25
		.amdhsa_named_barrier_count 0
		.amdhsa_reserve_vcc 1
		.amdhsa_float_round_mode_32 0
		.amdhsa_float_round_mode_16_64 0
		.amdhsa_float_denorm_mode_32 3
		.amdhsa_float_denorm_mode_16_64 3
		.amdhsa_fp16_overflow 0
		.amdhsa_memory_ordered 1
		.amdhsa_forward_progress 1
		.amdhsa_inst_pref_size 9
		.amdhsa_round_robin_scheduling 0
		.amdhsa_exception_fp_ieee_invalid_op 0
		.amdhsa_exception_fp_denorm_src 0
		.amdhsa_exception_fp_ieee_div_zero 0
		.amdhsa_exception_fp_ieee_overflow 0
		.amdhsa_exception_fp_ieee_underflow 0
		.amdhsa_exception_fp_ieee_inexact 0
		.amdhsa_exception_int_div_zero 0
	.end_amdhsa_kernel
	.section	.text._ZN2at6native12_GLOBAL__N_135GammaBetaBackwardCUDAKernelTemplateIddLj64ELj1ELj8ELb1ELb1ELb1EEEvllPKT_S5_PKT0_S8_PS3_S9_,"axG",@progbits,_ZN2at6native12_GLOBAL__N_135GammaBetaBackwardCUDAKernelTemplateIddLj64ELj1ELj8ELb1ELb1ELb1EEEvllPKT_S5_PKT0_S8_PS3_S9_,comdat
.Lfunc_end121:
	.size	_ZN2at6native12_GLOBAL__N_135GammaBetaBackwardCUDAKernelTemplateIddLj64ELj1ELj8ELb1ELb1ELb1EEEvllPKT_S5_PKT0_S8_PS3_S9_, .Lfunc_end121-_ZN2at6native12_GLOBAL__N_135GammaBetaBackwardCUDAKernelTemplateIddLj64ELj1ELj8ELb1ELb1ELb1EEEvllPKT_S5_PKT0_S8_PS3_S9_
                                        ; -- End function
	.set _ZN2at6native12_GLOBAL__N_135GammaBetaBackwardCUDAKernelTemplateIddLj64ELj1ELj8ELb1ELb1ELb1EEEvllPKT_S5_PKT0_S8_PS3_S9_.num_vgpr, 56
	.set _ZN2at6native12_GLOBAL__N_135GammaBetaBackwardCUDAKernelTemplateIddLj64ELj1ELj8ELb1ELb1ELb1EEEvllPKT_S5_PKT0_S8_PS3_S9_.num_agpr, 0
	.set _ZN2at6native12_GLOBAL__N_135GammaBetaBackwardCUDAKernelTemplateIddLj64ELj1ELj8ELb1ELb1ELb1EEEvllPKT_S5_PKT0_S8_PS3_S9_.numbered_sgpr, 25
	.set _ZN2at6native12_GLOBAL__N_135GammaBetaBackwardCUDAKernelTemplateIddLj64ELj1ELj8ELb1ELb1ELb1EEEvllPKT_S5_PKT0_S8_PS3_S9_.num_named_barrier, 0
	.set _ZN2at6native12_GLOBAL__N_135GammaBetaBackwardCUDAKernelTemplateIddLj64ELj1ELj8ELb1ELb1ELb1EEEvllPKT_S5_PKT0_S8_PS3_S9_.private_seg_size, 0
	.set _ZN2at6native12_GLOBAL__N_135GammaBetaBackwardCUDAKernelTemplateIddLj64ELj1ELj8ELb1ELb1ELb1EEEvllPKT_S5_PKT0_S8_PS3_S9_.uses_vcc, 1
	.set _ZN2at6native12_GLOBAL__N_135GammaBetaBackwardCUDAKernelTemplateIddLj64ELj1ELj8ELb1ELb1ELb1EEEvllPKT_S5_PKT0_S8_PS3_S9_.uses_flat_scratch, 0
	.set _ZN2at6native12_GLOBAL__N_135GammaBetaBackwardCUDAKernelTemplateIddLj64ELj1ELj8ELb1ELb1ELb1EEEvllPKT_S5_PKT0_S8_PS3_S9_.has_dyn_sized_stack, 0
	.set _ZN2at6native12_GLOBAL__N_135GammaBetaBackwardCUDAKernelTemplateIddLj64ELj1ELj8ELb1ELb1ELb1EEEvllPKT_S5_PKT0_S8_PS3_S9_.has_recursion, 0
	.set _ZN2at6native12_GLOBAL__N_135GammaBetaBackwardCUDAKernelTemplateIddLj64ELj1ELj8ELb1ELb1ELb1EEEvllPKT_S5_PKT0_S8_PS3_S9_.has_indirect_call, 0
	.section	.AMDGPU.csdata,"",@progbits
; Kernel info:
; codeLenInByte = 1144
; TotalNumSgprs: 27
; NumVgprs: 56
; ScratchSize: 0
; MemoryBound: 0
; FloatMode: 240
; IeeeMode: 1
; LDSByteSize: 0 bytes/workgroup (compile time only)
; SGPRBlocks: 0
; VGPRBlocks: 3
; NumSGPRsForWavesPerEU: 27
; NumVGPRsForWavesPerEU: 56
; NamedBarCnt: 0
; Occupancy: 16
; WaveLimiterHint : 0
; COMPUTE_PGM_RSRC2:SCRATCH_EN: 0
; COMPUTE_PGM_RSRC2:USER_SGPR: 2
; COMPUTE_PGM_RSRC2:TRAP_HANDLER: 0
; COMPUTE_PGM_RSRC2:TGID_X_EN: 1
; COMPUTE_PGM_RSRC2:TGID_Y_EN: 1
; COMPUTE_PGM_RSRC2:TGID_Z_EN: 0
; COMPUTE_PGM_RSRC2:TIDIG_COMP_CNT: 1
	.section	.text._ZN2at6native12_GLOBAL__N_135GammaBetaBackwardCUDAKernelTemplateIddLj64ELj1ELj8ELb1ELb0ELb1EEEvllPKT_S5_PKT0_S8_PS3_S9_,"axG",@progbits,_ZN2at6native12_GLOBAL__N_135GammaBetaBackwardCUDAKernelTemplateIddLj64ELj1ELj8ELb1ELb0ELb1EEEvllPKT_S5_PKT0_S8_PS3_S9_,comdat
	.globl	_ZN2at6native12_GLOBAL__N_135GammaBetaBackwardCUDAKernelTemplateIddLj64ELj1ELj8ELb1ELb0ELb1EEEvllPKT_S5_PKT0_S8_PS3_S9_ ; -- Begin function _ZN2at6native12_GLOBAL__N_135GammaBetaBackwardCUDAKernelTemplateIddLj64ELj1ELj8ELb1ELb0ELb1EEEvllPKT_S5_PKT0_S8_PS3_S9_
	.p2align	8
	.type	_ZN2at6native12_GLOBAL__N_135GammaBetaBackwardCUDAKernelTemplateIddLj64ELj1ELj8ELb1ELb0ELb1EEEvllPKT_S5_PKT0_S8_PS3_S9_,@function
_ZN2at6native12_GLOBAL__N_135GammaBetaBackwardCUDAKernelTemplateIddLj64ELj1ELj8ELb1ELb0ELb1EEEvllPKT_S5_PKT0_S8_PS3_S9_: ; @_ZN2at6native12_GLOBAL__N_135GammaBetaBackwardCUDAKernelTemplateIddLj64ELj1ELj8ELb1ELb0ELb1EEEvllPKT_S5_PKT0_S8_PS3_S9_
; %bb.0:
	s_load_b256 s[4:11], s[0:1], 0x0
	s_bfe_u32 s3, ttmp6, 0x4000c
	s_bfe_u32 s12, ttmp6, 0x40010
	s_add_co_i32 s3, s3, 1
	s_add_co_i32 s12, s12, 1
	s_and_b32 s2, ttmp6, 15
	s_bfe_u32 s13, ttmp6, 0x40004
	s_mul_i32 s3, ttmp9, s3
	s_mul_i32 s12, ttmp7, s12
	s_getreg_b32 s14, hwreg(HW_REG_IB_STS2, 6, 4)
	s_add_co_i32 s2, s2, s3
	s_add_co_i32 s13, s13, s12
	s_cmp_eq_u32 s14, 0
	s_mov_b32 s17, 0
	s_cselect_b32 s12, ttmp9, s2
	s_cselect_b32 s30, ttmp7, s13
	s_lshl_b32 s13, s12, 6
	s_load_b64 s[14:15], s[0:1], 0x28
	s_or_b32 s16, s13, 63
	s_wait_kmcnt 0x0
	v_cmp_le_i64_e64 s2, s[6:7], s[16:17]
	s_lshl_b32 s16, s30, 3
	s_delay_alu instid0(SALU_CYCLE_1) | instskip(SKIP_2) | instid1(VALU_DEP_1)
	v_cmp_gt_i64_e64 s31, s[4:5], s[16:17]
	s_and_b32 vcc_lo, exec_lo, s2
	v_cndmask_b32_e64 v1, 0, 1, s31
	v_cmp_ne_u32_e64 s2, 1, v1
	s_cbranch_vccz .LBB122_49
; %bb.1:
	v_mov_b64_e32 v[4:5], 0
	s_and_b32 vcc_lo, exec_lo, s2
	s_cbranch_vccnz .LBB122_50
; %bb.2:
	v_bfe_u32 v1, v0, 10, 10
	v_mov_b32_e32 v2, 0
	v_and_b32_e32 v92, 0x3ff, v0
	s_load_b32 s3, s[0:1], 0x44
	s_mov_b32 s19, 0
	s_delay_alu instid0(VALU_DEP_2) | instskip(NEXT) | instid1(VALU_DEP_2)
	v_dual_mov_b32 v51, v2 :: v_dual_lshlrev_b32 v50, 3, v1
	v_dual_mov_b32 v19, v2 :: v_dual_add_nc_u32 v18, s13, v92
	v_mov_b64_e32 v[86:87], 0
	s_mov_b32 s21, s19
	s_delay_alu instid0(VALU_DEP_3)
	v_add_nc_u64_e32 v[4:5], s[16:17], v[50:51]
	s_add_nc_u64 s[22:23], s[0:1], 64
	v_cmp_gt_i64_e64 s2, s[6:7], v[18:19]
	v_lshlrev_b64_e32 v[52:53], 3, v[18:19]
	s_mov_b64 s[26:27], 7
	s_mov_b64 s[28:29], s[16:17]
	v_mul_u64_e32 v[6:7], s[6:7], v[4:5]
	v_add_nc_u64_e32 v[8:9], 7, v[4:5]
	v_add_nc_u64_e32 v[10:11], 6, v[4:5]
	;; [unrolled: 1-line block ×6, first 2 shown]
	s_wait_kmcnt 0x0
	s_lshl_b32 s20, s3, 3
	v_mul_u64_e32 v[8:9], s[6:7], v[8:9]
	v_mul_u64_e32 v[10:11], s[6:7], v[10:11]
	;; [unrolled: 1-line block ×6, first 2 shown]
	s_mul_u64 s[24:25], s[6:7], s[20:21]
	s_delay_alu instid0(SALU_CYCLE_1) | instskip(SKIP_2) | instid1(VALU_DEP_2)
	s_lshl_b64 s[24:25], s[24:25], 3
	v_lshlrev_b64_e32 v[20:21], 3, v[6:7]
	v_add_nc_u64_e32 v[6:7], s[6:7], v[6:7]
	v_add_nc_u64_e32 v[54:55], s[8:9], v[20:21]
	v_lshlrev_b64_e32 v[8:9], 3, v[8:9]
	v_lshlrev_b64_e32 v[10:11], 3, v[10:11]
	;; [unrolled: 1-line block ×7, first 2 shown]
	v_add_nc_u64_e32 v[56:57], s[10:11], v[20:21]
	v_add_nc_u64_e32 v[58:59], s[8:9], v[8:9]
	;; [unrolled: 1-line block ×15, first 2 shown]
.LBB122_3:                              ; =>This Inner Loop Header: Depth=1
	s_add_nc_u64 s[34:35], s[16:17], s[26:27]
	v_add_nc_u64_e32 v[88:89], s[16:17], v[50:51]
	v_cmp_ge_i64_e64 s3, s[34:35], s[4:5]
                                        ; implicit-def: $vgpr4_vgpr5
                                        ; implicit-def: $vgpr18_vgpr19_vgpr20_vgpr21_vgpr22_vgpr23_vgpr24_vgpr25_vgpr26_vgpr27_vgpr28_vgpr29_vgpr30_vgpr31_vgpr32_vgpr33
                                        ; implicit-def: $vgpr34_vgpr35_vgpr36_vgpr37_vgpr38_vgpr39_vgpr40_vgpr41_vgpr42_vgpr43_vgpr44_vgpr45_vgpr46_vgpr47_vgpr48_vgpr49
                                        ; implicit-def: $vgpr6
	s_and_b32 vcc_lo, exec_lo, s3
	s_mov_b32 s3, -1
	s_cbranch_vccz .LBB122_25
; %bb.4:                                ;   in Loop: Header=BB122_3 Depth=1
	s_load_b32 s3, s[22:23], 0xc
	v_mov_b64_e32 v[90:91], 0
	s_wait_kmcnt 0x0
	s_and_b32 s3, s3, 0xffff
	s_delay_alu instid0(SALU_CYCLE_1) | instskip(SKIP_1) | instid1(VALU_DEP_1)
	v_mad_u32_u24 v3, v1, s3, v92
	s_mov_b32 s3, exec_lo
	v_and_b32_e32 v4, 31, v3
	s_delay_alu instid0(VALU_DEP_1)
	v_cmpx_gt_u32_e32 8, v4
	s_cbranch_execz .LBB122_8
; %bb.5:                                ;   in Loop: Header=BB122_3 Depth=1
	v_mov_b32_e32 v5, v2
	v_mov_b64_e32 v[90:91], 0
	s_mov_b32 s18, exec_lo
	s_delay_alu instid0(VALU_DEP_2) | instskip(NEXT) | instid1(VALU_DEP_1)
	v_add_nc_u64_e32 v[4:5], v[88:89], v[4:5]
	v_cmpx_gt_i64_e64 s[4:5], v[4:5]
	s_cbranch_execz .LBB122_7
; %bb.6:                                ;   in Loop: Header=BB122_3 Depth=1
	v_lshl_add_u64 v[4:5], v[4:5], 3, s[14:15]
	global_load_b64 v[90:91], v[4:5], off
.LBB122_7:                              ;   in Loop: Header=BB122_3 Depth=1
	s_wait_xcnt 0x0
	s_or_b32 exec_lo, exec_lo, s18
.LBB122_8:                              ;   in Loop: Header=BB122_3 Depth=1
	s_delay_alu instid0(SALU_CYCLE_1)
	s_or_b32 exec_lo, exec_lo, s3
	v_dual_mov_b32 v15, v2 :: v_dual_mov_b32 v16, v2
	v_dual_mov_b32 v17, v2 :: v_dual_mov_b32 v3, v2
	;; [unrolled: 1-line block ×7, first 2 shown]
	v_mov_b32_e32 v14, v2
	v_cmp_gt_i64_e32 vcc_lo, s[4:5], v[88:89]
	v_mov_b64_e32 v[32:33], v[16:17]
	v_mov_b64_e32 v[48:49], v[16:17]
	;; [unrolled: 1-line block ×16, first 2 shown]
	s_and_b32 s18, s2, vcc_lo
	s_delay_alu instid0(SALU_CYCLE_1)
	s_and_saveexec_b32 s3, s18
	s_cbranch_execz .LBB122_10
; %bb.9:                                ;   in Loop: Header=BB122_3 Depth=1
	v_add_nc_u64_e32 v[4:5], v[54:55], v[52:53]
	v_add_nc_u64_e32 v[6:7], v[56:57], v[52:53]
	v_dual_mov_b32 v36, v2 :: v_dual_mov_b32 v37, v2
	v_dual_mov_b32 v38, v2 :: v_dual_mov_b32 v39, v2
	;; [unrolled: 1-line block ×3, first 2 shown]
	global_load_b64 v[34:35], v[4:5], off
	global_load_b64 v[18:19], v[6:7], off
	v_dual_mov_b32 v42, v2 :: v_dual_mov_b32 v43, v2
	v_dual_mov_b32 v44, v2 :: v_dual_mov_b32 v45, v2
	v_dual_mov_b32 v46, v2 :: v_dual_mov_b32 v47, v2
	v_dual_mov_b32 v48, v2 :: v_dual_mov_b32 v49, v2
	v_dual_mov_b32 v20, v2 :: v_dual_mov_b32 v21, v2
	v_dual_mov_b32 v22, v2 :: v_dual_mov_b32 v23, v2
	v_dual_mov_b32 v24, v2 :: v_dual_mov_b32 v25, v2
	v_dual_mov_b32 v26, v2 :: v_dual_mov_b32 v27, v2
	v_dual_mov_b32 v28, v2 :: v_dual_mov_b32 v29, v2
	v_dual_mov_b32 v30, v2 :: v_dual_mov_b32 v31, v2
	v_dual_mov_b32 v32, v2 :: v_dual_mov_b32 v33, v2
.LBB122_10:                             ;   in Loop: Header=BB122_3 Depth=1
	s_wait_xcnt 0x0
	s_or_b32 exec_lo, exec_lo, s3
	v_add_nc_u64_e32 v[4:5], 1, v[88:89]
	s_delay_alu instid0(VALU_DEP_1) | instskip(SKIP_1) | instid1(SALU_CYCLE_1)
	v_cmp_gt_i64_e32 vcc_lo, s[4:5], v[4:5]
	s_and_b32 s18, s2, vcc_lo
	s_and_saveexec_b32 s3, s18
	s_cbranch_execz .LBB122_12
; %bb.11:                               ;   in Loop: Header=BB122_3 Depth=1
	v_add_nc_u64_e32 v[4:5], v[82:83], v[52:53]
	v_add_nc_u64_e32 v[6:7], v[84:85], v[52:53]
	global_load_b64 v[36:37], v[4:5], off
	global_load_b64 v[20:21], v[6:7], off
.LBB122_12:                             ;   in Loop: Header=BB122_3 Depth=1
	s_wait_xcnt 0x0
	s_or_b32 exec_lo, exec_lo, s3
	v_add_nc_u64_e32 v[4:5], 2, v[88:89]
	s_delay_alu instid0(VALU_DEP_1) | instskip(SKIP_1) | instid1(SALU_CYCLE_1)
	v_cmp_gt_i64_e32 vcc_lo, s[4:5], v[4:5]
	s_and_b32 s18, s2, vcc_lo
	s_and_saveexec_b32 s3, s18
	s_cbranch_execz .LBB122_14
; %bb.13:                               ;   in Loop: Header=BB122_3 Depth=1
	v_add_nc_u64_e32 v[4:5], v[78:79], v[52:53]
	v_add_nc_u64_e32 v[6:7], v[80:81], v[52:53]
	global_load_b64 v[38:39], v[4:5], off
	global_load_b64 v[22:23], v[6:7], off
.LBB122_14:                             ;   in Loop: Header=BB122_3 Depth=1
	;; [unrolled: 14-line block ×7, first 2 shown]
	s_wait_xcnt 0x0
	s_or_b32 exec_lo, exec_lo, s3
	s_wait_loadcnt 0x0
	v_mul_f64_e32 v[4:5], v[18:19], v[34:35]
	ds_bpermute_b32 v6, v2, v90
	ds_bpermute_b32 v7, v2, v91
	v_mul_f64_e32 v[8:9], v[20:21], v[36:37]
	v_mul_f64_e32 v[10:11], v[22:23], v[38:39]
	s_mov_b32 s3, 0
	s_wait_dscnt 0x0
	v_fma_f64 v[4:5], v[4:5], v[6:7], v[86:87]
	ds_bpermute_b32 v6, v2, v90 offset:4
	ds_bpermute_b32 v7, v2, v91 offset:4
	s_wait_dscnt 0x0
	v_fmac_f64_e32 v[4:5], v[8:9], v[6:7]
	ds_bpermute_b32 v6, v2, v90 offset:8
	ds_bpermute_b32 v7, v2, v91 offset:8
	v_mul_f64_e32 v[8:9], v[24:25], v[40:41]
	s_wait_dscnt 0x0
	v_fmac_f64_e32 v[4:5], v[10:11], v[6:7]
	ds_bpermute_b32 v6, v2, v90 offset:12
	ds_bpermute_b32 v7, v2, v91 offset:12
	v_mul_f64_e32 v[10:11], v[26:27], v[42:43]
	;; [unrolled: 5-line block ×3, first 2 shown]
	s_wait_dscnt 0x0
	v_fmac_f64_e32 v[4:5], v[10:11], v[6:7]
	ds_bpermute_b32 v6, v2, v90 offset:20
	ds_bpermute_b32 v7, v2, v91 offset:20
	s_wait_dscnt 0x0
	v_fmac_f64_e32 v[4:5], v[8:9], v[6:7]
	v_mul_f64_e32 v[6:7], v[30:31], v[46:47]
	ds_bpermute_b32 v8, v2, v90 offset:24
	ds_bpermute_b32 v9, v2, v91 offset:24
	s_wait_dscnt 0x0
	v_fmac_f64_e32 v[4:5], v[6:7], v[8:9]
	ds_bpermute_b32 v6, v2, v90 offset:28
	ds_bpermute_b32 v7, v2, v91 offset:28
.LBB122_25:                             ;   in Loop: Header=BB122_3 Depth=1
	s_and_b32 vcc_lo, exec_lo, s3
	s_cbranch_vccz .LBB122_40
; %bb.26:                               ;   in Loop: Header=BB122_3 Depth=1
	s_load_b32 s3, s[22:23], 0x0
	v_mov_b64_e32 v[90:91], 0
	s_wait_kmcnt 0x0
	s_cmp_lt_u32 s12, s3
	s_cselect_b32 s18, 12, 18
	s_delay_alu instid0(SALU_CYCLE_1) | instskip(SKIP_4) | instid1(VALU_DEP_1)
	s_add_nc_u64 s[34:35], s[22:23], s[18:19]
	s_load_u16 s3, s[34:35], 0x0
	s_wait_kmcnt 0x0
	v_mad_u32_u24 v3, v1, s3, v92
	s_mov_b32 s3, exec_lo
	v_and_b32_e32 v4, 31, v3
	s_delay_alu instid0(VALU_DEP_1)
	v_cmpx_gt_u32_e32 8, v4
	s_cbranch_execz .LBB122_30
; %bb.27:                               ;   in Loop: Header=BB122_3 Depth=1
	v_mov_b32_e32 v5, v2
	v_mov_b64_e32 v[90:91], 0
	s_mov_b32 s18, exec_lo
	s_delay_alu instid0(VALU_DEP_2) | instskip(NEXT) | instid1(VALU_DEP_1)
	v_add_nc_u64_e32 v[4:5], v[88:89], v[4:5]
	v_cmpx_gt_i64_e64 s[4:5], v[4:5]
	s_cbranch_execz .LBB122_29
; %bb.28:                               ;   in Loop: Header=BB122_3 Depth=1
	v_lshl_add_u64 v[4:5], v[4:5], 3, s[14:15]
	global_load_b64 v[90:91], v[4:5], off
.LBB122_29:                             ;   in Loop: Header=BB122_3 Depth=1
	s_wait_xcnt 0x0
	s_or_b32 exec_lo, exec_lo, s18
.LBB122_30:                             ;   in Loop: Header=BB122_3 Depth=1
	s_delay_alu instid0(SALU_CYCLE_1)
	s_or_b32 exec_lo, exec_lo, s3
	v_dual_mov_b32 v15, v2 :: v_dual_mov_b32 v16, v2
	v_dual_mov_b32 v17, v2 :: v_dual_mov_b32 v3, v2
	;; [unrolled: 1-line block ×3, first 2 shown]
	s_wait_dscnt 0x0
	v_dual_mov_b32 v6, v2 :: v_dual_mov_b32 v7, v2
	v_dual_mov_b32 v8, v2 :: v_dual_mov_b32 v9, v2
	;; [unrolled: 1-line block ×4, first 2 shown]
	v_mov_b32_e32 v14, v2
	v_mov_b64_e32 v[32:33], v[16:17]
	v_mov_b64_e32 v[48:49], v[16:17]
	;; [unrolled: 1-line block ×16, first 2 shown]
	s_and_saveexec_b32 s3, s2
	s_cbranch_execnz .LBB122_42
; %bb.31:                               ;   in Loop: Header=BB122_3 Depth=1
	s_or_b32 exec_lo, exec_lo, s3
	s_and_saveexec_b32 s3, s2
	s_cbranch_execnz .LBB122_43
.LBB122_32:                             ;   in Loop: Header=BB122_3 Depth=1
	s_or_b32 exec_lo, exec_lo, s3
	s_and_saveexec_b32 s3, s2
	s_cbranch_execnz .LBB122_44
.LBB122_33:                             ;   in Loop: Header=BB122_3 Depth=1
	s_or_b32 exec_lo, exec_lo, s3
	s_and_saveexec_b32 s3, s2
	s_cbranch_execnz .LBB122_45
.LBB122_34:                             ;   in Loop: Header=BB122_3 Depth=1
	s_or_b32 exec_lo, exec_lo, s3
	s_and_saveexec_b32 s3, s2
	s_cbranch_execnz .LBB122_46
.LBB122_35:                             ;   in Loop: Header=BB122_3 Depth=1
	s_or_b32 exec_lo, exec_lo, s3
	s_and_saveexec_b32 s3, s2
	s_cbranch_execnz .LBB122_47
.LBB122_36:                             ;   in Loop: Header=BB122_3 Depth=1
	s_or_b32 exec_lo, exec_lo, s3
	s_and_saveexec_b32 s3, s2
	s_cbranch_execnz .LBB122_48
.LBB122_37:                             ;   in Loop: Header=BB122_3 Depth=1
	s_or_b32 exec_lo, exec_lo, s3
	s_and_saveexec_b32 s3, s2
	s_cbranch_execz .LBB122_39
.LBB122_38:                             ;   in Loop: Header=BB122_3 Depth=1
	v_add_nc_u64_e32 v[4:5], v[58:59], v[52:53]
	v_add_nc_u64_e32 v[6:7], v[60:61], v[52:53]
	global_load_b64 v[48:49], v[4:5], off
	global_load_b64 v[32:33], v[6:7], off
.LBB122_39:                             ;   in Loop: Header=BB122_3 Depth=1
	s_wait_xcnt 0x0
	s_or_b32 exec_lo, exec_lo, s3
	s_wait_loadcnt 0x0
	v_mul_f64_e32 v[4:5], v[18:19], v[34:35]
	ds_bpermute_b32 v6, v2, v90
	ds_bpermute_b32 v7, v2, v91
	v_mul_f64_e32 v[8:9], v[20:21], v[36:37]
	s_wait_dscnt 0x0
	v_fmac_f64_e32 v[86:87], v[4:5], v[6:7]
	ds_bpermute_b32 v4, v2, v90 offset:4
	ds_bpermute_b32 v5, v2, v91 offset:4
	v_mul_f64_e32 v[6:7], v[22:23], v[38:39]
	s_wait_dscnt 0x0
	v_fmac_f64_e32 v[86:87], v[8:9], v[4:5]
	ds_bpermute_b32 v4, v2, v90 offset:8
	ds_bpermute_b32 v5, v2, v91 offset:8
	;; [unrolled: 5-line block ×5, first 2 shown]
	ds_bpermute_b32 v6, v2, v90 offset:24
	ds_bpermute_b32 v7, v2, v91 offset:24
	s_wait_dscnt 0x2
	v_fmac_f64_e32 v[86:87], v[8:9], v[4:5]
	v_mul_f64_e32 v[4:5], v[30:31], v[46:47]
	s_wait_dscnt 0x0
	s_delay_alu instid0(VALU_DEP_1)
	v_fmac_f64_e32 v[86:87], v[4:5], v[6:7]
	ds_bpermute_b32 v6, v2, v90 offset:28
	ds_bpermute_b32 v7, v2, v91 offset:28
	v_mov_b64_e32 v[4:5], v[86:87]
.LBB122_40:                             ;   in Loop: Header=BB122_3 Depth=1
	v_mul_f64_e32 v[8:9], v[48:49], v[32:33]
	s_add_nc_u64 s[28:29], s[28:29], s[20:21]
	v_add_nc_u64_e32 v[54:55], s[24:25], v[54:55]
	v_cmp_lt_i64_e64 s3, s[28:29], s[4:5]
	v_add_nc_u64_e32 v[56:57], s[24:25], v[56:57]
	v_add_nc_u64_e32 v[58:59], s[24:25], v[58:59]
	;; [unrolled: 1-line block ×16, first 2 shown]
	s_and_b32 vcc_lo, exec_lo, s3
	s_add_nc_u64 s[26:27], s[26:27], s[20:21]
	s_wait_dscnt 0x0
	v_fmac_f64_e32 v[4:5], v[8:9], v[6:7]
	s_cbranch_vccz .LBB122_50
; %bb.41:                               ;   in Loop: Header=BB122_3 Depth=1
	s_delay_alu instid0(VALU_DEP_1)
	v_mov_b64_e32 v[86:87], v[4:5]
	s_branch .LBB122_3
.LBB122_42:                             ;   in Loop: Header=BB122_3 Depth=1
	v_add_nc_u64_e32 v[4:5], v[54:55], v[52:53]
	v_add_nc_u64_e32 v[6:7], v[56:57], v[52:53]
	v_dual_mov_b32 v36, v2 :: v_dual_mov_b32 v37, v2
	v_dual_mov_b32 v38, v2 :: v_dual_mov_b32 v39, v2
	;; [unrolled: 1-line block ×3, first 2 shown]
	global_load_b64 v[34:35], v[4:5], off
	global_load_b64 v[18:19], v[6:7], off
	v_dual_mov_b32 v42, v2 :: v_dual_mov_b32 v43, v2
	v_dual_mov_b32 v44, v2 :: v_dual_mov_b32 v45, v2
	;; [unrolled: 1-line block ×11, first 2 shown]
	s_wait_xcnt 0x0
	s_or_b32 exec_lo, exec_lo, s3
	s_and_saveexec_b32 s3, s2
	s_cbranch_execz .LBB122_32
.LBB122_43:                             ;   in Loop: Header=BB122_3 Depth=1
	v_add_nc_u64_e32 v[4:5], v[82:83], v[52:53]
	v_add_nc_u64_e32 v[6:7], v[84:85], v[52:53]
	global_load_b64 v[36:37], v[4:5], off
	global_load_b64 v[20:21], v[6:7], off
	s_wait_xcnt 0x0
	s_or_b32 exec_lo, exec_lo, s3
	s_and_saveexec_b32 s3, s2
	s_cbranch_execz .LBB122_33
.LBB122_44:                             ;   in Loop: Header=BB122_3 Depth=1
	v_add_nc_u64_e32 v[4:5], v[78:79], v[52:53]
	v_add_nc_u64_e32 v[6:7], v[80:81], v[52:53]
	global_load_b64 v[38:39], v[4:5], off
	global_load_b64 v[22:23], v[6:7], off
	s_wait_xcnt 0x0
	s_or_b32 exec_lo, exec_lo, s3
	s_and_saveexec_b32 s3, s2
	s_cbranch_execz .LBB122_34
.LBB122_45:                             ;   in Loop: Header=BB122_3 Depth=1
	v_add_nc_u64_e32 v[4:5], v[74:75], v[52:53]
	v_add_nc_u64_e32 v[6:7], v[76:77], v[52:53]
	global_load_b64 v[40:41], v[4:5], off
	global_load_b64 v[24:25], v[6:7], off
	s_wait_xcnt 0x0
	s_or_b32 exec_lo, exec_lo, s3
	s_and_saveexec_b32 s3, s2
	s_cbranch_execz .LBB122_35
.LBB122_46:                             ;   in Loop: Header=BB122_3 Depth=1
	v_add_nc_u64_e32 v[4:5], v[70:71], v[52:53]
	v_add_nc_u64_e32 v[6:7], v[72:73], v[52:53]
	global_load_b64 v[42:43], v[4:5], off
	global_load_b64 v[26:27], v[6:7], off
	s_wait_xcnt 0x0
	s_or_b32 exec_lo, exec_lo, s3
	s_and_saveexec_b32 s3, s2
	s_cbranch_execz .LBB122_36
.LBB122_47:                             ;   in Loop: Header=BB122_3 Depth=1
	v_add_nc_u64_e32 v[4:5], v[66:67], v[52:53]
	v_add_nc_u64_e32 v[6:7], v[68:69], v[52:53]
	global_load_b64 v[44:45], v[4:5], off
	global_load_b64 v[28:29], v[6:7], off
	s_wait_xcnt 0x0
	s_or_b32 exec_lo, exec_lo, s3
	s_and_saveexec_b32 s3, s2
	s_cbranch_execz .LBB122_37
.LBB122_48:                             ;   in Loop: Header=BB122_3 Depth=1
	v_add_nc_u64_e32 v[4:5], v[62:63], v[52:53]
	v_add_nc_u64_e32 v[6:7], v[64:65], v[52:53]
	global_load_b64 v[46:47], v[4:5], off
	global_load_b64 v[30:31], v[6:7], off
	s_wait_xcnt 0x0
	s_or_b32 exec_lo, exec_lo, s3
	s_and_saveexec_b32 s3, s2
	s_cbranch_execnz .LBB122_38
	s_branch .LBB122_39
.LBB122_49:
                                        ; implicit-def: $vgpr4_vgpr5
	s_load_b64 s[2:3], s[0:1], 0x30
	s_branch .LBB122_51
.LBB122_50:
	s_load_b64 s[2:3], s[0:1], 0x30
	s_cbranch_execnz .LBB122_83
.LBB122_51:
	v_mov_b64_e32 v[4:5], 0
	s_and_not1_b32 vcc_lo, exec_lo, s31
	s_cbranch_vccnz .LBB122_83
; %bb.52:
	v_bfe_u32 v1, v0, 10, 10
	v_mov_b32_e32 v2, 0
	v_and_b32_e32 v120, 0x3ff, v0
	s_load_b32 s18, s[0:1], 0x44
	s_mov_b32 s19, 0
	s_delay_alu instid0(VALU_DEP_2) | instskip(SKIP_3) | instid1(VALU_DEP_3)
	v_dual_mov_b32 v5, v2 :: v_dual_lshlrev_b32 v4, 6, v1
	v_dual_mov_b32 v51, v2 :: v_dual_lshlrev_b32 v50, 3, v1
	v_mov_b64_e32 v[114:115], 0
	s_mov_b32 s21, s19
	v_lshl_add_u64 v[4:5], s[16:17], 3, v[4:5]
	s_mov_b64 s[22:23], 7
	s_mov_b64 s[24:25], s[16:17]
	s_delay_alu instid0(VALU_DEP_1)
	v_add_nc_u64_e32 v[6:7], 8, v[4:5]
	v_add_nc_u64_e32 v[10:11], 16, v[4:5]
	;; [unrolled: 1-line block ×7, first 2 shown]
	v_mad_nc_u64_u32 v[52:53], s6, v6, s[8:9]
	v_mul_lo_u32 v3, s6, v7
	v_mul_lo_u32 v20, s7, v6
	v_mad_nc_u64_u32 v[62:63], s6, v6, s[10:11]
	v_mad_nc_u64_u32 v[56:57], s6, v12, s[8:9]
	v_mul_lo_u32 v26, s6, v13
	v_mad_nc_u64_u32 v[72:73], s6, v4, s[8:9]
	v_mad_nc_u64_u32 v[78:79], s6, v4, s[10:11]
	v_mul_lo_u32 v27, s7, v12
	v_mad_nc_u64_u32 v[58:59], s6, v14, s[8:9]
	v_mul_lo_u32 v28, s6, v15
	v_mul_lo_u32 v29, s7, v14
	v_mad_nc_u64_u32 v[66:67], s6, v12, s[10:11]
	v_add3_u32 v53, v20, v53, v3
	v_add3_u32 v63, v20, v63, v3
	v_mul_lo_u32 v3, s6, v5
	v_mul_lo_u32 v5, s7, v4
	v_add_nc_u32_e32 v4, s13, v120
	v_add_nc_u64_e32 v[8:9], s[16:17], v[50:51]
	v_mad_nc_u64_u32 v[70:71], s6, v14, s[10:11]
	v_mad_nc_u64_u32 v[54:55], s6, v10, s[8:9]
	v_mul_lo_u32 v24, s6, v11
	v_mul_lo_u32 v25, s7, v10
	v_mad_nc_u64_u32 v[64:65], s6, v10, s[10:11]
	v_mad_nc_u64_u32 v[60:61], s6, v16, s[8:9]
	v_add_nc_u64_e32 v[6:7], 7, v[8:9]
	v_add_nc_u64_e32 v[12:13], 6, v[8:9]
	v_add_nc_u64_e32 v[14:15], 5, v[8:9]
	v_mul_u64_e32 v[10:11], s[6:7], v[8:9]
	v_add_nc_u64_e32 v[20:21], 4, v[8:9]
	v_add_nc_u64_e32 v[22:23], 3, v[8:9]
	;; [unrolled: 1-line block ×3, first 2 shown]
	v_mul_u64_e32 v[6:7], s[6:7], v[6:7]
	v_mul_u64_e32 v[12:13], s[6:7], v[12:13]
	;; [unrolled: 1-line block ×3, first 2 shown]
	v_mul_lo_u32 v30, s6, v17
	v_mul_lo_u32 v31, s7, v16
	v_mul_u64_e32 v[20:21], s[6:7], v[20:21]
	v_mad_nc_u64_u32 v[74:75], s6, v16, s[10:11]
	v_mul_u64_e32 v[16:17], s[6:7], v[22:23]
	v_mul_u64_e32 v[8:9], s[6:7], v[8:9]
	v_mad_nc_u64_u32 v[68:69], s6, v18, s[8:9]
	v_mul_lo_u32 v19, s6, v19
	v_mul_lo_u32 v32, s7, v18
	v_mad_nc_u64_u32 v[76:77], s6, v18, s[10:11]
	v_add3_u32 v73, v5, v73, v3
	v_add3_u32 v79, v5, v79, v3
	v_mov_b32_e32 v5, v2
	s_wait_kmcnt 0x0
	s_lshl_b32 s20, s18, 3
	v_add3_u32 v55, v25, v55, v24
	v_add3_u32 v57, v27, v57, v26
	;; [unrolled: 1-line block ×3, first 2 shown]
	v_lshlrev_b64_e32 v[80:81], 3, v[4:5]
	v_add3_u32 v67, v27, v67, v26
	v_add3_u32 v69, v32, v69, v19
	;; [unrolled: 1-line block ×7, first 2 shown]
	v_lshlrev_b64_e32 v[18:19], 3, v[10:11]
	v_add_nc_u64_e32 v[10:11], s[6:7], v[10:11]
	v_lshlrev_b64_e32 v[6:7], 3, v[6:7]
	v_lshlrev_b64_e32 v[4:5], 3, v[12:13]
	s_delay_alu instid0(VALU_DEP_4)
	v_add_nc_u64_e32 v[82:83], s[8:9], v[18:19]
	v_add_nc_u64_e32 v[84:85], s[10:11], v[18:19]
	v_lshlrev_b64_e32 v[12:13], 3, v[20:21]
	v_add_nc_u64_e32 v[86:87], s[8:9], v[6:7]
	v_add_nc_u64_e32 v[88:89], s[10:11], v[6:7]
	v_lshlrev_b64_e32 v[6:7], 3, v[14:15]
	;; [unrolled: 3-line block ×3, first 2 shown]
	v_lshlrev_b64_e32 v[8:9], 3, v[8:9]
	v_add_nc_u64_e32 v[98:99], s[8:9], v[12:13]
	v_add_nc_u64_e32 v[100:101], s[10:11], v[12:13]
	;; [unrolled: 1-line block ×4, first 2 shown]
	v_lshlrev_b64_e32 v[6:7], 3, v[10:11]
	v_add_nc_u64_e32 v[102:103], s[8:9], v[4:5]
	v_add_nc_u64_e32 v[104:105], s[10:11], v[4:5]
	;; [unrolled: 1-line block ×6, first 2 shown]
	s_mul_u64 s[10:11], s[6:7], s[20:21]
	s_add_nc_u64 s[8:9], s[0:1], 64
	s_lshl_b64 s[10:11], s[10:11], 3
.LBB122_53:                             ; =>This Inner Loop Header: Depth=1
	s_add_nc_u64 s[26:27], s[16:17], s[22:23]
	v_add_nc_u64_e32 v[116:117], s[16:17], v[50:51]
	v_cmp_ge_i64_e64 s13, s[26:27], s[4:5]
                                        ; implicit-def: $vgpr4_vgpr5
	s_and_b32 vcc_lo, exec_lo, s13
	s_mov_b32 s13, -1
	s_cbranch_vccz .LBB122_75
; %bb.54:                               ;   in Loop: Header=BB122_53 Depth=1
	s_load_b32 s13, s[8:9], 0xc
	v_mov_b64_e32 v[118:119], 0
	s_wait_kmcnt 0x0
	s_and_b32 s13, s13, 0xffff
	s_delay_alu instid0(SALU_CYCLE_1) | instskip(SKIP_1) | instid1(VALU_DEP_1)
	v_mad_u32_u24 v3, v1, s13, v120
	s_mov_b32 s13, exec_lo
	v_and_b32_e32 v4, 31, v3
	s_delay_alu instid0(VALU_DEP_1)
	v_cmpx_gt_u32_e32 8, v4
	s_cbranch_execz .LBB122_58
; %bb.55:                               ;   in Loop: Header=BB122_53 Depth=1
	v_mov_b32_e32 v5, v2
	v_mov_b64_e32 v[118:119], 0
	s_mov_b32 s18, exec_lo
	s_delay_alu instid0(VALU_DEP_2) | instskip(NEXT) | instid1(VALU_DEP_1)
	v_add_nc_u64_e32 v[4:5], v[116:117], v[4:5]
	v_cmpx_gt_i64_e64 s[4:5], v[4:5]
	s_cbranch_execz .LBB122_57
; %bb.56:                               ;   in Loop: Header=BB122_53 Depth=1
	v_lshl_add_u64 v[4:5], v[4:5], 3, s[14:15]
	global_load_b64 v[118:119], v[4:5], off
.LBB122_57:                             ;   in Loop: Header=BB122_53 Depth=1
	s_wait_xcnt 0x0
	s_or_b32 exec_lo, exec_lo, s18
.LBB122_58:                             ;   in Loop: Header=BB122_53 Depth=1
	s_delay_alu instid0(SALU_CYCLE_1)
	s_or_b32 exec_lo, exec_lo, s13
	v_dual_mov_b32 v15, v2 :: v_dual_mov_b32 v16, v2
	v_dual_mov_b32 v17, v2 :: v_dual_mov_b32 v3, v2
	;; [unrolled: 1-line block ×7, first 2 shown]
	v_mov_b32_e32 v14, v2
	v_mov_b64_e32 v[32:33], v[16:17]
	v_mov_b64_e32 v[48:49], v[16:17]
	;; [unrolled: 1-line block ×16, first 2 shown]
	s_mov_b32 s13, exec_lo
	v_cmpx_gt_i64_e64 s[4:5], v[116:117]
	s_cbranch_execz .LBB122_60
; %bb.59:                               ;   in Loop: Header=BB122_53 Depth=1
	v_add_nc_u64_e32 v[4:5], v[82:83], v[80:81]
	v_add_nc_u64_e32 v[6:7], v[84:85], v[80:81]
	v_dual_mov_b32 v36, v2 :: v_dual_mov_b32 v37, v2
	v_dual_mov_b32 v38, v2 :: v_dual_mov_b32 v39, v2
	v_dual_mov_b32 v40, v2 :: v_dual_mov_b32 v41, v2
	global_load_b64 v[34:35], v[4:5], off
	global_load_b64 v[18:19], v[6:7], off
	v_dual_mov_b32 v42, v2 :: v_dual_mov_b32 v43, v2
	v_dual_mov_b32 v44, v2 :: v_dual_mov_b32 v45, v2
	;; [unrolled: 1-line block ×11, first 2 shown]
.LBB122_60:                             ;   in Loop: Header=BB122_53 Depth=1
	s_wait_xcnt 0x0
	s_or_b32 exec_lo, exec_lo, s13
	v_add_nc_u64_e32 v[4:5], 1, v[116:117]
	s_mov_b32 s13, exec_lo
	s_delay_alu instid0(VALU_DEP_1)
	v_cmpx_gt_i64_e64 s[4:5], v[4:5]
	s_cbranch_execz .LBB122_62
; %bb.61:                               ;   in Loop: Header=BB122_53 Depth=1
	v_add_nc_u64_e32 v[4:5], v[110:111], v[80:81]
	v_add_nc_u64_e32 v[6:7], v[112:113], v[80:81]
	global_load_b64 v[36:37], v[4:5], off
	global_load_b64 v[20:21], v[6:7], off
.LBB122_62:                             ;   in Loop: Header=BB122_53 Depth=1
	s_wait_xcnt 0x0
	s_or_b32 exec_lo, exec_lo, s13
	v_add_nc_u64_e32 v[4:5], 2, v[116:117]
	s_mov_b32 s13, exec_lo
	s_delay_alu instid0(VALU_DEP_1)
	v_cmpx_gt_i64_e64 s[4:5], v[4:5]
	s_cbranch_execz .LBB122_64
; %bb.63:                               ;   in Loop: Header=BB122_53 Depth=1
	v_add_nc_u64_e32 v[4:5], v[106:107], v[80:81]
	v_add_nc_u64_e32 v[6:7], v[108:109], v[80:81]
	global_load_b64 v[38:39], v[4:5], off
	global_load_b64 v[22:23], v[6:7], off
.LBB122_64:                             ;   in Loop: Header=BB122_53 Depth=1
	;; [unrolled: 13-line block ×7, first 2 shown]
	s_wait_xcnt 0x0
	s_or_b32 exec_lo, exec_lo, s13
	s_wait_loadcnt 0x0
	v_mul_f64_e32 v[4:5], v[18:19], v[34:35]
	ds_bpermute_b32 v6, v2, v118
	ds_bpermute_b32 v7, v2, v119
	v_mul_f64_e32 v[8:9], v[20:21], v[36:37]
	v_mul_f64_e32 v[10:11], v[22:23], v[38:39]
	s_mov_b32 s13, 0
	s_wait_dscnt 0x0
	v_fma_f64 v[4:5], v[4:5], v[6:7], v[114:115]
	ds_bpermute_b32 v6, v2, v118 offset:4
	ds_bpermute_b32 v7, v2, v119 offset:4
	s_wait_dscnt 0x0
	v_fmac_f64_e32 v[4:5], v[8:9], v[6:7]
	ds_bpermute_b32 v6, v2, v118 offset:8
	ds_bpermute_b32 v7, v2, v119 offset:8
	v_mul_f64_e32 v[8:9], v[24:25], v[40:41]
	s_wait_dscnt 0x0
	v_fmac_f64_e32 v[4:5], v[10:11], v[6:7]
	ds_bpermute_b32 v6, v2, v118 offset:12
	ds_bpermute_b32 v7, v2, v119 offset:12
	v_mul_f64_e32 v[10:11], v[26:27], v[42:43]
	s_wait_dscnt 0x0
	v_fmac_f64_e32 v[4:5], v[8:9], v[6:7]
	ds_bpermute_b32 v6, v2, v118 offset:16
	ds_bpermute_b32 v7, v2, v119 offset:16
	v_mul_f64_e32 v[8:9], v[28:29], v[44:45]
	s_wait_dscnt 0x0
	v_fmac_f64_e32 v[4:5], v[10:11], v[6:7]
	ds_bpermute_b32 v6, v2, v118 offset:20
	ds_bpermute_b32 v7, v2, v119 offset:20
	v_mul_f64_e32 v[10:11], v[30:31], v[46:47]
	s_wait_dscnt 0x0
	v_fmac_f64_e32 v[4:5], v[8:9], v[6:7]
	ds_bpermute_b32 v6, v2, v118 offset:24
	ds_bpermute_b32 v7, v2, v119 offset:24
	;; [unrolled: 1-line block ×4, first 2 shown]
	s_wait_dscnt 0x2
	v_fmac_f64_e32 v[4:5], v[10:11], v[6:7]
	v_mul_f64_e32 v[6:7], v[32:33], v[48:49]
	s_wait_dscnt 0x0
	s_delay_alu instid0(VALU_DEP_1)
	v_fmac_f64_e32 v[4:5], v[6:7], v[8:9]
.LBB122_75:                             ;   in Loop: Header=BB122_53 Depth=1
	s_and_b32 vcc_lo, exec_lo, s13
	s_cbranch_vccz .LBB122_81
; %bb.76:                               ;   in Loop: Header=BB122_53 Depth=1
	s_load_b32 s13, s[8:9], 0x0
	v_mov_b64_e32 v[4:5], 0
	s_wait_kmcnt 0x0
	s_cmp_lt_u32 s12, s13
	s_cselect_b32 s18, 12, 18
	s_delay_alu instid0(SALU_CYCLE_1) | instskip(SKIP_4) | instid1(VALU_DEP_1)
	s_add_nc_u64 s[26:27], s[8:9], s[18:19]
	s_load_u16 s13, s[26:27], 0x0
	s_wait_kmcnt 0x0
	v_mad_u32_u24 v3, v1, s13, v120
	s_mov_b32 s13, exec_lo
	v_and_b32_e32 v6, 31, v3
	s_delay_alu instid0(VALU_DEP_1)
	v_cmpx_gt_u32_e32 8, v6
	s_cbranch_execz .LBB122_80
; %bb.77:                               ;   in Loop: Header=BB122_53 Depth=1
	v_mov_b32_e32 v7, v2
	v_mov_b64_e32 v[4:5], 0
	s_mov_b32 s18, exec_lo
	s_delay_alu instid0(VALU_DEP_2) | instskip(NEXT) | instid1(VALU_DEP_1)
	v_add_nc_u64_e32 v[6:7], v[116:117], v[6:7]
	v_cmpx_gt_i64_e64 s[4:5], v[6:7]
	s_cbranch_execz .LBB122_79
; %bb.78:                               ;   in Loop: Header=BB122_53 Depth=1
	v_lshl_add_u64 v[4:5], v[6:7], 3, s[14:15]
	global_load_b64 v[4:5], v[4:5], off
.LBB122_79:                             ;   in Loop: Header=BB122_53 Depth=1
	s_wait_xcnt 0x0
	s_or_b32 exec_lo, exec_lo, s18
.LBB122_80:                             ;   in Loop: Header=BB122_53 Depth=1
	s_delay_alu instid0(SALU_CYCLE_1)
	s_or_b32 exec_lo, exec_lo, s13
	v_add_nc_u64_e32 v[6:7], v[82:83], v[80:81]
	v_add_nc_u64_e32 v[8:9], v[84:85], v[80:81]
	global_load_b64 v[10:11], v[6:7], off
	global_load_b64 v[12:13], v[8:9], off
	s_wait_xcnt 0x1
	v_add_nc_u64_e32 v[6:7], v[52:53], v[80:81]
	s_wait_xcnt 0x0
	v_add_nc_u64_e32 v[8:9], v[62:63], v[80:81]
	global_load_b64 v[14:15], v[6:7], off
	global_load_b64 v[16:17], v[8:9], off
	s_wait_xcnt 0x1
	v_add_nc_u64_e32 v[6:7], v[54:55], v[80:81]
	s_wait_xcnt 0x0
	;; [unrolled: 6-line block ×7, first 2 shown]
	v_add_nc_u64_e32 v[8:9], v[78:79], v[80:81]
	global_load_b64 v[38:39], v[6:7], off
	global_load_b64 v[40:41], v[8:9], off
	s_wait_loadcnt 0x10
	s_wait_xcnt 0x0
	ds_bpermute_b32 v8, v2, v4
	ds_bpermute_b32 v9, v2, v5
	s_wait_loadcnt 0xe
	v_mul_f64_e32 v[6:7], v[10:11], v[12:13]
	s_wait_loadcnt 0xc
	v_mul_f64_e32 v[10:11], v[14:15], v[16:17]
	s_wait_dscnt 0x0
	s_delay_alu instid0(VALU_DEP_2)
	v_fmac_f64_e32 v[114:115], v[6:7], v[8:9]
	ds_bpermute_b32 v6, v2, v4 offset:4
	ds_bpermute_b32 v7, v2, v5 offset:4
	s_wait_loadcnt 0xa
	v_mul_f64_e32 v[8:9], v[18:19], v[20:21]
	s_wait_dscnt 0x0
	v_fmac_f64_e32 v[114:115], v[10:11], v[6:7]
	ds_bpermute_b32 v6, v2, v4 offset:8
	ds_bpermute_b32 v7, v2, v5 offset:8
	s_wait_loadcnt 0x8
	v_mul_f64_e32 v[10:11], v[22:23], v[24:25]
	s_wait_dscnt 0x0
	;; [unrolled: 6-line block ×5, first 2 shown]
	v_fmac_f64_e32 v[114:115], v[10:11], v[6:7]
	ds_bpermute_b32 v6, v2, v4 offset:24
	ds_bpermute_b32 v7, v2, v5 offset:24
	;; [unrolled: 1-line block ×4, first 2 shown]
	s_wait_dscnt 0x2
	v_fmac_f64_e32 v[114:115], v[8:9], v[6:7]
	s_wait_loadcnt 0x0
	v_mul_f64_e32 v[6:7], v[38:39], v[40:41]
	s_wait_dscnt 0x0
	s_delay_alu instid0(VALU_DEP_1) | instskip(NEXT) | instid1(VALU_DEP_1)
	v_fmac_f64_e32 v[114:115], v[6:7], v[4:5]
	v_mov_b64_e32 v[4:5], v[114:115]
.LBB122_81:                             ;   in Loop: Header=BB122_53 Depth=1
	s_add_nc_u64 s[24:25], s[24:25], s[20:21]
	v_add_nc_u64_e32 v[82:83], s[10:11], v[82:83]
	v_cmp_ge_i64_e64 s13, s[24:25], s[4:5]
	v_add_nc_u64_e32 v[84:85], s[10:11], v[84:85]
	v_add_nc_u64_e32 v[50:51], s[20:21], v[50:51]
	;; [unrolled: 1-line block ×30, first 2 shown]
	s_and_b32 vcc_lo, exec_lo, s13
	s_add_nc_u64 s[22:23], s[22:23], s[20:21]
	s_cbranch_vccnz .LBB122_83
; %bb.82:                               ;   in Loop: Header=BB122_53 Depth=1
	v_mov_b64_e32 v[114:115], v[4:5]
	s_branch .LBB122_53
.LBB122_83:
	s_mov_b32 s13, 0
	s_delay_alu instid0(SALU_CYCLE_1)
	s_lshl_b64 s[4:5], s[12:13], 6
	s_wait_kmcnt 0x0
	s_cmp_lg_u64 s[2:3], 0
	v_and_or_b32 v2, 0x3ff, v0, s4
	v_mov_b32_e32 v3, s5
	s_cselect_b32 s4, -1, 0
	s_delay_alu instid0(VALU_DEP_1) | instskip(SKIP_1) | instid1(SALU_CYCLE_1)
	v_cmp_gt_i64_e32 vcc_lo, s[6:7], v[2:3]
	s_and_b32 s4, vcc_lo, s4
	s_and_saveexec_b32 s5, s4
	s_cbranch_execz .LBB122_85
; %bb.84:
	s_load_u16 s0, s[0:1], 0x4e
	v_bfe_u32 v0, v0, 10, 10
	v_mov_b32_e32 v1, 0
	s_wait_kmcnt 0x0
	s_delay_alu instid0(VALU_DEP_1) | instskip(NEXT) | instid1(VALU_DEP_1)
	v_mad_nc_u64_u32 v[0:1], s0, s30, v[0:1]
	v_mul_u64_e32 v[0:1], s[6:7], v[0:1]
	s_delay_alu instid0(VALU_DEP_1) | instskip(NEXT) | instid1(VALU_DEP_1)
	v_lshl_add_u64 v[0:1], v[0:1], 3, s[2:3]
	v_lshl_add_u64 v[0:1], v[2:3], 3, v[0:1]
	global_store_b64 v[0:1], v[4:5], off
.LBB122_85:
	s_sendmsg sendmsg(MSG_DEALLOC_VGPRS)
	s_endpgm
	.section	.rodata,"a",@progbits
	.p2align	6, 0x0
	.amdhsa_kernel _ZN2at6native12_GLOBAL__N_135GammaBetaBackwardCUDAKernelTemplateIddLj64ELj1ELj8ELb1ELb0ELb1EEEvllPKT_S5_PKT0_S8_PS3_S9_
		.amdhsa_group_segment_fixed_size 0
		.amdhsa_private_segment_fixed_size 0
		.amdhsa_kernarg_size 320
		.amdhsa_user_sgpr_count 2
		.amdhsa_user_sgpr_dispatch_ptr 0
		.amdhsa_user_sgpr_queue_ptr 0
		.amdhsa_user_sgpr_kernarg_segment_ptr 1
		.amdhsa_user_sgpr_dispatch_id 0
		.amdhsa_user_sgpr_kernarg_preload_length 0
		.amdhsa_user_sgpr_kernarg_preload_offset 0
		.amdhsa_user_sgpr_private_segment_size 0
		.amdhsa_wavefront_size32 1
		.amdhsa_uses_dynamic_stack 0
		.amdhsa_enable_private_segment 0
		.amdhsa_system_sgpr_workgroup_id_x 1
		.amdhsa_system_sgpr_workgroup_id_y 1
		.amdhsa_system_sgpr_workgroup_id_z 0
		.amdhsa_system_sgpr_workgroup_info 0
		.amdhsa_system_vgpr_workitem_id 1
		.amdhsa_next_free_vgpr 121
		.amdhsa_next_free_sgpr 36
		.amdhsa_named_barrier_count 0
		.amdhsa_reserve_vcc 1
		.amdhsa_float_round_mode_32 0
		.amdhsa_float_round_mode_16_64 0
		.amdhsa_float_denorm_mode_32 3
		.amdhsa_float_denorm_mode_16_64 3
		.amdhsa_fp16_overflow 0
		.amdhsa_memory_ordered 1
		.amdhsa_forward_progress 1
		.amdhsa_inst_pref_size 44
		.amdhsa_round_robin_scheduling 0
		.amdhsa_exception_fp_ieee_invalid_op 0
		.amdhsa_exception_fp_denorm_src 0
		.amdhsa_exception_fp_ieee_div_zero 0
		.amdhsa_exception_fp_ieee_overflow 0
		.amdhsa_exception_fp_ieee_underflow 0
		.amdhsa_exception_fp_ieee_inexact 0
		.amdhsa_exception_int_div_zero 0
	.end_amdhsa_kernel
	.section	.text._ZN2at6native12_GLOBAL__N_135GammaBetaBackwardCUDAKernelTemplateIddLj64ELj1ELj8ELb1ELb0ELb1EEEvllPKT_S5_PKT0_S8_PS3_S9_,"axG",@progbits,_ZN2at6native12_GLOBAL__N_135GammaBetaBackwardCUDAKernelTemplateIddLj64ELj1ELj8ELb1ELb0ELb1EEEvllPKT_S5_PKT0_S8_PS3_S9_,comdat
.Lfunc_end122:
	.size	_ZN2at6native12_GLOBAL__N_135GammaBetaBackwardCUDAKernelTemplateIddLj64ELj1ELj8ELb1ELb0ELb1EEEvllPKT_S5_PKT0_S8_PS3_S9_, .Lfunc_end122-_ZN2at6native12_GLOBAL__N_135GammaBetaBackwardCUDAKernelTemplateIddLj64ELj1ELj8ELb1ELb0ELb1EEEvllPKT_S5_PKT0_S8_PS3_S9_
                                        ; -- End function
	.set _ZN2at6native12_GLOBAL__N_135GammaBetaBackwardCUDAKernelTemplateIddLj64ELj1ELj8ELb1ELb0ELb1EEEvllPKT_S5_PKT0_S8_PS3_S9_.num_vgpr, 121
	.set _ZN2at6native12_GLOBAL__N_135GammaBetaBackwardCUDAKernelTemplateIddLj64ELj1ELj8ELb1ELb0ELb1EEEvllPKT_S5_PKT0_S8_PS3_S9_.num_agpr, 0
	.set _ZN2at6native12_GLOBAL__N_135GammaBetaBackwardCUDAKernelTemplateIddLj64ELj1ELj8ELb1ELb0ELb1EEEvllPKT_S5_PKT0_S8_PS3_S9_.numbered_sgpr, 36
	.set _ZN2at6native12_GLOBAL__N_135GammaBetaBackwardCUDAKernelTemplateIddLj64ELj1ELj8ELb1ELb0ELb1EEEvllPKT_S5_PKT0_S8_PS3_S9_.num_named_barrier, 0
	.set _ZN2at6native12_GLOBAL__N_135GammaBetaBackwardCUDAKernelTemplateIddLj64ELj1ELj8ELb1ELb0ELb1EEEvllPKT_S5_PKT0_S8_PS3_S9_.private_seg_size, 0
	.set _ZN2at6native12_GLOBAL__N_135GammaBetaBackwardCUDAKernelTemplateIddLj64ELj1ELj8ELb1ELb0ELb1EEEvllPKT_S5_PKT0_S8_PS3_S9_.uses_vcc, 1
	.set _ZN2at6native12_GLOBAL__N_135GammaBetaBackwardCUDAKernelTemplateIddLj64ELj1ELj8ELb1ELb0ELb1EEEvllPKT_S5_PKT0_S8_PS3_S9_.uses_flat_scratch, 0
	.set _ZN2at6native12_GLOBAL__N_135GammaBetaBackwardCUDAKernelTemplateIddLj64ELj1ELj8ELb1ELb0ELb1EEEvllPKT_S5_PKT0_S8_PS3_S9_.has_dyn_sized_stack, 0
	.set _ZN2at6native12_GLOBAL__N_135GammaBetaBackwardCUDAKernelTemplateIddLj64ELj1ELj8ELb1ELb0ELb1EEEvllPKT_S5_PKT0_S8_PS3_S9_.has_recursion, 0
	.set _ZN2at6native12_GLOBAL__N_135GammaBetaBackwardCUDAKernelTemplateIddLj64ELj1ELj8ELb1ELb0ELb1EEEvllPKT_S5_PKT0_S8_PS3_S9_.has_indirect_call, 0
	.section	.AMDGPU.csdata,"",@progbits
; Kernel info:
; codeLenInByte = 5592
; TotalNumSgprs: 38
; NumVgprs: 121
; ScratchSize: 0
; MemoryBound: 1
; FloatMode: 240
; IeeeMode: 1
; LDSByteSize: 0 bytes/workgroup (compile time only)
; SGPRBlocks: 0
; VGPRBlocks: 7
; NumSGPRsForWavesPerEU: 38
; NumVGPRsForWavesPerEU: 121
; NamedBarCnt: 0
; Occupancy: 8
; WaveLimiterHint : 0
; COMPUTE_PGM_RSRC2:SCRATCH_EN: 0
; COMPUTE_PGM_RSRC2:USER_SGPR: 2
; COMPUTE_PGM_RSRC2:TRAP_HANDLER: 0
; COMPUTE_PGM_RSRC2:TGID_X_EN: 1
; COMPUTE_PGM_RSRC2:TGID_Y_EN: 1
; COMPUTE_PGM_RSRC2:TGID_Z_EN: 0
; COMPUTE_PGM_RSRC2:TIDIG_COMP_CNT: 1
	.section	.text._ZN2at6native12_GLOBAL__N_135GammaBetaBackwardCUDAKernelTemplateIddLj64ELj8ELj64ELb0ELb1ELb1EEEvllPKT_S5_PKT0_S8_PS3_S9_,"axG",@progbits,_ZN2at6native12_GLOBAL__N_135GammaBetaBackwardCUDAKernelTemplateIddLj64ELj8ELj64ELb0ELb1ELb1EEEvllPKT_S5_PKT0_S8_PS3_S9_,comdat
	.globl	_ZN2at6native12_GLOBAL__N_135GammaBetaBackwardCUDAKernelTemplateIddLj64ELj8ELj64ELb0ELb1ELb1EEEvllPKT_S5_PKT0_S8_PS3_S9_ ; -- Begin function _ZN2at6native12_GLOBAL__N_135GammaBetaBackwardCUDAKernelTemplateIddLj64ELj8ELj64ELb0ELb1ELb1EEEvllPKT_S5_PKT0_S8_PS3_S9_
	.p2align	8
	.type	_ZN2at6native12_GLOBAL__N_135GammaBetaBackwardCUDAKernelTemplateIddLj64ELj8ELj64ELb0ELb1ELb1EEEvllPKT_S5_PKT0_S8_PS3_S9_,@function
_ZN2at6native12_GLOBAL__N_135GammaBetaBackwardCUDAKernelTemplateIddLj64ELj8ELj64ELb0ELb1ELb1EEEvllPKT_S5_PKT0_S8_PS3_S9_: ; @_ZN2at6native12_GLOBAL__N_135GammaBetaBackwardCUDAKernelTemplateIddLj64ELj8ELj64ELb0ELb1ELb1EEEvllPKT_S5_PKT0_S8_PS3_S9_
; %bb.0:
	s_load_b128 s[4:7], s[0:1], 0x0
	s_bfe_u32 s2, ttmp6, 0x40010
	s_bfe_u32 s3, ttmp6, 0x40004
	s_add_co_i32 s2, s2, 1
	s_getreg_b32 s20, hwreg(HW_REG_IB_STS2, 6, 4)
	s_mul_i32 s2, ttmp7, s2
	s_mov_b32 s13, 0
	s_add_co_i32 s3, s3, s2
	s_cmp_eq_u32 s20, 0
	v_bfe_u32 v13, v0, 10, 10
	s_cselect_b32 s2, ttmp7, s3
	s_delay_alu instid0(SALU_CYCLE_1)
	s_lshl_b32 s12, s2, 6
	s_wait_kmcnt 0x0
	v_cmp_gt_i64_e64 s2, s[4:5], s[12:13]
	s_and_b32 vcc_lo, exec_lo, s2
	s_cbranch_vccnz .LBB123_2
; %bb.1:
	v_bfe_u32 v1, v0, 10, 10
	s_mov_b32 s2, s13
	v_mov_b64_e32 v[2:3], 0
	v_and_b32_e32 v12, 0x3ff, v0
	s_and_not1_b32 vcc_lo, exec_lo, s2
	s_cbranch_vccz .LBB123_3
	s_branch .LBB123_10
.LBB123_2:
                                        ; implicit-def: $vgpr1
	v_mov_b64_e32 v[2:3], 0
	v_and_b32_e32 v12, 0x3ff, v0
.LBB123_3:
	v_dual_mov_b32 v1, 0 :: v_dual_lshlrev_b32 v0, 3, v13
	s_load_b32 s2, s[0:1], 0x4c
	s_bfe_u32 s14, ttmp6, 0x4000c
	s_clause 0x2
	s_load_b32 s3, s[0:1], 0x44
	s_load_b128 s[8:11], s[0:1], 0x10
	s_load_b64 s[16:17], s[0:1], 0x28
	s_add_co_i32 s14, s14, 1
	v_add_nc_u64_e32 v[2:3], s[12:13], v[0:1]
	s_and_b32 s18, ttmp6, 15
	s_mul_i32 s14, ttmp9, s14
	v_dual_mov_b32 v7, v1 :: v_dual_mov_b32 v11, v1
	s_add_co_i32 s18, s18, s14
	s_mov_b32 s15, 0
	s_delay_alu instid0(VALU_DEP_2)
	v_mul_u64_e32 v[8:9], s[6:7], v[2:3]
	v_dual_mov_b32 v0, 8 :: v_dual_mov_b32 v14, 4
	v_dual_mov_b32 v16, 16 :: v_dual_mov_b32 v17, 20
	v_dual_mov_b32 v18, 24 :: v_dual_mov_b32 v19, 28
	v_mov_b32_e32 v15, 12
	s_wait_kmcnt 0x0
	s_and_b32 s2, s2, 0xffff
	s_cmp_eq_u32 s20, 0
	v_mad_u32_u24 v4, v13, s2, v12
	s_cselect_b32 s2, ttmp9, s18
	s_lshl_b32 s14, s3, 6
	v_lshl_add_u32 v10, s2, 6, v12
	s_mul_u64 s[18:19], s[6:7], s[14:15]
	v_and_b32_e32 v6, 31, v4
	s_lshl_b64 s[18:19], s[18:19], 3
	s_lshl_b64 s[6:7], s[6:7], 3
	v_lshlrev_b64_e32 v[10:11], 3, v[10:11]
	s_delay_alu instid0(VALU_DEP_2) | instskip(SKIP_2) | instid1(VALU_DEP_3)
	v_add_nc_u64_e32 v[4:5], v[2:3], v[6:7]
	v_mov_b64_e32 v[2:3], 0
	v_cmp_gt_u32_e64 s2, 8, v6
	v_lshl_add_u64 v[6:7], v[4:5], 3, s[16:17]
	s_lshl_b64 s[16:17], s[14:15], 3
	v_lshl_add_u64 v[8:9], v[8:9], 3, v[10:11]
	s_branch .LBB123_6
.LBB123_4:                              ;   in Loop: Header=BB123_6 Depth=1
	s_wait_xcnt 0x0
	s_or_b32 exec_lo, exec_lo, s21
.LBB123_5:                              ;   in Loop: Header=BB123_6 Depth=1
	s_delay_alu instid0(SALU_CYCLE_1)
	s_or_b32 exec_lo, exec_lo, s3
	v_add_nc_u64_e32 v[20:21], s[8:9], v[8:9]
	v_add_nc_u64_e32 v[22:23], s[10:11], v[8:9]
	s_add_nc_u64 s[12:13], s[12:13], s[14:15]
	v_add_nc_u64_e32 v[6:7], s[16:17], v[6:7]
	v_cmp_lt_i64_e64 s3, s[12:13], s[4:5]
	v_add_nc_u64_e32 v[4:5], s[14:15], v[4:5]
	v_add_nc_u64_e32 v[8:9], s[18:19], v[8:9]
	global_load_b64 v[24:25], v[20:21], off
	global_load_b64 v[26:27], v[22:23], off
	s_wait_xcnt 0x1
	v_add_nc_u64_e32 v[20:21], s[6:7], v[20:21]
	s_wait_xcnt 0x0
	v_add_nc_u64_e32 v[22:23], s[6:7], v[22:23]
	global_load_b64 v[28:29], v[20:21], off
	global_load_b64 v[30:31], v[22:23], off
	s_wait_xcnt 0x1
	v_add_nc_u64_e32 v[20:21], s[6:7], v[20:21]
	s_wait_xcnt 0x0
	v_add_nc_u64_e32 v[22:23], s[6:7], v[22:23]
	s_and_b32 vcc_lo, exec_lo, s3
	global_load_b64 v[32:33], v[20:21], off
	global_load_b64 v[34:35], v[22:23], off
	s_wait_xcnt 0x1
	v_add_nc_u64_e32 v[20:21], s[6:7], v[20:21]
	s_wait_xcnt 0x0
	v_add_nc_u64_e32 v[22:23], s[6:7], v[22:23]
	global_load_b64 v[36:37], v[20:21], off
	global_load_b64 v[38:39], v[22:23], off
	s_wait_xcnt 0x1
	v_add_nc_u64_e32 v[20:21], s[6:7], v[20:21]
	s_wait_xcnt 0x0
	v_add_nc_u64_e32 v[22:23], s[6:7], v[22:23]
	;; [unrolled: 6-line block ×5, first 2 shown]
	global_load_b64 v[52:53], v[20:21], off
	global_load_b64 v[54:55], v[22:23], off
	s_wait_loadcnt 0x10
	s_wait_xcnt 0x0
	ds_bpermute_b32 v22, v1, v10
	ds_bpermute_b32 v23, v1, v11
	s_wait_loadcnt 0xe
	v_mul_f64_e32 v[20:21], v[24:25], v[26:27]
	s_wait_loadcnt 0xc
	v_mul_f64_e32 v[24:25], v[28:29], v[30:31]
	s_wait_dscnt 0x0
	s_delay_alu instid0(VALU_DEP_2)
	v_fmac_f64_e32 v[2:3], v[20:21], v[22:23]
	ds_bpermute_b32 v20, v14, v10
	ds_bpermute_b32 v21, v14, v11
	s_wait_loadcnt 0xa
	v_mul_f64_e32 v[22:23], v[32:33], v[34:35]
	s_wait_dscnt 0x0
	v_fmac_f64_e32 v[2:3], v[24:25], v[20:21]
	ds_bpermute_b32 v20, v0, v10
	ds_bpermute_b32 v21, v0, v11
	s_wait_loadcnt 0x8
	v_mul_f64_e32 v[24:25], v[36:37], v[38:39]
	s_wait_dscnt 0x0
	;; [unrolled: 6-line block ×5, first 2 shown]
	v_fmac_f64_e32 v[2:3], v[24:25], v[20:21]
	ds_bpermute_b32 v20, v18, v10
	ds_bpermute_b32 v21, v18, v11
	;; [unrolled: 1-line block ×4, first 2 shown]
	s_wait_dscnt 0x2
	v_fmac_f64_e32 v[2:3], v[22:23], v[20:21]
	s_wait_loadcnt 0x0
	v_mul_f64_e32 v[20:21], v[52:53], v[54:55]
	s_wait_dscnt 0x0
	s_delay_alu instid0(VALU_DEP_1)
	v_fmac_f64_e32 v[2:3], v[20:21], v[10:11]
	s_cbranch_vccz .LBB123_9
.LBB123_6:                              ; =>This Inner Loop Header: Depth=1
	v_mov_b64_e32 v[10:11], 0
	s_and_saveexec_b32 s3, s2
	s_cbranch_execz .LBB123_5
; %bb.7:                                ;   in Loop: Header=BB123_6 Depth=1
	v_mov_b64_e32 v[10:11], 0
	s_mov_b32 s21, exec_lo
	v_cmpx_gt_i64_e64 s[4:5], v[4:5]
	s_cbranch_execz .LBB123_4
; %bb.8:                                ;   in Loop: Header=BB123_6 Depth=1
	global_load_b64 v[10:11], v[6:7], off
	s_branch .LBB123_4
.LBB123_9:
	v_mov_b32_e32 v1, v13
.LBB123_10:
	s_load_b64 s[2:3], s[0:1], 0x30
	s_delay_alu instid0(VALU_DEP_1) | instskip(SKIP_3) | instid1(VALU_DEP_2)
	v_mad_u32_u24 v0, 0x41, v1, v12
	v_mov_b64_e32 v[6:7], 0
	s_wait_xcnt 0x0
	s_mov_b32 s0, exec_lo
	v_lshl_add_u32 v4, v0, 3, 0
	v_sub_nc_u32_e32 v5, v0, v1
	ds_store_b64 v4, v[2:3]
	ds_store_b64 v4, v[6:7] offset:4160
	s_wait_dscnt 0x0
	s_barrier_signal -1
	s_barrier_wait -1
	v_cmpx_gt_u32_e32 0x800, v5
	s_cbranch_execz .LBB123_30
; %bb.11:
	v_dual_lshrrev_b32 v4, 5, v5 :: v_dual_bitop2_b32 v0, 31, v12 bitop3:0x40
	s_delay_alu instid0(VALU_DEP_1)
	v_cmp_gt_u32_e32 vcc_lo, 8, v0
	v_mul_u32_u24_e32 v2, 0x41, v0
                                        ; implicit-def: $vgpr0_vgpr1
	s_and_saveexec_b32 s0, vcc_lo
; %bb.12:
	s_delay_alu instid0(VALU_DEP_1) | instskip(NEXT) | instid1(VALU_DEP_1)
	v_dual_lshlrev_b32 v0, 3, v4 :: v_dual_lshlrev_b32 v1, 3, v2
	v_add3_u32 v0, 0, v0, v1
	ds_load_b64 v[0:1], v0
; %bb.13:
	s_or_b32 exec_lo, exec_lo, s0
	v_mbcnt_lo_u32_b32 v10, -1, 0
	s_wait_kmcnt 0x0
	s_cmp_lg_u64 s[2:3], 0
	s_cselect_b32 s1, -1, 0
	s_bfe_u32 s4, ttmp6, 0x4000c
	v_xor_b32_e32 v3, 4, v10
	s_add_co_i32 s4, s4, 1
	s_and_b32 s5, ttmp6, 15
	s_mul_i32 s4, ttmp9, s4
	s_delay_alu instid0(VALU_DEP_1) | instskip(NEXT) | instid1(VALU_DEP_1)
	v_cmp_gt_i32_e64 s0, 32, v3
	v_cndmask_b32_e64 v3, v10, v3, s0
	s_delay_alu instid0(VALU_DEP_1)
	v_lshlrev_b32_e32 v3, 2, v3
	s_wait_dscnt 0x0
	ds_bpermute_b32 v6, v3, v0
	ds_bpermute_b32 v7, v3, v1
	s_wait_dscnt 0x0
	v_add_f64_e32 v[0:1], v[0:1], v[6:7]
	v_xor_b32_e32 v6, 2, v10
	v_xor_b32_e32 v7, 1, v10
	s_delay_alu instid0(VALU_DEP_2) | instskip(NEXT) | instid1(VALU_DEP_1)
	v_cmp_gt_i32_e64 s0, 32, v6
	v_cndmask_b32_e64 v6, v10, v6, s0
	s_delay_alu instid0(VALU_DEP_3) | instskip(NEXT) | instid1(VALU_DEP_1)
	v_cmp_gt_i32_e64 s0, 32, v7
	v_dual_lshlrev_b32 v6, 2, v6 :: v_dual_cndmask_b32 v7, v10, v7, s0
	v_cmp_eq_u32_e64 s0, 0, v12
	s_delay_alu instid0(VALU_DEP_2)
	v_lshlrev_b32_e32 v7, 2, v7
	s_and_b32 s1, s0, s1
	s_add_co_i32 s0, s5, s4
	s_cmp_eq_u32 s20, 0
	s_mov_b32 s5, 0
	s_cselect_b32 s4, ttmp9, s0
	s_delay_alu instid0(SALU_CYCLE_1) | instskip(NEXT) | instid1(SALU_CYCLE_1)
	s_lshl_b64 s[4:5], s[4:5], 9
	s_add_nc_u64 s[2:3], s[2:3], s[4:5]
	ds_bpermute_b32 v8, v6, v0
	ds_bpermute_b32 v9, v6, v1
	s_wait_dscnt 0x0
	v_add_f64_e32 v[0:1], v[0:1], v[8:9]
	ds_bpermute_b32 v8, v7, v0
	ds_bpermute_b32 v9, v7, v1
	s_wait_dscnt 0x0
	v_add_f64_e32 v[0:1], v[0:1], v[8:9]
	s_and_saveexec_b32 s0, s1
	s_cbranch_execz .LBB123_15
; %bb.14:
	global_store_b64 v4, v[0:1], s[2:3] scale_offset
.LBB123_15:
	s_wait_xcnt 0x0
	s_or_b32 exec_lo, exec_lo, s0
	v_cmp_gt_u32_e64 s0, 0x600, v5
	s_and_b32 exec_lo, exec_lo, s0
	s_cbranch_execz .LBB123_30
; %bb.16:
	s_and_saveexec_b32 s0, vcc_lo
; %bb.17:
	v_dual_lshlrev_b32 v0, 3, v4 :: v_dual_lshlrev_b32 v1, 3, v2
	s_delay_alu instid0(VALU_DEP_1)
	v_add3_u32 v0, 0, v0, v1
	ds_load_b64 v[0:1], v0 offset:128
; %bb.18:
	s_or_b32 exec_lo, exec_lo, s0
	s_wait_dscnt 0x0
	ds_bpermute_b32 v8, v3, v0
	ds_bpermute_b32 v9, v3, v1
	s_wait_dscnt 0x0
	v_add_f64_e32 v[0:1], v[0:1], v[8:9]
	ds_bpermute_b32 v8, v6, v0
	ds_bpermute_b32 v9, v6, v1
	s_wait_dscnt 0x0
	v_add_f64_e32 v[0:1], v[0:1], v[8:9]
	;; [unrolled: 4-line block ×3, first 2 shown]
	s_and_saveexec_b32 s0, s1
	s_cbranch_execz .LBB123_20
; %bb.19:
	global_store_b64 v4, v[0:1], s[2:3] offset:128 scale_offset
.LBB123_20:
	s_wait_xcnt 0x0
	s_or_b32 exec_lo, exec_lo, s0
	v_cmp_gt_u32_e64 s0, 0x400, v5
	s_and_b32 exec_lo, exec_lo, s0
	s_cbranch_execz .LBB123_30
; %bb.21:
	s_and_saveexec_b32 s0, vcc_lo
; %bb.22:
	v_dual_lshlrev_b32 v0, 3, v4 :: v_dual_lshlrev_b32 v1, 3, v2
	s_delay_alu instid0(VALU_DEP_1)
	v_add3_u32 v0, 0, v0, v1
	ds_load_b64 v[0:1], v0 offset:256
; %bb.23:
	s_or_b32 exec_lo, exec_lo, s0
	s_wait_dscnt 0x0
	ds_bpermute_b32 v8, v3, v0
	ds_bpermute_b32 v9, v3, v1
	s_wait_dscnt 0x0
	v_add_f64_e32 v[0:1], v[0:1], v[8:9]
	ds_bpermute_b32 v8, v6, v0
	ds_bpermute_b32 v9, v6, v1
	s_wait_dscnt 0x0
	v_add_f64_e32 v[0:1], v[0:1], v[8:9]
	;; [unrolled: 4-line block ×3, first 2 shown]
	s_and_saveexec_b32 s0, s1
	s_cbranch_execz .LBB123_25
; %bb.24:
	global_store_b64 v4, v[0:1], s[2:3] offset:256 scale_offset
.LBB123_25:
	s_wait_xcnt 0x0
	s_or_b32 exec_lo, exec_lo, s0
	v_cmp_gt_u32_e64 s0, 0x200, v5
	s_and_b32 exec_lo, exec_lo, s0
	s_cbranch_execz .LBB123_30
; %bb.26:
	s_and_saveexec_b32 s0, vcc_lo
; %bb.27:
	v_dual_lshlrev_b32 v0, 3, v4 :: v_dual_lshlrev_b32 v1, 3, v2
	s_delay_alu instid0(VALU_DEP_1)
	v_add3_u32 v0, 0, v0, v1
	ds_load_b64 v[0:1], v0 offset:384
; %bb.28:
	s_or_b32 exec_lo, exec_lo, s0
	s_wait_dscnt 0x0
	ds_bpermute_b32 v2, v3, v0
	ds_bpermute_b32 v3, v3, v1
	s_wait_dscnt 0x0
	v_add_f64_e32 v[0:1], v[0:1], v[2:3]
	ds_bpermute_b32 v2, v6, v0
	ds_bpermute_b32 v3, v6, v1
	s_wait_dscnt 0x0
	v_add_f64_e32 v[0:1], v[0:1], v[2:3]
	ds_bpermute_b32 v2, v7, v0
	ds_bpermute_b32 v3, v7, v1
	s_and_saveexec_b32 s0, s1
	s_delay_alu instid0(SALU_CYCLE_1)
	s_xor_b32 s0, exec_lo, s0
	s_cbranch_execz .LBB123_30
; %bb.29:
	s_wait_dscnt 0x0
	v_add_f64_e32 v[0:1], v[0:1], v[2:3]
	global_store_b64 v4, v[0:1], s[2:3] offset:384 scale_offset
.LBB123_30:
	s_endpgm
	.section	.rodata,"a",@progbits
	.p2align	6, 0x0
	.amdhsa_kernel _ZN2at6native12_GLOBAL__N_135GammaBetaBackwardCUDAKernelTemplateIddLj64ELj8ELj64ELb0ELb1ELb1EEEvllPKT_S5_PKT0_S8_PS3_S9_
		.amdhsa_group_segment_fixed_size 0
		.amdhsa_private_segment_fixed_size 0
		.amdhsa_kernarg_size 320
		.amdhsa_user_sgpr_count 2
		.amdhsa_user_sgpr_dispatch_ptr 0
		.amdhsa_user_sgpr_queue_ptr 0
		.amdhsa_user_sgpr_kernarg_segment_ptr 1
		.amdhsa_user_sgpr_dispatch_id 0
		.amdhsa_user_sgpr_kernarg_preload_length 0
		.amdhsa_user_sgpr_kernarg_preload_offset 0
		.amdhsa_user_sgpr_private_segment_size 0
		.amdhsa_wavefront_size32 1
		.amdhsa_uses_dynamic_stack 0
		.amdhsa_enable_private_segment 0
		.amdhsa_system_sgpr_workgroup_id_x 1
		.amdhsa_system_sgpr_workgroup_id_y 1
		.amdhsa_system_sgpr_workgroup_id_z 0
		.amdhsa_system_sgpr_workgroup_info 0
		.amdhsa_system_vgpr_workitem_id 1
		.amdhsa_next_free_vgpr 56
		.amdhsa_next_free_sgpr 22
		.amdhsa_named_barrier_count 0
		.amdhsa_reserve_vcc 1
		.amdhsa_float_round_mode_32 0
		.amdhsa_float_round_mode_16_64 0
		.amdhsa_float_denorm_mode_32 3
		.amdhsa_float_denorm_mode_16_64 3
		.amdhsa_fp16_overflow 0
		.amdhsa_memory_ordered 1
		.amdhsa_forward_progress 1
		.amdhsa_inst_pref_size 16
		.amdhsa_round_robin_scheduling 0
		.amdhsa_exception_fp_ieee_invalid_op 0
		.amdhsa_exception_fp_denorm_src 0
		.amdhsa_exception_fp_ieee_div_zero 0
		.amdhsa_exception_fp_ieee_overflow 0
		.amdhsa_exception_fp_ieee_underflow 0
		.amdhsa_exception_fp_ieee_inexact 0
		.amdhsa_exception_int_div_zero 0
	.end_amdhsa_kernel
	.section	.text._ZN2at6native12_GLOBAL__N_135GammaBetaBackwardCUDAKernelTemplateIddLj64ELj8ELj64ELb0ELb1ELb1EEEvllPKT_S5_PKT0_S8_PS3_S9_,"axG",@progbits,_ZN2at6native12_GLOBAL__N_135GammaBetaBackwardCUDAKernelTemplateIddLj64ELj8ELj64ELb0ELb1ELb1EEEvllPKT_S5_PKT0_S8_PS3_S9_,comdat
.Lfunc_end123:
	.size	_ZN2at6native12_GLOBAL__N_135GammaBetaBackwardCUDAKernelTemplateIddLj64ELj8ELj64ELb0ELb1ELb1EEEvllPKT_S5_PKT0_S8_PS3_S9_, .Lfunc_end123-_ZN2at6native12_GLOBAL__N_135GammaBetaBackwardCUDAKernelTemplateIddLj64ELj8ELj64ELb0ELb1ELb1EEEvllPKT_S5_PKT0_S8_PS3_S9_
                                        ; -- End function
	.set _ZN2at6native12_GLOBAL__N_135GammaBetaBackwardCUDAKernelTemplateIddLj64ELj8ELj64ELb0ELb1ELb1EEEvllPKT_S5_PKT0_S8_PS3_S9_.num_vgpr, 56
	.set _ZN2at6native12_GLOBAL__N_135GammaBetaBackwardCUDAKernelTemplateIddLj64ELj8ELj64ELb0ELb1ELb1EEEvllPKT_S5_PKT0_S8_PS3_S9_.num_agpr, 0
	.set _ZN2at6native12_GLOBAL__N_135GammaBetaBackwardCUDAKernelTemplateIddLj64ELj8ELj64ELb0ELb1ELb1EEEvllPKT_S5_PKT0_S8_PS3_S9_.numbered_sgpr, 22
	.set _ZN2at6native12_GLOBAL__N_135GammaBetaBackwardCUDAKernelTemplateIddLj64ELj8ELj64ELb0ELb1ELb1EEEvllPKT_S5_PKT0_S8_PS3_S9_.num_named_barrier, 0
	.set _ZN2at6native12_GLOBAL__N_135GammaBetaBackwardCUDAKernelTemplateIddLj64ELj8ELj64ELb0ELb1ELb1EEEvllPKT_S5_PKT0_S8_PS3_S9_.private_seg_size, 0
	.set _ZN2at6native12_GLOBAL__N_135GammaBetaBackwardCUDAKernelTemplateIddLj64ELj8ELj64ELb0ELb1ELb1EEEvllPKT_S5_PKT0_S8_PS3_S9_.uses_vcc, 1
	.set _ZN2at6native12_GLOBAL__N_135GammaBetaBackwardCUDAKernelTemplateIddLj64ELj8ELj64ELb0ELb1ELb1EEEvllPKT_S5_PKT0_S8_PS3_S9_.uses_flat_scratch, 0
	.set _ZN2at6native12_GLOBAL__N_135GammaBetaBackwardCUDAKernelTemplateIddLj64ELj8ELj64ELb0ELb1ELb1EEEvllPKT_S5_PKT0_S8_PS3_S9_.has_dyn_sized_stack, 0
	.set _ZN2at6native12_GLOBAL__N_135GammaBetaBackwardCUDAKernelTemplateIddLj64ELj8ELj64ELb0ELb1ELb1EEEvllPKT_S5_PKT0_S8_PS3_S9_.has_recursion, 0
	.set _ZN2at6native12_GLOBAL__N_135GammaBetaBackwardCUDAKernelTemplateIddLj64ELj8ELj64ELb0ELb1ELb1EEEvllPKT_S5_PKT0_S8_PS3_S9_.has_indirect_call, 0
	.section	.AMDGPU.csdata,"",@progbits
; Kernel info:
; codeLenInByte = 1980
; TotalNumSgprs: 24
; NumVgprs: 56
; ScratchSize: 0
; MemoryBound: 0
; FloatMode: 240
; IeeeMode: 1
; LDSByteSize: 0 bytes/workgroup (compile time only)
; SGPRBlocks: 0
; VGPRBlocks: 3
; NumSGPRsForWavesPerEU: 24
; NumVGPRsForWavesPerEU: 56
; NamedBarCnt: 0
; Occupancy: 16
; WaveLimiterHint : 0
; COMPUTE_PGM_RSRC2:SCRATCH_EN: 0
; COMPUTE_PGM_RSRC2:USER_SGPR: 2
; COMPUTE_PGM_RSRC2:TRAP_HANDLER: 0
; COMPUTE_PGM_RSRC2:TGID_X_EN: 1
; COMPUTE_PGM_RSRC2:TGID_Y_EN: 1
; COMPUTE_PGM_RSRC2:TGID_Z_EN: 0
; COMPUTE_PGM_RSRC2:TIDIG_COMP_CNT: 1
	.section	.text._ZN2at6native12_GLOBAL__N_135GammaBetaBackwardCUDAKernelTemplateIddLj64ELj8ELj64ELb0ELb0ELb1EEEvllPKT_S5_PKT0_S8_PS3_S9_,"axG",@progbits,_ZN2at6native12_GLOBAL__N_135GammaBetaBackwardCUDAKernelTemplateIddLj64ELj8ELj64ELb0ELb0ELb1EEEvllPKT_S5_PKT0_S8_PS3_S9_,comdat
	.globl	_ZN2at6native12_GLOBAL__N_135GammaBetaBackwardCUDAKernelTemplateIddLj64ELj8ELj64ELb0ELb0ELb1EEEvllPKT_S5_PKT0_S8_PS3_S9_ ; -- Begin function _ZN2at6native12_GLOBAL__N_135GammaBetaBackwardCUDAKernelTemplateIddLj64ELj8ELj64ELb0ELb0ELb1EEEvllPKT_S5_PKT0_S8_PS3_S9_
	.p2align	8
	.type	_ZN2at6native12_GLOBAL__N_135GammaBetaBackwardCUDAKernelTemplateIddLj64ELj8ELj64ELb0ELb0ELb1EEEvllPKT_S5_PKT0_S8_PS3_S9_,@function
_ZN2at6native12_GLOBAL__N_135GammaBetaBackwardCUDAKernelTemplateIddLj64ELj8ELj64ELb0ELb0ELb1EEEvllPKT_S5_PKT0_S8_PS3_S9_: ; @_ZN2at6native12_GLOBAL__N_135GammaBetaBackwardCUDAKernelTemplateIddLj64ELj8ELj64ELb0ELb0ELb1EEEvllPKT_S5_PKT0_S8_PS3_S9_
; %bb.0:
	s_load_b256 s[4:11], s[0:1], 0x0
	s_bfe_u32 s3, ttmp6, 0x4000c
	s_bfe_u32 s12, ttmp6, 0x40010
	s_add_co_i32 s3, s3, 1
	s_add_co_i32 s12, s12, 1
	s_and_b32 s2, ttmp6, 15
	s_bfe_u32 s13, ttmp6, 0x40004
	s_mul_i32 s3, ttmp9, s3
	s_mul_i32 s12, ttmp7, s12
	s_getreg_b32 s14, hwreg(HW_REG_IB_STS2, 6, 4)
	s_add_co_i32 s2, s2, s3
	s_add_co_i32 s13, s13, s12
	s_cmp_eq_u32 s14, 0
	s_mov_b32 s17, 0
	s_cselect_b32 s12, ttmp9, s2
	s_cselect_b32 s2, ttmp7, s13
	s_lshl_b32 s3, s12, 6
	s_load_b64 s[14:15], s[0:1], 0x28
	s_or_b32 s16, s3, 63
	s_wait_kmcnt 0x0
	v_cmp_le_i64_e64 s18, s[6:7], s[16:17]
	s_lshl_b32 s16, s2, 6
	s_delay_alu instid0(SALU_CYCLE_1) | instskip(SKIP_2) | instid1(VALU_DEP_1)
	v_cmp_gt_i64_e64 s13, s[4:5], s[16:17]
	s_and_b32 vcc_lo, exec_lo, s18
	v_cndmask_b32_e64 v1, 0, 1, s13
	v_cmp_ne_u32_e64 s2, 1, v1
	s_cbranch_vccz .LBB124_49
; %bb.1:
	v_mov_b64_e32 v[4:5], 0
	s_and_b32 vcc_lo, exec_lo, s2
	s_cbranch_vccnz .LBB124_50
; %bb.2:
	v_bfe_u32 v1, v0, 10, 10
	v_mov_b32_e32 v2, 0
	v_and_b32_e32 v92, 0x3ff, v0
	s_load_b32 s18, s[0:1], 0x44
	s_mov_b32 s19, 0
	s_delay_alu instid0(VALU_DEP_2) | instskip(NEXT) | instid1(VALU_DEP_2)
	v_dual_mov_b32 v51, v2 :: v_dual_lshlrev_b32 v50, 3, v1
	v_dual_mov_b32 v19, v2 :: v_dual_add_nc_u32 v18, s3, v92
	v_mov_b64_e32 v[86:87], 0
	s_mov_b32 s31, s19
	s_delay_alu instid0(VALU_DEP_3)
	v_add_nc_u64_e32 v[4:5], s[16:17], v[50:51]
	s_mov_b64 s[20:21], 0xffffffffffffffc1
	v_cmp_gt_i64_e64 s2, s[6:7], v[18:19]
	v_lshlrev_b64_e32 v[52:53], 3, v[18:19]
	s_mov_b64 s[22:23], 0xffffffffffffffc2
	s_mov_b64 s[24:25], 0xffffffffffffffc3
	;; [unrolled: 1-line block ×3, first 2 shown]
	v_mul_u64_e32 v[6:7], s[6:7], v[4:5]
	v_add_nc_u64_e32 v[8:9], 7, v[4:5]
	v_add_nc_u64_e32 v[10:11], 6, v[4:5]
	;; [unrolled: 1-line block ×6, first 2 shown]
	s_wait_kmcnt 0x0
	s_lshl_b32 s30, s18, 6
	v_mul_u64_e32 v[8:9], s[6:7], v[8:9]
	v_mul_u64_e32 v[10:11], s[6:7], v[10:11]
	;; [unrolled: 1-line block ×6, first 2 shown]
	s_mul_u64 s[42:43], s[6:7], s[30:31]
	s_mov_b64 s[28:29], 0xffffffffffffffc5
	s_mov_b64 s[34:35], 0xffffffffffffffc6
	;; [unrolled: 1-line block ×4, first 2 shown]
	s_add_nc_u64 s[40:41], s[0:1], 64
	s_lshl_b64 s[42:43], s[42:43], 3
	s_add_nc_u64 s[44:45], s[16:17], 63
	s_mov_b64 s[46:47], s[16:17]
	v_lshlrev_b64_e32 v[20:21], 3, v[6:7]
	v_add_nc_u64_e32 v[6:7], s[6:7], v[6:7]
	s_delay_alu instid0(VALU_DEP_2)
	v_add_nc_u64_e32 v[54:55], s[8:9], v[20:21]
	v_lshlrev_b64_e32 v[8:9], 3, v[8:9]
	v_lshlrev_b64_e32 v[10:11], 3, v[10:11]
	;; [unrolled: 1-line block ×7, first 2 shown]
	v_add_nc_u64_e32 v[56:57], s[10:11], v[20:21]
	v_add_nc_u64_e32 v[58:59], s[8:9], v[8:9]
	;; [unrolled: 1-line block ×15, first 2 shown]
.LBB124_3:                              ; =>This Inner Loop Header: Depth=1
	v_cmp_ge_i64_e64 s18, s[44:45], s[4:5]
	v_add_nc_u64_e32 v[88:89], s[44:45], v[50:51]
                                        ; implicit-def: $vgpr4_vgpr5
                                        ; implicit-def: $vgpr18_vgpr19_vgpr20_vgpr21_vgpr22_vgpr23_vgpr24_vgpr25_vgpr26_vgpr27_vgpr28_vgpr29_vgpr30_vgpr31_vgpr32_vgpr33
                                        ; implicit-def: $vgpr34_vgpr35_vgpr36_vgpr37_vgpr38_vgpr39_vgpr40_vgpr41_vgpr42_vgpr43_vgpr44_vgpr45_vgpr46_vgpr47_vgpr48_vgpr49
                                        ; implicit-def: $vgpr6
	s_and_b32 vcc_lo, exec_lo, s18
	s_mov_b32 s18, -1
	s_cbranch_vccz .LBB124_25
; %bb.4:                                ;   in Loop: Header=BB124_3 Depth=1
	s_load_b32 s18, s[40:41], 0xc
	v_mov_b64_e32 v[90:91], 0
	s_wait_kmcnt 0x0
	s_and_b32 s18, s18, 0xffff
	s_delay_alu instid0(SALU_CYCLE_1) | instskip(SKIP_1) | instid1(VALU_DEP_1)
	v_mad_u32_u24 v3, v1, s18, v92
	s_mov_b32 s18, exec_lo
	v_and_b32_e32 v4, 31, v3
	s_delay_alu instid0(VALU_DEP_1)
	v_cmpx_gt_u32_e32 8, v4
	s_cbranch_execz .LBB124_8
; %bb.5:                                ;   in Loop: Header=BB124_3 Depth=1
	v_mov_b32_e32 v5, v2
	v_mov_b64_e32 v[90:91], 0
	s_mov_b32 s33, exec_lo
	s_delay_alu instid0(VALU_DEP_2) | instskip(NEXT) | instid1(VALU_DEP_1)
	v_add_nc_u64_e32 v[4:5], v[88:89], v[4:5]
	v_add_nc_u64_e32 v[4:5], s[20:21], v[4:5]
	s_delay_alu instid0(VALU_DEP_1)
	v_cmpx_gt_i64_e64 s[4:5], v[4:5]
	s_cbranch_execz .LBB124_7
; %bb.6:                                ;   in Loop: Header=BB124_3 Depth=1
	v_lshl_add_u64 v[4:5], v[4:5], 3, s[14:15]
	global_load_b64 v[90:91], v[4:5], off
.LBB124_7:                              ;   in Loop: Header=BB124_3 Depth=1
	s_wait_xcnt 0x0
	s_or_b32 exec_lo, exec_lo, s33
.LBB124_8:                              ;   in Loop: Header=BB124_3 Depth=1
	s_delay_alu instid0(SALU_CYCLE_1)
	s_or_b32 exec_lo, exec_lo, s18
	v_add_nc_u64_e32 v[18:19], s[20:21], v[88:89]
	v_dual_mov_b32 v15, v2 :: v_dual_mov_b32 v16, v2
	v_dual_mov_b32 v17, v2 :: v_dual_mov_b32 v3, v2
	;; [unrolled: 1-line block ×7, first 2 shown]
	v_mov_b32_e32 v14, v2
	v_cmp_gt_i64_e32 vcc_lo, s[4:5], v[18:19]
	v_mov_b64_e32 v[32:33], v[16:17]
	v_mov_b64_e32 v[48:49], v[16:17]
	;; [unrolled: 1-line block ×16, first 2 shown]
	s_and_b32 s33, s2, vcc_lo
	s_delay_alu instid0(SALU_CYCLE_1)
	s_and_saveexec_b32 s18, s33
	s_cbranch_execz .LBB124_10
; %bb.9:                                ;   in Loop: Header=BB124_3 Depth=1
	v_add_nc_u64_e32 v[4:5], v[54:55], v[52:53]
	v_add_nc_u64_e32 v[6:7], v[56:57], v[52:53]
	v_dual_mov_b32 v36, v2 :: v_dual_mov_b32 v37, v2
	v_dual_mov_b32 v38, v2 :: v_dual_mov_b32 v39, v2
	;; [unrolled: 1-line block ×3, first 2 shown]
	global_load_b64 v[34:35], v[4:5], off
	global_load_b64 v[18:19], v[6:7], off
	v_dual_mov_b32 v42, v2 :: v_dual_mov_b32 v43, v2
	v_dual_mov_b32 v44, v2 :: v_dual_mov_b32 v45, v2
	;; [unrolled: 1-line block ×11, first 2 shown]
.LBB124_10:                             ;   in Loop: Header=BB124_3 Depth=1
	s_wait_xcnt 0x0
	s_or_b32 exec_lo, exec_lo, s18
	v_add_nc_u64_e32 v[4:5], s[22:23], v[88:89]
	s_delay_alu instid0(VALU_DEP_1) | instskip(SKIP_1) | instid1(SALU_CYCLE_1)
	v_cmp_gt_i64_e32 vcc_lo, s[4:5], v[4:5]
	s_and_b32 s33, s2, vcc_lo
	s_and_saveexec_b32 s18, s33
	s_cbranch_execz .LBB124_12
; %bb.11:                               ;   in Loop: Header=BB124_3 Depth=1
	v_add_nc_u64_e32 v[4:5], v[82:83], v[52:53]
	v_add_nc_u64_e32 v[6:7], v[84:85], v[52:53]
	global_load_b64 v[36:37], v[4:5], off
	global_load_b64 v[20:21], v[6:7], off
.LBB124_12:                             ;   in Loop: Header=BB124_3 Depth=1
	s_wait_xcnt 0x0
	s_or_b32 exec_lo, exec_lo, s18
	v_add_nc_u64_e32 v[4:5], s[24:25], v[88:89]
	s_delay_alu instid0(VALU_DEP_1) | instskip(SKIP_1) | instid1(SALU_CYCLE_1)
	v_cmp_gt_i64_e32 vcc_lo, s[4:5], v[4:5]
	s_and_b32 s33, s2, vcc_lo
	s_and_saveexec_b32 s18, s33
	s_cbranch_execz .LBB124_14
; %bb.13:                               ;   in Loop: Header=BB124_3 Depth=1
	v_add_nc_u64_e32 v[4:5], v[78:79], v[52:53]
	v_add_nc_u64_e32 v[6:7], v[80:81], v[52:53]
	global_load_b64 v[38:39], v[4:5], off
	global_load_b64 v[22:23], v[6:7], off
.LBB124_14:                             ;   in Loop: Header=BB124_3 Depth=1
	;; [unrolled: 14-line block ×7, first 2 shown]
	s_wait_xcnt 0x0
	s_or_b32 exec_lo, exec_lo, s18
	s_wait_loadcnt 0x0
	v_mul_f64_e32 v[4:5], v[18:19], v[34:35]
	ds_bpermute_b32 v6, v2, v90
	ds_bpermute_b32 v7, v2, v91
	v_mul_f64_e32 v[8:9], v[20:21], v[36:37]
	v_mul_f64_e32 v[10:11], v[22:23], v[38:39]
	s_mov_b32 s18, 0
	s_wait_dscnt 0x0
	v_fma_f64 v[4:5], v[4:5], v[6:7], v[86:87]
	ds_bpermute_b32 v6, v2, v90 offset:4
	ds_bpermute_b32 v7, v2, v91 offset:4
	s_wait_dscnt 0x0
	v_fmac_f64_e32 v[4:5], v[8:9], v[6:7]
	ds_bpermute_b32 v6, v2, v90 offset:8
	ds_bpermute_b32 v7, v2, v91 offset:8
	v_mul_f64_e32 v[8:9], v[24:25], v[40:41]
	s_wait_dscnt 0x0
	v_fmac_f64_e32 v[4:5], v[10:11], v[6:7]
	ds_bpermute_b32 v6, v2, v90 offset:12
	ds_bpermute_b32 v7, v2, v91 offset:12
	v_mul_f64_e32 v[10:11], v[26:27], v[42:43]
	s_wait_dscnt 0x0
	v_fmac_f64_e32 v[4:5], v[8:9], v[6:7]
	ds_bpermute_b32 v6, v2, v90 offset:16
	ds_bpermute_b32 v7, v2, v91 offset:16
	v_mul_f64_e32 v[8:9], v[28:29], v[44:45]
	s_wait_dscnt 0x0
	v_fmac_f64_e32 v[4:5], v[10:11], v[6:7]
	ds_bpermute_b32 v6, v2, v90 offset:20
	ds_bpermute_b32 v7, v2, v91 offset:20
	s_wait_dscnt 0x0
	v_fmac_f64_e32 v[4:5], v[8:9], v[6:7]
	v_mul_f64_e32 v[6:7], v[30:31], v[46:47]
	ds_bpermute_b32 v8, v2, v90 offset:24
	ds_bpermute_b32 v9, v2, v91 offset:24
	s_wait_dscnt 0x0
	v_fmac_f64_e32 v[4:5], v[6:7], v[8:9]
	ds_bpermute_b32 v6, v2, v90 offset:28
	ds_bpermute_b32 v7, v2, v91 offset:28
.LBB124_25:                             ;   in Loop: Header=BB124_3 Depth=1
	s_and_b32 vcc_lo, exec_lo, s18
	s_cbranch_vccz .LBB124_40
; %bb.26:                               ;   in Loop: Header=BB124_3 Depth=1
	s_load_b32 s18, s[40:41], 0x0
	v_mov_b64_e32 v[90:91], 0
	s_wait_kmcnt 0x0
	s_cmp_lt_u32 s12, s18
	s_cselect_b32 s18, 12, 18
	s_delay_alu instid0(SALU_CYCLE_1) | instskip(SKIP_4) | instid1(VALU_DEP_1)
	s_add_nc_u64 s[48:49], s[40:41], s[18:19]
	s_load_u16 s18, s[48:49], 0x0
	s_wait_kmcnt 0x0
	v_mad_u32_u24 v3, v1, s18, v92
	s_mov_b32 s18, exec_lo
	v_and_b32_e32 v4, 31, v3
	s_delay_alu instid0(VALU_DEP_1)
	v_cmpx_gt_u32_e32 8, v4
	s_cbranch_execz .LBB124_30
; %bb.27:                               ;   in Loop: Header=BB124_3 Depth=1
	v_mov_b32_e32 v5, v2
	v_mov_b64_e32 v[90:91], 0
	s_mov_b32 s33, exec_lo
	s_delay_alu instid0(VALU_DEP_2) | instskip(NEXT) | instid1(VALU_DEP_1)
	v_add_nc_u64_e32 v[4:5], v[88:89], v[4:5]
	v_add_nc_u64_e32 v[4:5], s[20:21], v[4:5]
	s_delay_alu instid0(VALU_DEP_1)
	v_cmpx_gt_i64_e64 s[4:5], v[4:5]
	s_cbranch_execz .LBB124_29
; %bb.28:                               ;   in Loop: Header=BB124_3 Depth=1
	v_lshl_add_u64 v[4:5], v[4:5], 3, s[14:15]
	global_load_b64 v[90:91], v[4:5], off
.LBB124_29:                             ;   in Loop: Header=BB124_3 Depth=1
	s_wait_xcnt 0x0
	s_or_b32 exec_lo, exec_lo, s33
.LBB124_30:                             ;   in Loop: Header=BB124_3 Depth=1
	s_delay_alu instid0(SALU_CYCLE_1)
	s_or_b32 exec_lo, exec_lo, s18
	v_dual_mov_b32 v15, v2 :: v_dual_mov_b32 v16, v2
	v_dual_mov_b32 v17, v2 :: v_dual_mov_b32 v3, v2
	;; [unrolled: 1-line block ×3, first 2 shown]
	s_wait_dscnt 0x0
	v_dual_mov_b32 v6, v2 :: v_dual_mov_b32 v7, v2
	v_dual_mov_b32 v8, v2 :: v_dual_mov_b32 v9, v2
	;; [unrolled: 1-line block ×4, first 2 shown]
	v_mov_b32_e32 v14, v2
	v_mov_b64_e32 v[32:33], v[16:17]
	v_mov_b64_e32 v[48:49], v[16:17]
	;; [unrolled: 1-line block ×16, first 2 shown]
	s_and_saveexec_b32 s18, s2
	s_cbranch_execnz .LBB124_42
; %bb.31:                               ;   in Loop: Header=BB124_3 Depth=1
	s_or_b32 exec_lo, exec_lo, s18
	s_and_saveexec_b32 s18, s2
	s_cbranch_execnz .LBB124_43
.LBB124_32:                             ;   in Loop: Header=BB124_3 Depth=1
	s_or_b32 exec_lo, exec_lo, s18
	s_and_saveexec_b32 s18, s2
	s_cbranch_execnz .LBB124_44
.LBB124_33:                             ;   in Loop: Header=BB124_3 Depth=1
	s_or_b32 exec_lo, exec_lo, s18
	s_and_saveexec_b32 s18, s2
	s_cbranch_execnz .LBB124_45
.LBB124_34:                             ;   in Loop: Header=BB124_3 Depth=1
	s_or_b32 exec_lo, exec_lo, s18
	s_and_saveexec_b32 s18, s2
	s_cbranch_execnz .LBB124_46
.LBB124_35:                             ;   in Loop: Header=BB124_3 Depth=1
	s_or_b32 exec_lo, exec_lo, s18
	s_and_saveexec_b32 s18, s2
	s_cbranch_execnz .LBB124_47
.LBB124_36:                             ;   in Loop: Header=BB124_3 Depth=1
	s_or_b32 exec_lo, exec_lo, s18
	s_and_saveexec_b32 s18, s2
	s_cbranch_execnz .LBB124_48
.LBB124_37:                             ;   in Loop: Header=BB124_3 Depth=1
	s_or_b32 exec_lo, exec_lo, s18
	s_and_saveexec_b32 s18, s2
	s_cbranch_execz .LBB124_39
.LBB124_38:                             ;   in Loop: Header=BB124_3 Depth=1
	v_add_nc_u64_e32 v[4:5], v[58:59], v[52:53]
	v_add_nc_u64_e32 v[6:7], v[60:61], v[52:53]
	global_load_b64 v[48:49], v[4:5], off
	global_load_b64 v[32:33], v[6:7], off
.LBB124_39:                             ;   in Loop: Header=BB124_3 Depth=1
	s_wait_xcnt 0x0
	s_or_b32 exec_lo, exec_lo, s18
	s_wait_loadcnt 0x0
	v_mul_f64_e32 v[4:5], v[18:19], v[34:35]
	ds_bpermute_b32 v6, v2, v90
	ds_bpermute_b32 v7, v2, v91
	v_mul_f64_e32 v[8:9], v[20:21], v[36:37]
	s_wait_dscnt 0x0
	v_fmac_f64_e32 v[86:87], v[4:5], v[6:7]
	ds_bpermute_b32 v4, v2, v90 offset:4
	ds_bpermute_b32 v5, v2, v91 offset:4
	v_mul_f64_e32 v[6:7], v[22:23], v[38:39]
	s_wait_dscnt 0x0
	v_fmac_f64_e32 v[86:87], v[8:9], v[4:5]
	ds_bpermute_b32 v4, v2, v90 offset:8
	ds_bpermute_b32 v5, v2, v91 offset:8
	;; [unrolled: 5-line block ×5, first 2 shown]
	ds_bpermute_b32 v6, v2, v90 offset:24
	ds_bpermute_b32 v7, v2, v91 offset:24
	s_wait_dscnt 0x2
	v_fmac_f64_e32 v[86:87], v[8:9], v[4:5]
	v_mul_f64_e32 v[4:5], v[30:31], v[46:47]
	s_wait_dscnt 0x0
	s_delay_alu instid0(VALU_DEP_1)
	v_fmac_f64_e32 v[86:87], v[4:5], v[6:7]
	ds_bpermute_b32 v6, v2, v90 offset:28
	ds_bpermute_b32 v7, v2, v91 offset:28
	v_mov_b64_e32 v[4:5], v[86:87]
.LBB124_40:                             ;   in Loop: Header=BB124_3 Depth=1
	v_mul_f64_e32 v[8:9], v[48:49], v[32:33]
	s_add_nc_u64 s[46:47], s[46:47], s[30:31]
	v_add_nc_u64_e32 v[54:55], s[42:43], v[54:55]
	v_cmp_lt_i64_e64 s18, s[46:47], s[4:5]
	v_add_nc_u64_e32 v[56:57], s[42:43], v[56:57]
	v_add_nc_u64_e32 v[58:59], s[42:43], v[58:59]
	;; [unrolled: 1-line block ×15, first 2 shown]
	s_and_b32 vcc_lo, exec_lo, s18
	s_add_nc_u64 s[44:45], s[44:45], s[30:31]
	s_wait_dscnt 0x0
	v_fmac_f64_e32 v[4:5], v[8:9], v[6:7]
	s_cbranch_vccz .LBB124_50
; %bb.41:                               ;   in Loop: Header=BB124_3 Depth=1
	s_delay_alu instid0(VALU_DEP_1)
	v_mov_b64_e32 v[86:87], v[4:5]
	s_branch .LBB124_3
.LBB124_42:                             ;   in Loop: Header=BB124_3 Depth=1
	v_add_nc_u64_e32 v[4:5], v[54:55], v[52:53]
	v_add_nc_u64_e32 v[6:7], v[56:57], v[52:53]
	v_dual_mov_b32 v36, v2 :: v_dual_mov_b32 v37, v2
	v_dual_mov_b32 v38, v2 :: v_dual_mov_b32 v39, v2
	;; [unrolled: 1-line block ×3, first 2 shown]
	global_load_b64 v[34:35], v[4:5], off
	global_load_b64 v[18:19], v[6:7], off
	v_dual_mov_b32 v42, v2 :: v_dual_mov_b32 v43, v2
	v_dual_mov_b32 v44, v2 :: v_dual_mov_b32 v45, v2
	;; [unrolled: 1-line block ×11, first 2 shown]
	s_wait_xcnt 0x0
	s_or_b32 exec_lo, exec_lo, s18
	s_and_saveexec_b32 s18, s2
	s_cbranch_execz .LBB124_32
.LBB124_43:                             ;   in Loop: Header=BB124_3 Depth=1
	v_add_nc_u64_e32 v[4:5], v[82:83], v[52:53]
	v_add_nc_u64_e32 v[6:7], v[84:85], v[52:53]
	global_load_b64 v[36:37], v[4:5], off
	global_load_b64 v[20:21], v[6:7], off
	s_wait_xcnt 0x0
	s_or_b32 exec_lo, exec_lo, s18
	s_and_saveexec_b32 s18, s2
	s_cbranch_execz .LBB124_33
.LBB124_44:                             ;   in Loop: Header=BB124_3 Depth=1
	v_add_nc_u64_e32 v[4:5], v[78:79], v[52:53]
	v_add_nc_u64_e32 v[6:7], v[80:81], v[52:53]
	global_load_b64 v[38:39], v[4:5], off
	global_load_b64 v[22:23], v[6:7], off
	s_wait_xcnt 0x0
	s_or_b32 exec_lo, exec_lo, s18
	s_and_saveexec_b32 s18, s2
	s_cbranch_execz .LBB124_34
.LBB124_45:                             ;   in Loop: Header=BB124_3 Depth=1
	v_add_nc_u64_e32 v[4:5], v[74:75], v[52:53]
	v_add_nc_u64_e32 v[6:7], v[76:77], v[52:53]
	global_load_b64 v[40:41], v[4:5], off
	global_load_b64 v[24:25], v[6:7], off
	s_wait_xcnt 0x0
	s_or_b32 exec_lo, exec_lo, s18
	s_and_saveexec_b32 s18, s2
	s_cbranch_execz .LBB124_35
.LBB124_46:                             ;   in Loop: Header=BB124_3 Depth=1
	v_add_nc_u64_e32 v[4:5], v[70:71], v[52:53]
	v_add_nc_u64_e32 v[6:7], v[72:73], v[52:53]
	global_load_b64 v[42:43], v[4:5], off
	global_load_b64 v[26:27], v[6:7], off
	s_wait_xcnt 0x0
	s_or_b32 exec_lo, exec_lo, s18
	s_and_saveexec_b32 s18, s2
	s_cbranch_execz .LBB124_36
.LBB124_47:                             ;   in Loop: Header=BB124_3 Depth=1
	v_add_nc_u64_e32 v[4:5], v[66:67], v[52:53]
	v_add_nc_u64_e32 v[6:7], v[68:69], v[52:53]
	global_load_b64 v[44:45], v[4:5], off
	global_load_b64 v[28:29], v[6:7], off
	s_wait_xcnt 0x0
	s_or_b32 exec_lo, exec_lo, s18
	s_and_saveexec_b32 s18, s2
	s_cbranch_execz .LBB124_37
.LBB124_48:                             ;   in Loop: Header=BB124_3 Depth=1
	v_add_nc_u64_e32 v[4:5], v[62:63], v[52:53]
	v_add_nc_u64_e32 v[6:7], v[64:65], v[52:53]
	global_load_b64 v[46:47], v[4:5], off
	global_load_b64 v[30:31], v[6:7], off
	s_wait_xcnt 0x0
	s_or_b32 exec_lo, exec_lo, s18
	s_and_saveexec_b32 s18, s2
	s_cbranch_execnz .LBB124_38
	s_branch .LBB124_39
.LBB124_49:
                                        ; implicit-def: $vgpr4_vgpr5
	s_branch .LBB124_51
.LBB124_50:
	s_cbranch_execnz .LBB124_83
.LBB124_51:
	v_mov_b64_e32 v[4:5], 0
	s_and_not1_b32 vcc_lo, exec_lo, s13
	s_cbranch_vccnz .LBB124_83
; %bb.52:
	v_bfe_u32 v1, v0, 10, 10
	v_mov_b32_e32 v2, 0
	v_and_b32_e32 v120, 0x3ff, v0
	s_load_b32 s2, s[0:1], 0x44
	v_mov_b64_e32 v[114:115], 0
	s_delay_alu instid0(VALU_DEP_3) | instskip(SKIP_3) | instid1(VALU_DEP_2)
	v_dual_mov_b32 v5, v2 :: v_dual_lshlrev_b32 v4, 6, v1
	v_dual_mov_b32 v51, v2 :: v_dual_lshlrev_b32 v50, 3, v1
	s_mov_b64 s[20:21], 0xffffffffffffffc3
	s_mov_b64 s[22:23], 0xffffffffffffffc4
	v_lshl_add_u64 v[4:5], s[16:17], 3, v[4:5]
	s_mov_b64 s[24:25], 0xffffffffffffffc5
	s_mov_b64 s[26:27], 0xffffffffffffffc6
	;; [unrolled: 1-line block ×4, first 2 shown]
	v_add_nc_u64_e32 v[6:7], 8, v[4:5]
	v_add_nc_u64_e32 v[10:11], 16, v[4:5]
	;; [unrolled: 1-line block ×7, first 2 shown]
	v_mad_nc_u64_u32 v[52:53], s6, v6, s[8:9]
	v_mul_lo_u32 v3, s6, v7
	v_mul_lo_u32 v20, s7, v6
	v_mad_nc_u64_u32 v[62:63], s6, v6, s[10:11]
	v_mad_nc_u64_u32 v[56:57], s6, v12, s[8:9]
	v_mul_lo_u32 v26, s6, v13
	v_mad_nc_u64_u32 v[72:73], s6, v4, s[8:9]
	v_mul_lo_u32 v32, s7, v4
	v_mad_nc_u64_u32 v[78:79], s6, v4, s[10:11]
	v_add_nc_u32_e32 v4, s3, v120
	v_add_nc_u64_e32 v[8:9], s[16:17], v[50:51]
	v_mul_lo_u32 v27, s7, v12
	v_mad_nc_u64_u32 v[66:67], s6, v12, s[10:11]
	v_add3_u32 v53, v20, v53, v3
	v_add3_u32 v63, v20, v63, v3
	v_mad_nc_u64_u32 v[54:55], s6, v10, s[8:9]
	v_mul_lo_u32 v24, s6, v11
	v_add_nc_u64_e32 v[6:7], 7, v[8:9]
	v_add_nc_u64_e32 v[12:13], 6, v[8:9]
	;; [unrolled: 1-line block ×3, first 2 shown]
	v_mul_lo_u32 v25, s7, v10
	v_mad_nc_u64_u32 v[58:59], s6, v14, s[8:9]
	v_mul_lo_u32 v28, s6, v15
	v_mul_lo_u32 v29, s7, v14
	v_mul_u64_e32 v[6:7], s[6:7], v[6:7]
	v_mad_nc_u64_u32 v[64:65], s6, v10, s[10:11]
	v_mul_u64_e32 v[10:11], s[6:7], v[8:9]
	v_add_nc_u64_e32 v[22:23], 4, v[8:9]
	v_mad_nc_u64_u32 v[70:71], s6, v14, s[10:11]
	v_mul_u64_e32 v[12:13], s[6:7], v[12:13]
	v_add_nc_u64_e32 v[14:15], 3, v[8:9]
	v_add_nc_u64_e32 v[8:9], 2, v[8:9]
	v_mul_u64_e32 v[20:21], s[6:7], v[20:21]
	v_mad_nc_u64_u32 v[60:61], s6, v16, s[8:9]
	v_mul_u64_e32 v[22:23], s[6:7], v[22:23]
	v_mul_lo_u32 v17, s6, v17
	v_mul_lo_u32 v30, s7, v16
	v_mul_u64_e32 v[14:15], s[6:7], v[14:15]
	v_mul_u64_e32 v[8:9], s[6:7], v[8:9]
	v_mad_nc_u64_u32 v[74:75], s6, v16, s[10:11]
	v_mul_lo_u32 v3, s6, v5
	v_mov_b32_e32 v5, v2
	v_mad_nc_u64_u32 v[68:69], s6, v18, s[8:9]
	v_mul_lo_u32 v19, s6, v19
	v_mul_lo_u32 v31, s7, v18
	v_mad_nc_u64_u32 v[76:77], s6, v18, s[10:11]
	v_lshlrev_b64_e32 v[80:81], 3, v[4:5]
	v_add3_u32 v61, v30, v61, v17
	s_mov_b32 s3, 0
	s_wait_kmcnt 0x0
	s_lshl_b32 s18, s2, 6
	v_add3_u32 v75, v30, v75, v17
	s_mov_b32 s19, s3
	v_add3_u32 v55, v25, v55, v24
	v_add3_u32 v57, v27, v57, v26
	;; [unrolled: 1-line block ×4, first 2 shown]
	v_lshlrev_b64_e32 v[6:7], 3, v[6:7]
	v_add3_u32 v59, v29, v59, v28
	v_lshlrev_b64_e32 v[16:17], 3, v[10:11]
	v_add_nc_u64_e32 v[10:11], s[6:7], v[10:11]
	v_add3_u32 v71, v29, v71, v28
	v_lshlrev_b64_e32 v[4:5], 3, v[12:13]
	v_add3_u32 v69, v31, v69, v19
	v_add_nc_u64_e32 v[86:87], s[8:9], v[6:7]
	v_add_nc_u64_e32 v[88:89], s[10:11], v[6:7]
	v_lshlrev_b64_e32 v[6:7], 3, v[20:21]
	v_lshlrev_b64_e32 v[12:13], 3, v[22:23]
	v_add_nc_u64_e32 v[82:83], s[8:9], v[16:17]
	v_add_nc_u64_e32 v[90:91], s[8:9], v[4:5]
	;; [unrolled: 1-line block ×3, first 2 shown]
	v_lshlrev_b64_e32 v[4:5], 3, v[14:15]
	v_lshlrev_b64_e32 v[8:9], 3, v[8:9]
	v_add_nc_u64_e32 v[94:95], s[8:9], v[6:7]
	v_add_nc_u64_e32 v[96:97], s[10:11], v[6:7]
	v_lshlrev_b64_e32 v[6:7], 3, v[10:11]
	v_add_nc_u64_e32 v[84:85], s[10:11], v[16:17]
	v_add_nc_u64_e32 v[98:99], s[8:9], v[12:13]
	;; [unrolled: 1-line block ×9, first 2 shown]
	v_add3_u32 v73, v32, v73, v3
	v_add3_u32 v77, v31, v77, v19
	;; [unrolled: 1-line block ×3, first 2 shown]
	s_mul_u64 s[36:37], s[6:7], s[18:19]
	s_mov_b64 s[8:9], 0xffffffffffffffc1
	s_mov_b64 s[10:11], 0xffffffffffffffc2
	s_add_nc_u64 s[34:35], s[0:1], 64
	s_lshl_b64 s[36:37], s[36:37], 3
	s_add_nc_u64 s[38:39], s[16:17], 63
.LBB124_53:                             ; =>This Inner Loop Header: Depth=1
	s_delay_alu instid0(SALU_CYCLE_1)
	v_cmp_ge_i64_e64 s2, s[38:39], s[4:5]
	v_add_nc_u64_e32 v[116:117], s[38:39], v[50:51]
                                        ; implicit-def: $vgpr4_vgpr5
	s_and_b32 vcc_lo, exec_lo, s2
	s_mov_b32 s2, -1
	s_cbranch_vccz .LBB124_75
; %bb.54:                               ;   in Loop: Header=BB124_53 Depth=1
	s_load_b32 s2, s[34:35], 0xc
	v_mov_b64_e32 v[118:119], 0
	s_wait_kmcnt 0x0
	s_and_b32 s2, s2, 0xffff
	s_delay_alu instid0(SALU_CYCLE_1) | instskip(SKIP_1) | instid1(VALU_DEP_1)
	v_mad_u32_u24 v3, v1, s2, v120
	s_mov_b32 s2, exec_lo
	v_and_b32_e32 v4, 31, v3
	s_delay_alu instid0(VALU_DEP_1)
	v_cmpx_gt_u32_e32 8, v4
	s_cbranch_execz .LBB124_58
; %bb.55:                               ;   in Loop: Header=BB124_53 Depth=1
	v_mov_b32_e32 v5, v2
	v_mov_b64_e32 v[118:119], 0
	s_mov_b32 s13, exec_lo
	s_delay_alu instid0(VALU_DEP_2) | instskip(NEXT) | instid1(VALU_DEP_1)
	v_add_nc_u64_e32 v[4:5], v[116:117], v[4:5]
	v_add_nc_u64_e32 v[4:5], s[8:9], v[4:5]
	s_delay_alu instid0(VALU_DEP_1)
	v_cmpx_gt_i64_e64 s[4:5], v[4:5]
	s_cbranch_execz .LBB124_57
; %bb.56:                               ;   in Loop: Header=BB124_53 Depth=1
	v_lshl_add_u64 v[4:5], v[4:5], 3, s[14:15]
	global_load_b64 v[118:119], v[4:5], off
.LBB124_57:                             ;   in Loop: Header=BB124_53 Depth=1
	s_wait_xcnt 0x0
	s_or_b32 exec_lo, exec_lo, s13
.LBB124_58:                             ;   in Loop: Header=BB124_53 Depth=1
	s_delay_alu instid0(SALU_CYCLE_1)
	s_or_b32 exec_lo, exec_lo, s2
	v_add_nc_u64_e32 v[18:19], s[8:9], v[116:117]
	v_dual_mov_b32 v15, v2 :: v_dual_mov_b32 v16, v2
	v_dual_mov_b32 v17, v2 :: v_dual_mov_b32 v3, v2
	;; [unrolled: 1-line block ×7, first 2 shown]
	v_mov_b32_e32 v14, v2
	v_cmp_gt_i64_e32 vcc_lo, s[4:5], v[18:19]
	v_mov_b64_e32 v[32:33], v[16:17]
	v_mov_b64_e32 v[48:49], v[16:17]
	;; [unrolled: 1-line block ×16, first 2 shown]
	s_and_saveexec_b32 s2, vcc_lo
	s_cbranch_execz .LBB124_60
; %bb.59:                               ;   in Loop: Header=BB124_53 Depth=1
	v_add_nc_u64_e32 v[4:5], v[82:83], v[80:81]
	v_add_nc_u64_e32 v[6:7], v[84:85], v[80:81]
	v_dual_mov_b32 v36, v2 :: v_dual_mov_b32 v37, v2
	v_dual_mov_b32 v38, v2 :: v_dual_mov_b32 v39, v2
	;; [unrolled: 1-line block ×3, first 2 shown]
	global_load_b64 v[34:35], v[4:5], off
	global_load_b64 v[18:19], v[6:7], off
	v_dual_mov_b32 v42, v2 :: v_dual_mov_b32 v43, v2
	v_dual_mov_b32 v44, v2 :: v_dual_mov_b32 v45, v2
	;; [unrolled: 1-line block ×11, first 2 shown]
.LBB124_60:                             ;   in Loop: Header=BB124_53 Depth=1
	s_wait_xcnt 0x0
	s_or_b32 exec_lo, exec_lo, s2
	v_add_nc_u64_e32 v[4:5], s[10:11], v[116:117]
	s_mov_b32 s2, exec_lo
	s_delay_alu instid0(VALU_DEP_1)
	v_cmpx_gt_i64_e64 s[4:5], v[4:5]
	s_cbranch_execz .LBB124_62
; %bb.61:                               ;   in Loop: Header=BB124_53 Depth=1
	v_add_nc_u64_e32 v[4:5], v[110:111], v[80:81]
	v_add_nc_u64_e32 v[6:7], v[112:113], v[80:81]
	global_load_b64 v[36:37], v[4:5], off
	global_load_b64 v[20:21], v[6:7], off
.LBB124_62:                             ;   in Loop: Header=BB124_53 Depth=1
	s_wait_xcnt 0x0
	s_or_b32 exec_lo, exec_lo, s2
	v_add_nc_u64_e32 v[4:5], s[20:21], v[116:117]
	s_mov_b32 s2, exec_lo
	s_delay_alu instid0(VALU_DEP_1)
	v_cmpx_gt_i64_e64 s[4:5], v[4:5]
	s_cbranch_execz .LBB124_64
; %bb.63:                               ;   in Loop: Header=BB124_53 Depth=1
	v_add_nc_u64_e32 v[4:5], v[106:107], v[80:81]
	v_add_nc_u64_e32 v[6:7], v[108:109], v[80:81]
	global_load_b64 v[38:39], v[4:5], off
	global_load_b64 v[22:23], v[6:7], off
.LBB124_64:                             ;   in Loop: Header=BB124_53 Depth=1
	;; [unrolled: 13-line block ×7, first 2 shown]
	s_wait_xcnt 0x0
	s_or_b32 exec_lo, exec_lo, s2
	s_wait_loadcnt 0x0
	v_mul_f64_e32 v[4:5], v[18:19], v[34:35]
	ds_bpermute_b32 v6, v2, v118
	ds_bpermute_b32 v7, v2, v119
	v_mul_f64_e32 v[8:9], v[20:21], v[36:37]
	v_mul_f64_e32 v[10:11], v[22:23], v[38:39]
	s_mov_b32 s2, 0
	s_wait_dscnt 0x0
	v_fma_f64 v[4:5], v[4:5], v[6:7], v[114:115]
	ds_bpermute_b32 v6, v2, v118 offset:4
	ds_bpermute_b32 v7, v2, v119 offset:4
	s_wait_dscnt 0x0
	v_fmac_f64_e32 v[4:5], v[8:9], v[6:7]
	ds_bpermute_b32 v6, v2, v118 offset:8
	ds_bpermute_b32 v7, v2, v119 offset:8
	v_mul_f64_e32 v[8:9], v[24:25], v[40:41]
	s_wait_dscnt 0x0
	v_fmac_f64_e32 v[4:5], v[10:11], v[6:7]
	ds_bpermute_b32 v6, v2, v118 offset:12
	ds_bpermute_b32 v7, v2, v119 offset:12
	v_mul_f64_e32 v[10:11], v[26:27], v[42:43]
	;; [unrolled: 5-line block ×4, first 2 shown]
	s_wait_dscnt 0x0
	v_fmac_f64_e32 v[4:5], v[8:9], v[6:7]
	ds_bpermute_b32 v6, v2, v118 offset:24
	ds_bpermute_b32 v7, v2, v119 offset:24
	;; [unrolled: 1-line block ×4, first 2 shown]
	s_wait_dscnt 0x2
	v_fmac_f64_e32 v[4:5], v[10:11], v[6:7]
	v_mul_f64_e32 v[6:7], v[32:33], v[48:49]
	s_wait_dscnt 0x0
	s_delay_alu instid0(VALU_DEP_1)
	v_fmac_f64_e32 v[4:5], v[6:7], v[8:9]
.LBB124_75:                             ;   in Loop: Header=BB124_53 Depth=1
	s_and_b32 vcc_lo, exec_lo, s2
	s_cbranch_vccz .LBB124_81
; %bb.76:                               ;   in Loop: Header=BB124_53 Depth=1
	s_load_b32 s2, s[34:35], 0x0
	v_mov_b64_e32 v[4:5], 0
	s_wait_kmcnt 0x0
	s_cmp_lt_u32 s12, s2
	s_cselect_b32 s2, 12, 18
	s_delay_alu instid0(SALU_CYCLE_1) | instskip(SKIP_4) | instid1(VALU_DEP_1)
	s_add_nc_u64 s[40:41], s[34:35], s[2:3]
	s_load_u16 s2, s[40:41], 0x0
	s_wait_kmcnt 0x0
	v_mad_u32_u24 v3, v1, s2, v120
	s_mov_b32 s2, exec_lo
	v_and_b32_e32 v6, 31, v3
	s_delay_alu instid0(VALU_DEP_1)
	v_cmpx_gt_u32_e32 8, v6
	s_cbranch_execz .LBB124_80
; %bb.77:                               ;   in Loop: Header=BB124_53 Depth=1
	v_mov_b32_e32 v7, v2
	s_mov_b32 s13, exec_lo
	s_delay_alu instid0(VALU_DEP_1) | instskip(NEXT) | instid1(VALU_DEP_1)
	v_add_nc_u64_e32 v[4:5], v[116:117], v[6:7]
	v_add_nc_u64_e32 v[6:7], s[8:9], v[4:5]
	v_mov_b64_e32 v[4:5], 0
	s_delay_alu instid0(VALU_DEP_2)
	v_cmpx_gt_i64_e64 s[4:5], v[6:7]
	s_cbranch_execz .LBB124_79
; %bb.78:                               ;   in Loop: Header=BB124_53 Depth=1
	v_lshl_add_u64 v[4:5], v[6:7], 3, s[14:15]
	global_load_b64 v[4:5], v[4:5], off
.LBB124_79:                             ;   in Loop: Header=BB124_53 Depth=1
	s_wait_xcnt 0x0
	s_or_b32 exec_lo, exec_lo, s13
.LBB124_80:                             ;   in Loop: Header=BB124_53 Depth=1
	s_delay_alu instid0(SALU_CYCLE_1)
	s_or_b32 exec_lo, exec_lo, s2
	v_add_nc_u64_e32 v[6:7], v[82:83], v[80:81]
	v_add_nc_u64_e32 v[8:9], v[84:85], v[80:81]
	global_load_b64 v[10:11], v[6:7], off
	global_load_b64 v[12:13], v[8:9], off
	s_wait_xcnt 0x1
	v_add_nc_u64_e32 v[6:7], v[52:53], v[80:81]
	s_wait_xcnt 0x0
	v_add_nc_u64_e32 v[8:9], v[62:63], v[80:81]
	global_load_b64 v[14:15], v[6:7], off
	global_load_b64 v[16:17], v[8:9], off
	s_wait_xcnt 0x1
	v_add_nc_u64_e32 v[6:7], v[54:55], v[80:81]
	s_wait_xcnt 0x0
	;; [unrolled: 6-line block ×7, first 2 shown]
	v_add_nc_u64_e32 v[8:9], v[78:79], v[80:81]
	global_load_b64 v[38:39], v[6:7], off
	global_load_b64 v[40:41], v[8:9], off
	s_wait_loadcnt 0x10
	s_wait_xcnt 0x0
	ds_bpermute_b32 v8, v2, v4
	ds_bpermute_b32 v9, v2, v5
	s_wait_loadcnt 0xe
	v_mul_f64_e32 v[6:7], v[10:11], v[12:13]
	s_wait_loadcnt 0xc
	v_mul_f64_e32 v[10:11], v[14:15], v[16:17]
	s_wait_dscnt 0x0
	s_delay_alu instid0(VALU_DEP_2)
	v_fmac_f64_e32 v[114:115], v[6:7], v[8:9]
	ds_bpermute_b32 v6, v2, v4 offset:4
	ds_bpermute_b32 v7, v2, v5 offset:4
	s_wait_loadcnt 0xa
	v_mul_f64_e32 v[8:9], v[18:19], v[20:21]
	s_wait_dscnt 0x0
	v_fmac_f64_e32 v[114:115], v[10:11], v[6:7]
	ds_bpermute_b32 v6, v2, v4 offset:8
	ds_bpermute_b32 v7, v2, v5 offset:8
	s_wait_loadcnt 0x8
	v_mul_f64_e32 v[10:11], v[22:23], v[24:25]
	s_wait_dscnt 0x0
	;; [unrolled: 6-line block ×5, first 2 shown]
	v_fmac_f64_e32 v[114:115], v[10:11], v[6:7]
	ds_bpermute_b32 v6, v2, v4 offset:24
	ds_bpermute_b32 v7, v2, v5 offset:24
	ds_bpermute_b32 v4, v2, v4 offset:28
	ds_bpermute_b32 v5, v2, v5 offset:28
	s_wait_dscnt 0x2
	v_fmac_f64_e32 v[114:115], v[8:9], v[6:7]
	s_wait_loadcnt 0x0
	v_mul_f64_e32 v[6:7], v[38:39], v[40:41]
	s_wait_dscnt 0x0
	s_delay_alu instid0(VALU_DEP_1) | instskip(NEXT) | instid1(VALU_DEP_1)
	v_fmac_f64_e32 v[114:115], v[6:7], v[4:5]
	v_mov_b64_e32 v[4:5], v[114:115]
.LBB124_81:                             ;   in Loop: Header=BB124_53 Depth=1
	s_add_nc_u64 s[16:17], s[16:17], s[18:19]
	v_add_nc_u64_e32 v[82:83], s[36:37], v[82:83]
	v_cmp_ge_i64_e64 s2, s[16:17], s[4:5]
	v_add_nc_u64_e32 v[84:85], s[36:37], v[84:85]
	v_add_nc_u64_e32 v[52:53], s[36:37], v[52:53]
	;; [unrolled: 1-line block ×29, first 2 shown]
	s_and_b32 vcc_lo, exec_lo, s2
	s_add_nc_u64 s[38:39], s[38:39], s[18:19]
	s_cbranch_vccnz .LBB124_83
; %bb.82:                               ;   in Loop: Header=BB124_53 Depth=1
	v_mov_b64_e32 v[114:115], v[4:5]
	s_branch .LBB124_53
.LBB124_83:
	v_and_b32_e32 v1, 0x3ff, v0
	v_bfe_u32 v0, v0, 10, 10
	v_mov_b64_e32 v[2:3], 0
	s_mov_b32 s2, exec_lo
	s_delay_alu instid0(VALU_DEP_2) | instskip(NEXT) | instid1(VALU_DEP_1)
	v_mad_u32_u24 v6, 0x41, v0, v1
	v_lshl_add_u32 v7, v6, 3, 0
	v_sub_nc_u32_e32 v6, v6, v0
	ds_store_b64 v7, v[4:5]
	ds_store_b64 v7, v[2:3] offset:4160
	s_wait_dscnt 0x0
	s_barrier_signal -1
	s_barrier_wait -1
	v_cmpx_gt_u32_e32 0x800, v6
	s_cbranch_execz .LBB124_103
; %bb.84:
	s_load_b64 s[2:3], s[0:1], 0x30
	v_dual_lshrrev_b32 v0, 5, v6 :: v_dual_bitop2_b32 v2, 31, v1 bitop3:0x40
	s_delay_alu instid0(VALU_DEP_1)
	v_cmp_gt_u32_e32 vcc_lo, 8, v2
	v_mul_u32_u24_e32 v7, 0x41, v2
                                        ; implicit-def: $vgpr2_vgpr3
	s_wait_xcnt 0x0
	s_and_saveexec_b32 s0, vcc_lo
; %bb.85:
	s_delay_alu instid0(VALU_DEP_1) | instskip(NEXT) | instid1(VALU_DEP_1)
	v_dual_lshlrev_b32 v2, 3, v0 :: v_dual_lshlrev_b32 v3, 3, v7
	v_add3_u32 v2, 0, v2, v3
	ds_load_b64 v[2:3], v2
; %bb.86:
	s_or_b32 exec_lo, exec_lo, s0
	v_mbcnt_lo_u32_b32 v10, -1, 0
	s_mov_b32 s13, 0
	s_delay_alu instid0(SALU_CYCLE_1) | instskip(SKIP_4) | instid1(VALU_DEP_1)
	s_lshl_b64 s[4:5], s[12:13], 6
	s_wait_kmcnt 0x0
	s_cmp_eq_u64 s[2:3], 0
	v_xor_b32_e32 v4, 4, v10
	s_cselect_b32 s8, -1, 0
	v_cmp_gt_i32_e64 s0, 32, v4
	s_delay_alu instid0(VALU_DEP_1) | instskip(NEXT) | instid1(VALU_DEP_1)
	v_cndmask_b32_e64 v4, v10, v4, s0
	v_lshlrev_b32_e32 v8, 2, v4
	s_wait_dscnt 0x0
	ds_bpermute_b32 v4, v8, v2
	ds_bpermute_b32 v5, v8, v3
	s_wait_dscnt 0x0
	v_dual_add_f64 v[2:3], v[2:3], v[4:5] :: v_dual_bitop2_b32 v4, 2, v10 bitop3:0x14
	s_delay_alu instid0(VALU_DEP_1) | instskip(NEXT) | instid1(VALU_DEP_1)
	v_cmp_gt_i32_e64 s0, 32, v4
	v_cndmask_b32_e64 v4, v10, v4, s0
	s_delay_alu instid0(VALU_DEP_1) | instskip(SKIP_4) | instid1(VALU_DEP_1)
	v_lshlrev_b32_e32 v9, 2, v4
	ds_bpermute_b32 v4, v9, v2
	ds_bpermute_b32 v5, v9, v3
	s_wait_dscnt 0x0
	v_dual_add_f64 v[2:3], v[2:3], v[4:5] :: v_dual_bitop2_b32 v4, 1, v10 bitop3:0x14
	v_cmp_gt_i32_e64 s0, 32, v4
	s_delay_alu instid0(VALU_DEP_1) | instskip(SKIP_1) | instid1(VALU_DEP_2)
	v_cndmask_b32_e64 v4, v10, v4, s0
	v_cmp_ne_u32_e64 s0, 0, v1
	v_lshlrev_b32_e32 v10, 2, v4
	ds_bpermute_b32 v4, v10, v2
	ds_bpermute_b32 v5, v10, v3
	s_wait_dscnt 0x0
	v_add_f64_e32 v[2:3], v[2:3], v[4:5]
	v_dual_mov_b32 v5, s5 :: v_dual_bitop2_b32 v4, s4, v0 bitop3:0x54
	s_delay_alu instid0(VALU_DEP_1) | instskip(SKIP_1) | instid1(SALU_CYCLE_1)
	v_cmp_le_i64_e64 s1, s[6:7], v[4:5]
	s_or_b32 s1, s0, s1
	s_nor_b32 s9, s8, s1
	s_delay_alu instid0(SALU_CYCLE_1)
	s_and_saveexec_b32 s1, s9
	s_cbranch_execz .LBB124_88
; %bb.87:
	v_lshl_add_u64 v[4:5], v[4:5], 3, s[2:3]
	global_store_b64 v[4:5], v[2:3], off
.LBB124_88:
	s_wait_xcnt 0x0
	s_or_b32 exec_lo, exec_lo, s1
	v_cmp_gt_u32_e64 s1, 0x600, v6
	s_and_b32 exec_lo, exec_lo, s1
	s_cbranch_execz .LBB124_103
; %bb.89:
	v_mov_b32_e32 v1, 0
	s_and_saveexec_b32 s1, vcc_lo
; %bb.90:
	v_dual_lshlrev_b32 v2, 3, v0 :: v_dual_lshlrev_b32 v3, 3, v7
	s_delay_alu instid0(VALU_DEP_1)
	v_add3_u32 v2, 0, v2, v3
	ds_load_b64 v[2:3], v2 offset:128
; %bb.91:
	s_or_b32 exec_lo, exec_lo, s1
	s_wait_dscnt 0x0
	ds_bpermute_b32 v4, v8, v2
	ds_bpermute_b32 v5, v8, v3
	s_wait_dscnt 0x0
	v_add_f64_e32 v[2:3], v[2:3], v[4:5]
	ds_bpermute_b32 v4, v9, v2
	ds_bpermute_b32 v5, v9, v3
	s_wait_dscnt 0x0
	v_add_f64_e32 v[2:3], v[2:3], v[4:5]
	ds_bpermute_b32 v4, v10, v2
	ds_bpermute_b32 v5, v10, v3
	s_wait_dscnt 0x0
	v_add_f64_e32 v[2:3], v[2:3], v[4:5]
	v_dual_mov_b32 v5, v1 :: v_dual_add_nc_u32 v4, 16, v0
	s_delay_alu instid0(VALU_DEP_1) | instskip(NEXT) | instid1(VALU_DEP_1)
	v_add_nc_u64_e32 v[4:5], s[4:5], v[4:5]
	v_cmp_le_i64_e64 s1, s[6:7], v[4:5]
	s_or_b32 s1, s0, s1
	s_delay_alu instid0(SALU_CYCLE_1) | instskip(NEXT) | instid1(SALU_CYCLE_1)
	s_nor_b32 s9, s8, s1
	s_and_saveexec_b32 s1, s9
	s_cbranch_execz .LBB124_93
; %bb.92:
	v_add_nc_u64_e32 v[4:5], s[4:5], v[0:1]
	s_delay_alu instid0(VALU_DEP_1)
	v_lshl_add_u64 v[4:5], v[4:5], 3, s[2:3]
	global_store_b64 v[4:5], v[2:3], off offset:128
.LBB124_93:
	s_wait_xcnt 0x0
	s_or_b32 exec_lo, exec_lo, s1
	v_cmp_gt_u32_e64 s1, 0x400, v6
	s_and_b32 exec_lo, exec_lo, s1
	s_cbranch_execz .LBB124_103
; %bb.94:
	s_and_saveexec_b32 s1, vcc_lo
; %bb.95:
	v_dual_lshlrev_b32 v2, 3, v0 :: v_dual_lshlrev_b32 v3, 3, v7
	s_delay_alu instid0(VALU_DEP_1)
	v_add3_u32 v2, 0, v2, v3
	ds_load_b64 v[2:3], v2 offset:256
; %bb.96:
	s_or_b32 exec_lo, exec_lo, s1
	s_wait_dscnt 0x0
	ds_bpermute_b32 v4, v8, v2
	ds_bpermute_b32 v5, v8, v3
	s_wait_dscnt 0x0
	v_add_f64_e32 v[2:3], v[2:3], v[4:5]
	ds_bpermute_b32 v4, v9, v2
	ds_bpermute_b32 v5, v9, v3
	s_wait_dscnt 0x0
	v_add_f64_e32 v[2:3], v[2:3], v[4:5]
	;; [unrolled: 4-line block ×3, first 2 shown]
	v_dual_mov_b32 v5, s5 :: v_dual_add_nc_u32 v4, 32, v0
	s_delay_alu instid0(VALU_DEP_1) | instskip(NEXT) | instid1(VALU_DEP_1)
	v_or_b32_e32 v4, s4, v4
	v_cmp_le_i64_e64 s1, s[6:7], v[4:5]
	s_or_b32 s1, s0, s1
	s_delay_alu instid0(SALU_CYCLE_1) | instskip(NEXT) | instid1(SALU_CYCLE_1)
	s_nor_b32 s9, s8, s1
	s_and_saveexec_b32 s1, s9
	s_cbranch_execz .LBB124_98
; %bb.97:
	v_add_nc_u64_e32 v[4:5], s[4:5], v[0:1]
	s_delay_alu instid0(VALU_DEP_1)
	v_lshl_add_u64 v[4:5], v[4:5], 3, s[2:3]
	global_store_b64 v[4:5], v[2:3], off offset:256
.LBB124_98:
	s_wait_xcnt 0x0
	s_or_b32 exec_lo, exec_lo, s1
	v_cmp_gt_u32_e64 s1, 0x200, v6
	s_and_b32 exec_lo, exec_lo, s1
	s_cbranch_execz .LBB124_103
; %bb.99:
	s_and_saveexec_b32 s1, vcc_lo
; %bb.100:
	v_dual_lshlrev_b32 v2, 3, v0 :: v_dual_lshlrev_b32 v3, 3, v7
	s_delay_alu instid0(VALU_DEP_1)
	v_add3_u32 v2, 0, v2, v3
	ds_load_b64 v[2:3], v2 offset:384
; %bb.101:
	s_or_b32 exec_lo, exec_lo, s1
	s_wait_dscnt 0x0
	ds_bpermute_b32 v4, v8, v2
	ds_bpermute_b32 v5, v8, v3
	v_dual_mov_b32 v7, s5 :: v_dual_add_nc_u32 v6, 48, v0
	s_delay_alu instid0(VALU_DEP_1) | instskip(NEXT) | instid1(VALU_DEP_1)
	v_or_b32_e32 v6, s4, v6
	v_cmp_le_i64_e32 vcc_lo, s[6:7], v[6:7]
	s_or_b32 s0, s0, vcc_lo
	s_wait_dscnt 0x0
	v_add_f64_e32 v[2:3], v[2:3], v[4:5]
	s_nor_b32 s0, s8, s0
	ds_bpermute_b32 v4, v9, v2
	ds_bpermute_b32 v5, v9, v3
	s_wait_dscnt 0x0
	v_add_f64_e32 v[2:3], v[2:3], v[4:5]
	ds_bpermute_b32 v4, v10, v2
	ds_bpermute_b32 v5, v10, v3
	s_and_saveexec_b32 s1, s0
	s_delay_alu instid0(SALU_CYCLE_1)
	s_xor_b32 s1, exec_lo, s1
	s_cbranch_execz .LBB124_103
; %bb.102:
	s_wait_dscnt 0x0
	v_add_f64_e32 v[2:3], v[2:3], v[4:5]
	v_add_nc_u64_e32 v[0:1], s[4:5], v[0:1]
	s_delay_alu instid0(VALU_DEP_1)
	v_lshl_add_u64 v[0:1], v[0:1], 3, s[2:3]
	global_store_b64 v[0:1], v[2:3], off offset:384
.LBB124_103:
	s_sendmsg sendmsg(MSG_DEALLOC_VGPRS)
	s_endpgm
	.section	.rodata,"a",@progbits
	.p2align	6, 0x0
	.amdhsa_kernel _ZN2at6native12_GLOBAL__N_135GammaBetaBackwardCUDAKernelTemplateIddLj64ELj8ELj64ELb0ELb0ELb1EEEvllPKT_S5_PKT0_S8_PS3_S9_
		.amdhsa_group_segment_fixed_size 0
		.amdhsa_private_segment_fixed_size 0
		.amdhsa_kernarg_size 320
		.amdhsa_user_sgpr_count 2
		.amdhsa_user_sgpr_dispatch_ptr 0
		.amdhsa_user_sgpr_queue_ptr 0
		.amdhsa_user_sgpr_kernarg_segment_ptr 1
		.amdhsa_user_sgpr_dispatch_id 0
		.amdhsa_user_sgpr_kernarg_preload_length 0
		.amdhsa_user_sgpr_kernarg_preload_offset 0
		.amdhsa_user_sgpr_private_segment_size 0
		.amdhsa_wavefront_size32 1
		.amdhsa_uses_dynamic_stack 0
		.amdhsa_enable_private_segment 0
		.amdhsa_system_sgpr_workgroup_id_x 1
		.amdhsa_system_sgpr_workgroup_id_y 1
		.amdhsa_system_sgpr_workgroup_id_z 0
		.amdhsa_system_sgpr_workgroup_info 0
		.amdhsa_system_vgpr_workitem_id 1
		.amdhsa_next_free_vgpr 121
		.amdhsa_next_free_sgpr 50
		.amdhsa_named_barrier_count 0
		.amdhsa_reserve_vcc 1
		.amdhsa_float_round_mode_32 0
		.amdhsa_float_round_mode_16_64 0
		.amdhsa_float_denorm_mode_32 3
		.amdhsa_float_denorm_mode_16_64 3
		.amdhsa_fp16_overflow 0
		.amdhsa_memory_ordered 1
		.amdhsa_forward_progress 1
		.amdhsa_inst_pref_size 53
		.amdhsa_round_robin_scheduling 0
		.amdhsa_exception_fp_ieee_invalid_op 0
		.amdhsa_exception_fp_denorm_src 0
		.amdhsa_exception_fp_ieee_div_zero 0
		.amdhsa_exception_fp_ieee_overflow 0
		.amdhsa_exception_fp_ieee_underflow 0
		.amdhsa_exception_fp_ieee_inexact 0
		.amdhsa_exception_int_div_zero 0
	.end_amdhsa_kernel
	.section	.text._ZN2at6native12_GLOBAL__N_135GammaBetaBackwardCUDAKernelTemplateIddLj64ELj8ELj64ELb0ELb0ELb1EEEvllPKT_S5_PKT0_S8_PS3_S9_,"axG",@progbits,_ZN2at6native12_GLOBAL__N_135GammaBetaBackwardCUDAKernelTemplateIddLj64ELj8ELj64ELb0ELb0ELb1EEEvllPKT_S5_PKT0_S8_PS3_S9_,comdat
.Lfunc_end124:
	.size	_ZN2at6native12_GLOBAL__N_135GammaBetaBackwardCUDAKernelTemplateIddLj64ELj8ELj64ELb0ELb0ELb1EEEvllPKT_S5_PKT0_S8_PS3_S9_, .Lfunc_end124-_ZN2at6native12_GLOBAL__N_135GammaBetaBackwardCUDAKernelTemplateIddLj64ELj8ELj64ELb0ELb0ELb1EEEvllPKT_S5_PKT0_S8_PS3_S9_
                                        ; -- End function
	.set _ZN2at6native12_GLOBAL__N_135GammaBetaBackwardCUDAKernelTemplateIddLj64ELj8ELj64ELb0ELb0ELb1EEEvllPKT_S5_PKT0_S8_PS3_S9_.num_vgpr, 121
	.set _ZN2at6native12_GLOBAL__N_135GammaBetaBackwardCUDAKernelTemplateIddLj64ELj8ELj64ELb0ELb0ELb1EEEvllPKT_S5_PKT0_S8_PS3_S9_.num_agpr, 0
	.set _ZN2at6native12_GLOBAL__N_135GammaBetaBackwardCUDAKernelTemplateIddLj64ELj8ELj64ELb0ELb0ELb1EEEvllPKT_S5_PKT0_S8_PS3_S9_.numbered_sgpr, 50
	.set _ZN2at6native12_GLOBAL__N_135GammaBetaBackwardCUDAKernelTemplateIddLj64ELj8ELj64ELb0ELb0ELb1EEEvllPKT_S5_PKT0_S8_PS3_S9_.num_named_barrier, 0
	.set _ZN2at6native12_GLOBAL__N_135GammaBetaBackwardCUDAKernelTemplateIddLj64ELj8ELj64ELb0ELb0ELb1EEEvllPKT_S5_PKT0_S8_PS3_S9_.private_seg_size, 0
	.set _ZN2at6native12_GLOBAL__N_135GammaBetaBackwardCUDAKernelTemplateIddLj64ELj8ELj64ELb0ELb0ELb1EEEvllPKT_S5_PKT0_S8_PS3_S9_.uses_vcc, 1
	.set _ZN2at6native12_GLOBAL__N_135GammaBetaBackwardCUDAKernelTemplateIddLj64ELj8ELj64ELb0ELb0ELb1EEEvllPKT_S5_PKT0_S8_PS3_S9_.uses_flat_scratch, 0
	.set _ZN2at6native12_GLOBAL__N_135GammaBetaBackwardCUDAKernelTemplateIddLj64ELj8ELj64ELb0ELb0ELb1EEEvllPKT_S5_PKT0_S8_PS3_S9_.has_dyn_sized_stack, 0
	.set _ZN2at6native12_GLOBAL__N_135GammaBetaBackwardCUDAKernelTemplateIddLj64ELj8ELj64ELb0ELb0ELb1EEEvllPKT_S5_PKT0_S8_PS3_S9_.has_recursion, 0
	.set _ZN2at6native12_GLOBAL__N_135GammaBetaBackwardCUDAKernelTemplateIddLj64ELj8ELj64ELb0ELb0ELb1EEEvllPKT_S5_PKT0_S8_PS3_S9_.has_indirect_call, 0
	.section	.AMDGPU.csdata,"",@progbits
; Kernel info:
; codeLenInByte = 6684
; TotalNumSgprs: 52
; NumVgprs: 121
; ScratchSize: 0
; MemoryBound: 1
; FloatMode: 240
; IeeeMode: 1
; LDSByteSize: 0 bytes/workgroup (compile time only)
; SGPRBlocks: 0
; VGPRBlocks: 7
; NumSGPRsForWavesPerEU: 52
; NumVGPRsForWavesPerEU: 121
; NamedBarCnt: 0
; Occupancy: 8
; WaveLimiterHint : 0
; COMPUTE_PGM_RSRC2:SCRATCH_EN: 0
; COMPUTE_PGM_RSRC2:USER_SGPR: 2
; COMPUTE_PGM_RSRC2:TRAP_HANDLER: 0
; COMPUTE_PGM_RSRC2:TGID_X_EN: 1
; COMPUTE_PGM_RSRC2:TGID_Y_EN: 1
; COMPUTE_PGM_RSRC2:TGID_Z_EN: 0
; COMPUTE_PGM_RSRC2:TIDIG_COMP_CNT: 1
	.section	.text._ZN2at6native12_GLOBAL__N_135GammaBetaBackwardCUDAKernelTemplateIddLj64ELj16ELj128ELb0ELb1ELb1EEEvllPKT_S5_PKT0_S8_PS3_S9_,"axG",@progbits,_ZN2at6native12_GLOBAL__N_135GammaBetaBackwardCUDAKernelTemplateIddLj64ELj16ELj128ELb0ELb1ELb1EEEvllPKT_S5_PKT0_S8_PS3_S9_,comdat
	.globl	_ZN2at6native12_GLOBAL__N_135GammaBetaBackwardCUDAKernelTemplateIddLj64ELj16ELj128ELb0ELb1ELb1EEEvllPKT_S5_PKT0_S8_PS3_S9_ ; -- Begin function _ZN2at6native12_GLOBAL__N_135GammaBetaBackwardCUDAKernelTemplateIddLj64ELj16ELj128ELb0ELb1ELb1EEEvllPKT_S5_PKT0_S8_PS3_S9_
	.p2align	8
	.type	_ZN2at6native12_GLOBAL__N_135GammaBetaBackwardCUDAKernelTemplateIddLj64ELj16ELj128ELb0ELb1ELb1EEEvllPKT_S5_PKT0_S8_PS3_S9_,@function
_ZN2at6native12_GLOBAL__N_135GammaBetaBackwardCUDAKernelTemplateIddLj64ELj16ELj128ELb0ELb1ELb1EEEvllPKT_S5_PKT0_S8_PS3_S9_: ; @_ZN2at6native12_GLOBAL__N_135GammaBetaBackwardCUDAKernelTemplateIddLj64ELj16ELj128ELb0ELb1ELb1EEEvllPKT_S5_PKT0_S8_PS3_S9_
; %bb.0:
	s_load_b128 s[4:7], s[0:1], 0x0
	s_bfe_u32 s2, ttmp6, 0x40010
	s_bfe_u32 s3, ttmp6, 0x40004
	s_add_co_i32 s2, s2, 1
	s_getreg_b32 s20, hwreg(HW_REG_IB_STS2, 6, 4)
	s_mul_i32 s2, ttmp7, s2
	s_mov_b32 s13, 0
	s_add_co_i32 s3, s3, s2
	s_cmp_eq_u32 s20, 0
	v_bfe_u32 v13, v0, 10, 10
	s_cselect_b32 s2, ttmp7, s3
	s_delay_alu instid0(SALU_CYCLE_1)
	s_lshl_b32 s12, s2, 7
	s_wait_kmcnt 0x0
	v_cmp_gt_i64_e64 s2, s[4:5], s[12:13]
	s_and_b32 vcc_lo, exec_lo, s2
	s_cbranch_vccnz .LBB125_2
; %bb.1:
	v_bfe_u32 v1, v0, 10, 10
	s_mov_b32 s2, s13
	v_mov_b64_e32 v[2:3], 0
	v_and_b32_e32 v12, 0x3ff, v0
	s_and_not1_b32 vcc_lo, exec_lo, s2
	s_cbranch_vccz .LBB125_3
	s_branch .LBB125_10
.LBB125_2:
                                        ; implicit-def: $vgpr1
	v_mov_b64_e32 v[2:3], 0
	v_and_b32_e32 v12, 0x3ff, v0
.LBB125_3:
	v_dual_mov_b32 v1, 0 :: v_dual_lshlrev_b32 v0, 3, v13
	s_load_b32 s2, s[0:1], 0x4c
	s_bfe_u32 s14, ttmp6, 0x4000c
	s_clause 0x2
	s_load_b32 s3, s[0:1], 0x44
	s_load_b128 s[8:11], s[0:1], 0x10
	s_load_b64 s[16:17], s[0:1], 0x28
	s_add_co_i32 s14, s14, 1
	v_add_nc_u64_e32 v[2:3], s[12:13], v[0:1]
	s_and_b32 s18, ttmp6, 15
	s_mul_i32 s14, ttmp9, s14
	v_dual_mov_b32 v7, v1 :: v_dual_mov_b32 v11, v1
	s_add_co_i32 s18, s18, s14
	s_mov_b32 s15, 0
	s_delay_alu instid0(VALU_DEP_2)
	v_mul_u64_e32 v[8:9], s[6:7], v[2:3]
	v_dual_mov_b32 v0, 8 :: v_dual_mov_b32 v14, 4
	v_dual_mov_b32 v16, 16 :: v_dual_mov_b32 v17, 20
	;; [unrolled: 1-line block ×3, first 2 shown]
	v_mov_b32_e32 v15, 12
	s_wait_kmcnt 0x0
	s_and_b32 s2, s2, 0xffff
	s_cmp_eq_u32 s20, 0
	v_mad_u32_u24 v4, v13, s2, v12
	s_cselect_b32 s2, ttmp9, s18
	s_lshl_b32 s14, s3, 7
	v_lshl_add_u32 v10, s2, 6, v12
	s_mul_u64 s[18:19], s[6:7], s[14:15]
	v_and_b32_e32 v6, 31, v4
	s_lshl_b64 s[18:19], s[18:19], 3
	s_lshl_b64 s[6:7], s[6:7], 3
	v_lshlrev_b64_e32 v[10:11], 3, v[10:11]
	s_delay_alu instid0(VALU_DEP_2) | instskip(SKIP_2) | instid1(VALU_DEP_3)
	v_add_nc_u64_e32 v[4:5], v[2:3], v[6:7]
	v_mov_b64_e32 v[2:3], 0
	v_cmp_gt_u32_e64 s2, 8, v6
	v_lshl_add_u64 v[6:7], v[4:5], 3, s[16:17]
	s_lshl_b64 s[16:17], s[14:15], 3
	v_lshl_add_u64 v[8:9], v[8:9], 3, v[10:11]
	s_branch .LBB125_6
.LBB125_4:                              ;   in Loop: Header=BB125_6 Depth=1
	s_wait_xcnt 0x0
	s_or_b32 exec_lo, exec_lo, s21
.LBB125_5:                              ;   in Loop: Header=BB125_6 Depth=1
	s_delay_alu instid0(SALU_CYCLE_1)
	s_or_b32 exec_lo, exec_lo, s3
	v_add_nc_u64_e32 v[20:21], s[8:9], v[8:9]
	v_add_nc_u64_e32 v[22:23], s[10:11], v[8:9]
	s_add_nc_u64 s[12:13], s[12:13], s[14:15]
	v_add_nc_u64_e32 v[6:7], s[16:17], v[6:7]
	v_cmp_lt_i64_e64 s3, s[12:13], s[4:5]
	v_add_nc_u64_e32 v[4:5], s[14:15], v[4:5]
	v_add_nc_u64_e32 v[8:9], s[18:19], v[8:9]
	global_load_b64 v[24:25], v[20:21], off
	global_load_b64 v[26:27], v[22:23], off
	s_wait_xcnt 0x1
	v_add_nc_u64_e32 v[20:21], s[6:7], v[20:21]
	s_wait_xcnt 0x0
	v_add_nc_u64_e32 v[22:23], s[6:7], v[22:23]
	global_load_b64 v[28:29], v[20:21], off
	global_load_b64 v[30:31], v[22:23], off
	s_wait_xcnt 0x1
	v_add_nc_u64_e32 v[20:21], s[6:7], v[20:21]
	s_wait_xcnt 0x0
	v_add_nc_u64_e32 v[22:23], s[6:7], v[22:23]
	s_and_b32 vcc_lo, exec_lo, s3
	global_load_b64 v[32:33], v[20:21], off
	global_load_b64 v[34:35], v[22:23], off
	s_wait_xcnt 0x1
	v_add_nc_u64_e32 v[20:21], s[6:7], v[20:21]
	s_wait_xcnt 0x0
	v_add_nc_u64_e32 v[22:23], s[6:7], v[22:23]
	global_load_b64 v[36:37], v[20:21], off
	global_load_b64 v[38:39], v[22:23], off
	s_wait_xcnt 0x1
	v_add_nc_u64_e32 v[20:21], s[6:7], v[20:21]
	s_wait_xcnt 0x0
	v_add_nc_u64_e32 v[22:23], s[6:7], v[22:23]
	;; [unrolled: 6-line block ×5, first 2 shown]
	global_load_b64 v[52:53], v[20:21], off
	global_load_b64 v[54:55], v[22:23], off
	s_wait_loadcnt 0x10
	s_wait_xcnt 0x0
	ds_bpermute_b32 v22, v1, v10
	ds_bpermute_b32 v23, v1, v11
	s_wait_loadcnt 0xe
	v_mul_f64_e32 v[20:21], v[24:25], v[26:27]
	s_wait_loadcnt 0xc
	v_mul_f64_e32 v[24:25], v[28:29], v[30:31]
	s_wait_dscnt 0x0
	s_delay_alu instid0(VALU_DEP_2)
	v_fmac_f64_e32 v[2:3], v[20:21], v[22:23]
	ds_bpermute_b32 v20, v14, v10
	ds_bpermute_b32 v21, v14, v11
	s_wait_loadcnt 0xa
	v_mul_f64_e32 v[22:23], v[32:33], v[34:35]
	s_wait_dscnt 0x0
	v_fmac_f64_e32 v[2:3], v[24:25], v[20:21]
	ds_bpermute_b32 v20, v0, v10
	ds_bpermute_b32 v21, v0, v11
	s_wait_loadcnt 0x8
	v_mul_f64_e32 v[24:25], v[36:37], v[38:39]
	s_wait_dscnt 0x0
	;; [unrolled: 6-line block ×5, first 2 shown]
	v_fmac_f64_e32 v[2:3], v[24:25], v[20:21]
	ds_bpermute_b32 v20, v18, v10
	ds_bpermute_b32 v21, v18, v11
	;; [unrolled: 1-line block ×4, first 2 shown]
	s_wait_dscnt 0x2
	v_fmac_f64_e32 v[2:3], v[22:23], v[20:21]
	s_wait_loadcnt 0x0
	v_mul_f64_e32 v[20:21], v[52:53], v[54:55]
	s_wait_dscnt 0x0
	s_delay_alu instid0(VALU_DEP_1)
	v_fmac_f64_e32 v[2:3], v[20:21], v[10:11]
	s_cbranch_vccz .LBB125_9
.LBB125_6:                              ; =>This Inner Loop Header: Depth=1
	v_mov_b64_e32 v[10:11], 0
	s_and_saveexec_b32 s3, s2
	s_cbranch_execz .LBB125_5
; %bb.7:                                ;   in Loop: Header=BB125_6 Depth=1
	v_mov_b64_e32 v[10:11], 0
	s_mov_b32 s21, exec_lo
	v_cmpx_gt_i64_e64 s[4:5], v[4:5]
	s_cbranch_execz .LBB125_4
; %bb.8:                                ;   in Loop: Header=BB125_6 Depth=1
	global_load_b64 v[10:11], v[6:7], off
	s_branch .LBB125_4
.LBB125_9:
	v_mov_b32_e32 v1, v13
.LBB125_10:
	s_load_b64 s[2:3], s[0:1], 0x30
	s_delay_alu instid0(VALU_DEP_1) | instskip(SKIP_3) | instid1(VALU_DEP_2)
	v_mad_u32_u24 v0, 0x41, v1, v12
	v_mov_b64_e32 v[6:7], 0
	s_wait_xcnt 0x0
	s_mov_b32 s0, exec_lo
	v_lshl_add_u32 v4, v0, 3, 0
	v_sub_nc_u32_e32 v5, v0, v1
	ds_store_b64 v4, v[2:3]
	ds_store_b64 v4, v[6:7] offset:8320
	s_wait_dscnt 0x0
	s_barrier_signal -1
	s_barrier_wait -1
	v_cmpx_gt_u32_e32 0x800, v5
	s_cbranch_execz .LBB125_20
; %bb.11:
	v_dual_lshrrev_b32 v4, 5, v5 :: v_dual_bitop2_b32 v0, 31, v12 bitop3:0x40
	s_delay_alu instid0(VALU_DEP_1)
	v_cmp_gt_u32_e32 vcc_lo, 16, v0
	v_mul_u32_u24_e32 v2, 0x41, v0
                                        ; implicit-def: $vgpr0_vgpr1
	s_and_saveexec_b32 s0, vcc_lo
; %bb.12:
	s_delay_alu instid0(VALU_DEP_1) | instskip(NEXT) | instid1(VALU_DEP_1)
	v_dual_lshlrev_b32 v0, 3, v4 :: v_dual_lshlrev_b32 v1, 3, v2
	v_add3_u32 v0, 0, v0, v1
	ds_load_b64 v[0:1], v0
; %bb.13:
	s_or_b32 exec_lo, exec_lo, s0
	v_mbcnt_lo_u32_b32 v10, -1, 0
	s_wait_kmcnt 0x0
	s_cmp_lg_u64 s[2:3], 0
	s_cselect_b32 s1, -1, 0
	s_bfe_u32 s4, ttmp6, 0x4000c
	v_xor_b32_e32 v3, 8, v10
	s_add_co_i32 s4, s4, 1
	s_and_b32 s5, ttmp6, 15
	s_mul_i32 s4, ttmp9, s4
	s_delay_alu instid0(VALU_DEP_1) | instskip(NEXT) | instid1(VALU_DEP_1)
	v_cmp_gt_i32_e64 s0, 32, v3
	v_cndmask_b32_e64 v3, v10, v3, s0
	s_delay_alu instid0(VALU_DEP_1)
	v_lshlrev_b32_e32 v3, 2, v3
	s_wait_dscnt 0x0
	ds_bpermute_b32 v6, v3, v0
	ds_bpermute_b32 v7, v3, v1
	s_wait_dscnt 0x0
	v_add_f64_e32 v[0:1], v[0:1], v[6:7]
	v_xor_b32_e32 v6, 4, v10
	v_xor_b32_e32 v7, 2, v10
	s_delay_alu instid0(VALU_DEP_2) | instskip(NEXT) | instid1(VALU_DEP_1)
	v_cmp_gt_i32_e64 s0, 32, v6
	v_cndmask_b32_e64 v6, v10, v6, s0
	s_delay_alu instid0(VALU_DEP_3) | instskip(NEXT) | instid1(VALU_DEP_1)
	v_cmp_gt_i32_e64 s0, 32, v7
	v_dual_lshlrev_b32 v6, 2, v6 :: v_dual_cndmask_b32 v7, v10, v7, s0
	s_delay_alu instid0(VALU_DEP_1)
	v_lshlrev_b32_e32 v7, 2, v7
	ds_bpermute_b32 v8, v6, v0
	ds_bpermute_b32 v9, v6, v1
	s_wait_dscnt 0x0
	v_add_f64_e32 v[0:1], v[0:1], v[8:9]
	ds_bpermute_b32 v8, v7, v0
	ds_bpermute_b32 v9, v7, v1
	s_wait_dscnt 0x0
	v_dual_add_f64 v[0:1], v[0:1], v[8:9] :: v_dual_bitop2_b32 v8, 1, v10 bitop3:0x14
	s_delay_alu instid0(VALU_DEP_1) | instskip(NEXT) | instid1(VALU_DEP_1)
	v_cmp_gt_i32_e64 s0, 32, v8
	v_cndmask_b32_e64 v8, v10, v8, s0
	v_cmp_eq_u32_e64 s0, 0, v12
	s_delay_alu instid0(VALU_DEP_2)
	v_lshlrev_b32_e32 v8, 2, v8
	s_and_b32 s1, s0, s1
	s_add_co_i32 s0, s5, s4
	s_cmp_eq_u32 s20, 0
	s_mov_b32 s5, 0
	s_cselect_b32 s4, ttmp9, s0
	s_delay_alu instid0(SALU_CYCLE_1) | instskip(NEXT) | instid1(SALU_CYCLE_1)
	s_lshl_b64 s[4:5], s[4:5], 9
	s_add_nc_u64 s[2:3], s[2:3], s[4:5]
	ds_bpermute_b32 v10, v8, v0
	ds_bpermute_b32 v11, v8, v1
	s_wait_dscnt 0x0
	v_add_f64_e32 v[0:1], v[0:1], v[10:11]
	s_and_saveexec_b32 s0, s1
	s_cbranch_execz .LBB125_15
; %bb.14:
	global_store_b64 v4, v[0:1], s[2:3] scale_offset
.LBB125_15:
	s_wait_xcnt 0x0
	s_or_b32 exec_lo, exec_lo, s0
	v_cmp_gt_u32_e64 s0, 0x400, v5
	s_and_b32 exec_lo, exec_lo, s0
	s_cbranch_execz .LBB125_20
; %bb.16:
	s_and_saveexec_b32 s0, vcc_lo
; %bb.17:
	v_dual_lshlrev_b32 v0, 3, v4 :: v_dual_lshlrev_b32 v1, 3, v2
	s_delay_alu instid0(VALU_DEP_1)
	v_add3_u32 v0, 0, v0, v1
	ds_load_b64 v[0:1], v0 offset:256
; %bb.18:
	s_or_b32 exec_lo, exec_lo, s0
	s_wait_dscnt 0x0
	ds_bpermute_b32 v2, v3, v0
	ds_bpermute_b32 v3, v3, v1
	s_wait_dscnt 0x0
	v_add_f64_e32 v[0:1], v[0:1], v[2:3]
	ds_bpermute_b32 v2, v6, v0
	ds_bpermute_b32 v3, v6, v1
	s_wait_dscnt 0x0
	v_add_f64_e32 v[0:1], v[0:1], v[2:3]
	;; [unrolled: 4-line block ×3, first 2 shown]
	ds_bpermute_b32 v2, v8, v0
	ds_bpermute_b32 v3, v8, v1
	s_and_saveexec_b32 s0, s1
	s_delay_alu instid0(SALU_CYCLE_1)
	s_xor_b32 s0, exec_lo, s0
	s_cbranch_execz .LBB125_20
; %bb.19:
	s_wait_dscnt 0x0
	v_add_f64_e32 v[0:1], v[0:1], v[2:3]
	global_store_b64 v4, v[0:1], s[2:3] offset:256 scale_offset
.LBB125_20:
	s_endpgm
	.section	.rodata,"a",@progbits
	.p2align	6, 0x0
	.amdhsa_kernel _ZN2at6native12_GLOBAL__N_135GammaBetaBackwardCUDAKernelTemplateIddLj64ELj16ELj128ELb0ELb1ELb1EEEvllPKT_S5_PKT0_S8_PS3_S9_
		.amdhsa_group_segment_fixed_size 0
		.amdhsa_private_segment_fixed_size 0
		.amdhsa_kernarg_size 320
		.amdhsa_user_sgpr_count 2
		.amdhsa_user_sgpr_dispatch_ptr 0
		.amdhsa_user_sgpr_queue_ptr 0
		.amdhsa_user_sgpr_kernarg_segment_ptr 1
		.amdhsa_user_sgpr_dispatch_id 0
		.amdhsa_user_sgpr_kernarg_preload_length 0
		.amdhsa_user_sgpr_kernarg_preload_offset 0
		.amdhsa_user_sgpr_private_segment_size 0
		.amdhsa_wavefront_size32 1
		.amdhsa_uses_dynamic_stack 0
		.amdhsa_enable_private_segment 0
		.amdhsa_system_sgpr_workgroup_id_x 1
		.amdhsa_system_sgpr_workgroup_id_y 1
		.amdhsa_system_sgpr_workgroup_id_z 0
		.amdhsa_system_sgpr_workgroup_info 0
		.amdhsa_system_vgpr_workitem_id 1
		.amdhsa_next_free_vgpr 56
		.amdhsa_next_free_sgpr 22
		.amdhsa_named_barrier_count 0
		.amdhsa_reserve_vcc 1
		.amdhsa_float_round_mode_32 0
		.amdhsa_float_round_mode_16_64 0
		.amdhsa_float_denorm_mode_32 3
		.amdhsa_float_denorm_mode_16_64 3
		.amdhsa_fp16_overflow 0
		.amdhsa_memory_ordered 1
		.amdhsa_forward_progress 1
		.amdhsa_inst_pref_size 14
		.amdhsa_round_robin_scheduling 0
		.amdhsa_exception_fp_ieee_invalid_op 0
		.amdhsa_exception_fp_denorm_src 0
		.amdhsa_exception_fp_ieee_div_zero 0
		.amdhsa_exception_fp_ieee_overflow 0
		.amdhsa_exception_fp_ieee_underflow 0
		.amdhsa_exception_fp_ieee_inexact 0
		.amdhsa_exception_int_div_zero 0
	.end_amdhsa_kernel
	.section	.text._ZN2at6native12_GLOBAL__N_135GammaBetaBackwardCUDAKernelTemplateIddLj64ELj16ELj128ELb0ELb1ELb1EEEvllPKT_S5_PKT0_S8_PS3_S9_,"axG",@progbits,_ZN2at6native12_GLOBAL__N_135GammaBetaBackwardCUDAKernelTemplateIddLj64ELj16ELj128ELb0ELb1ELb1EEEvllPKT_S5_PKT0_S8_PS3_S9_,comdat
.Lfunc_end125:
	.size	_ZN2at6native12_GLOBAL__N_135GammaBetaBackwardCUDAKernelTemplateIddLj64ELj16ELj128ELb0ELb1ELb1EEEvllPKT_S5_PKT0_S8_PS3_S9_, .Lfunc_end125-_ZN2at6native12_GLOBAL__N_135GammaBetaBackwardCUDAKernelTemplateIddLj64ELj16ELj128ELb0ELb1ELb1EEEvllPKT_S5_PKT0_S8_PS3_S9_
                                        ; -- End function
	.set _ZN2at6native12_GLOBAL__N_135GammaBetaBackwardCUDAKernelTemplateIddLj64ELj16ELj128ELb0ELb1ELb1EEEvllPKT_S5_PKT0_S8_PS3_S9_.num_vgpr, 56
	.set _ZN2at6native12_GLOBAL__N_135GammaBetaBackwardCUDAKernelTemplateIddLj64ELj16ELj128ELb0ELb1ELb1EEEvllPKT_S5_PKT0_S8_PS3_S9_.num_agpr, 0
	.set _ZN2at6native12_GLOBAL__N_135GammaBetaBackwardCUDAKernelTemplateIddLj64ELj16ELj128ELb0ELb1ELb1EEEvllPKT_S5_PKT0_S8_PS3_S9_.numbered_sgpr, 22
	.set _ZN2at6native12_GLOBAL__N_135GammaBetaBackwardCUDAKernelTemplateIddLj64ELj16ELj128ELb0ELb1ELb1EEEvllPKT_S5_PKT0_S8_PS3_S9_.num_named_barrier, 0
	.set _ZN2at6native12_GLOBAL__N_135GammaBetaBackwardCUDAKernelTemplateIddLj64ELj16ELj128ELb0ELb1ELb1EEEvllPKT_S5_PKT0_S8_PS3_S9_.private_seg_size, 0
	.set _ZN2at6native12_GLOBAL__N_135GammaBetaBackwardCUDAKernelTemplateIddLj64ELj16ELj128ELb0ELb1ELb1EEEvllPKT_S5_PKT0_S8_PS3_S9_.uses_vcc, 1
	.set _ZN2at6native12_GLOBAL__N_135GammaBetaBackwardCUDAKernelTemplateIddLj64ELj16ELj128ELb0ELb1ELb1EEEvllPKT_S5_PKT0_S8_PS3_S9_.uses_flat_scratch, 0
	.set _ZN2at6native12_GLOBAL__N_135GammaBetaBackwardCUDAKernelTemplateIddLj64ELj16ELj128ELb0ELb1ELb1EEEvllPKT_S5_PKT0_S8_PS3_S9_.has_dyn_sized_stack, 0
	.set _ZN2at6native12_GLOBAL__N_135GammaBetaBackwardCUDAKernelTemplateIddLj64ELj16ELj128ELb0ELb1ELb1EEEvllPKT_S5_PKT0_S8_PS3_S9_.has_recursion, 0
	.set _ZN2at6native12_GLOBAL__N_135GammaBetaBackwardCUDAKernelTemplateIddLj64ELj16ELj128ELb0ELb1ELb1EEEvllPKT_S5_PKT0_S8_PS3_S9_.has_indirect_call, 0
	.section	.AMDGPU.csdata,"",@progbits
; Kernel info:
; codeLenInByte = 1736
; TotalNumSgprs: 24
; NumVgprs: 56
; ScratchSize: 0
; MemoryBound: 0
; FloatMode: 240
; IeeeMode: 1
; LDSByteSize: 0 bytes/workgroup (compile time only)
; SGPRBlocks: 0
; VGPRBlocks: 3
; NumSGPRsForWavesPerEU: 24
; NumVGPRsForWavesPerEU: 56
; NamedBarCnt: 0
; Occupancy: 16
; WaveLimiterHint : 0
; COMPUTE_PGM_RSRC2:SCRATCH_EN: 0
; COMPUTE_PGM_RSRC2:USER_SGPR: 2
; COMPUTE_PGM_RSRC2:TRAP_HANDLER: 0
; COMPUTE_PGM_RSRC2:TGID_X_EN: 1
; COMPUTE_PGM_RSRC2:TGID_Y_EN: 1
; COMPUTE_PGM_RSRC2:TGID_Z_EN: 0
; COMPUTE_PGM_RSRC2:TIDIG_COMP_CNT: 1
	.section	.text._ZN2at6native12_GLOBAL__N_135GammaBetaBackwardCUDAKernelTemplateIddLj64ELj16ELj128ELb0ELb0ELb1EEEvllPKT_S5_PKT0_S8_PS3_S9_,"axG",@progbits,_ZN2at6native12_GLOBAL__N_135GammaBetaBackwardCUDAKernelTemplateIddLj64ELj16ELj128ELb0ELb0ELb1EEEvllPKT_S5_PKT0_S8_PS3_S9_,comdat
	.globl	_ZN2at6native12_GLOBAL__N_135GammaBetaBackwardCUDAKernelTemplateIddLj64ELj16ELj128ELb0ELb0ELb1EEEvllPKT_S5_PKT0_S8_PS3_S9_ ; -- Begin function _ZN2at6native12_GLOBAL__N_135GammaBetaBackwardCUDAKernelTemplateIddLj64ELj16ELj128ELb0ELb0ELb1EEEvllPKT_S5_PKT0_S8_PS3_S9_
	.p2align	8
	.type	_ZN2at6native12_GLOBAL__N_135GammaBetaBackwardCUDAKernelTemplateIddLj64ELj16ELj128ELb0ELb0ELb1EEEvllPKT_S5_PKT0_S8_PS3_S9_,@function
_ZN2at6native12_GLOBAL__N_135GammaBetaBackwardCUDAKernelTemplateIddLj64ELj16ELj128ELb0ELb0ELb1EEEvllPKT_S5_PKT0_S8_PS3_S9_: ; @_ZN2at6native12_GLOBAL__N_135GammaBetaBackwardCUDAKernelTemplateIddLj64ELj16ELj128ELb0ELb0ELb1EEEvllPKT_S5_PKT0_S8_PS3_S9_
; %bb.0:
	s_load_b256 s[4:11], s[0:1], 0x0
	s_bfe_u32 s3, ttmp6, 0x4000c
	s_bfe_u32 s12, ttmp6, 0x40010
	s_add_co_i32 s3, s3, 1
	s_add_co_i32 s12, s12, 1
	s_and_b32 s2, ttmp6, 15
	s_bfe_u32 s13, ttmp6, 0x40004
	s_mul_i32 s3, ttmp9, s3
	s_mul_i32 s12, ttmp7, s12
	s_getreg_b32 s14, hwreg(HW_REG_IB_STS2, 6, 4)
	s_add_co_i32 s2, s2, s3
	s_add_co_i32 s13, s13, s12
	s_cmp_eq_u32 s14, 0
	s_mov_b32 s17, 0
	s_cselect_b32 s12, ttmp9, s2
	s_cselect_b32 s2, ttmp7, s13
	s_lshl_b32 s3, s12, 6
	s_load_b64 s[14:15], s[0:1], 0x28
	s_or_b32 s16, s3, 63
	s_wait_kmcnt 0x0
	v_cmp_le_i64_e64 s18, s[6:7], s[16:17]
	s_lshl_b32 s16, s2, 7
	s_delay_alu instid0(SALU_CYCLE_1) | instskip(SKIP_2) | instid1(VALU_DEP_1)
	v_cmp_gt_i64_e64 s13, s[4:5], s[16:17]
	s_and_b32 vcc_lo, exec_lo, s18
	v_cndmask_b32_e64 v1, 0, 1, s13
	v_cmp_ne_u32_e64 s2, 1, v1
	s_cbranch_vccz .LBB126_49
; %bb.1:
	v_mov_b64_e32 v[4:5], 0
	s_and_b32 vcc_lo, exec_lo, s2
	s_cbranch_vccnz .LBB126_50
; %bb.2:
	v_bfe_u32 v1, v0, 10, 10
	v_mov_b32_e32 v2, 0
	v_and_b32_e32 v92, 0x3ff, v0
	s_load_b32 s18, s[0:1], 0x44
	s_mov_b32 s19, 0
	s_delay_alu instid0(VALU_DEP_2) | instskip(NEXT) | instid1(VALU_DEP_2)
	v_dual_mov_b32 v51, v2 :: v_dual_lshlrev_b32 v50, 3, v1
	v_dual_mov_b32 v19, v2 :: v_dual_add_nc_u32 v18, s3, v92
	v_mov_b64_e32 v[86:87], 0
	s_mov_b32 s31, s19
	s_delay_alu instid0(VALU_DEP_3)
	v_add_nc_u64_e32 v[4:5], s[16:17], v[50:51]
	s_mov_b64 s[20:21], 0xffffffffffffff81
	v_cmp_gt_i64_e64 s2, s[6:7], v[18:19]
	v_lshlrev_b64_e32 v[52:53], 3, v[18:19]
	s_mov_b64 s[22:23], 0xffffffffffffff82
	s_mov_b64 s[24:25], 0xffffffffffffff83
	;; [unrolled: 1-line block ×3, first 2 shown]
	v_mul_u64_e32 v[6:7], s[6:7], v[4:5]
	v_add_nc_u64_e32 v[8:9], 7, v[4:5]
	v_add_nc_u64_e32 v[10:11], 6, v[4:5]
	;; [unrolled: 1-line block ×6, first 2 shown]
	s_wait_kmcnt 0x0
	s_lshl_b32 s30, s18, 7
	v_mul_u64_e32 v[8:9], s[6:7], v[8:9]
	v_mul_u64_e32 v[10:11], s[6:7], v[10:11]
	v_mul_u64_e32 v[12:13], s[6:7], v[12:13]
	v_mul_u64_e32 v[14:15], s[6:7], v[14:15]
	v_mul_u64_e32 v[16:17], s[6:7], v[16:17]
	v_mul_u64_e32 v[4:5], s[6:7], v[4:5]
	s_mul_u64 s[42:43], s[6:7], s[30:31]
	s_mov_b64 s[28:29], 0xffffffffffffff85
	s_mov_b64 s[34:35], 0xffffffffffffff86
	;; [unrolled: 1-line block ×4, first 2 shown]
	s_add_nc_u64 s[40:41], s[0:1], 64
	s_lshl_b64 s[42:43], s[42:43], 3
	s_add_nc_u64 s[44:45], s[16:17], 0x7f
	s_mov_b64 s[46:47], s[16:17]
	v_lshlrev_b64_e32 v[20:21], 3, v[6:7]
	v_add_nc_u64_e32 v[6:7], s[6:7], v[6:7]
	s_delay_alu instid0(VALU_DEP_2)
	v_add_nc_u64_e32 v[54:55], s[8:9], v[20:21]
	v_lshlrev_b64_e32 v[8:9], 3, v[8:9]
	v_lshlrev_b64_e32 v[10:11], 3, v[10:11]
	;; [unrolled: 1-line block ×7, first 2 shown]
	v_add_nc_u64_e32 v[56:57], s[10:11], v[20:21]
	v_add_nc_u64_e32 v[58:59], s[8:9], v[8:9]
	;; [unrolled: 1-line block ×15, first 2 shown]
.LBB126_3:                              ; =>This Inner Loop Header: Depth=1
	v_cmp_ge_i64_e64 s18, s[44:45], s[4:5]
	v_add_nc_u64_e32 v[88:89], s[44:45], v[50:51]
                                        ; implicit-def: $vgpr4_vgpr5
                                        ; implicit-def: $vgpr18_vgpr19_vgpr20_vgpr21_vgpr22_vgpr23_vgpr24_vgpr25_vgpr26_vgpr27_vgpr28_vgpr29_vgpr30_vgpr31_vgpr32_vgpr33
                                        ; implicit-def: $vgpr34_vgpr35_vgpr36_vgpr37_vgpr38_vgpr39_vgpr40_vgpr41_vgpr42_vgpr43_vgpr44_vgpr45_vgpr46_vgpr47_vgpr48_vgpr49
                                        ; implicit-def: $vgpr6
	s_and_b32 vcc_lo, exec_lo, s18
	s_mov_b32 s18, -1
	s_cbranch_vccz .LBB126_25
; %bb.4:                                ;   in Loop: Header=BB126_3 Depth=1
	s_load_b32 s18, s[40:41], 0xc
	v_mov_b64_e32 v[90:91], 0
	s_wait_kmcnt 0x0
	s_and_b32 s18, s18, 0xffff
	s_delay_alu instid0(SALU_CYCLE_1) | instskip(SKIP_1) | instid1(VALU_DEP_1)
	v_mad_u32_u24 v3, v1, s18, v92
	s_mov_b32 s18, exec_lo
	v_and_b32_e32 v4, 31, v3
	s_delay_alu instid0(VALU_DEP_1)
	v_cmpx_gt_u32_e32 8, v4
	s_cbranch_execz .LBB126_8
; %bb.5:                                ;   in Loop: Header=BB126_3 Depth=1
	v_mov_b32_e32 v5, v2
	v_mov_b64_e32 v[90:91], 0
	s_mov_b32 s33, exec_lo
	s_delay_alu instid0(VALU_DEP_2) | instskip(NEXT) | instid1(VALU_DEP_1)
	v_add_nc_u64_e32 v[4:5], v[88:89], v[4:5]
	v_add_nc_u64_e32 v[4:5], s[20:21], v[4:5]
	s_delay_alu instid0(VALU_DEP_1)
	v_cmpx_gt_i64_e64 s[4:5], v[4:5]
	s_cbranch_execz .LBB126_7
; %bb.6:                                ;   in Loop: Header=BB126_3 Depth=1
	v_lshl_add_u64 v[4:5], v[4:5], 3, s[14:15]
	global_load_b64 v[90:91], v[4:5], off
.LBB126_7:                              ;   in Loop: Header=BB126_3 Depth=1
	s_wait_xcnt 0x0
	s_or_b32 exec_lo, exec_lo, s33
.LBB126_8:                              ;   in Loop: Header=BB126_3 Depth=1
	s_delay_alu instid0(SALU_CYCLE_1)
	s_or_b32 exec_lo, exec_lo, s18
	v_add_nc_u64_e32 v[18:19], s[20:21], v[88:89]
	v_dual_mov_b32 v15, v2 :: v_dual_mov_b32 v16, v2
	v_dual_mov_b32 v17, v2 :: v_dual_mov_b32 v3, v2
	;; [unrolled: 1-line block ×7, first 2 shown]
	v_mov_b32_e32 v14, v2
	v_cmp_gt_i64_e32 vcc_lo, s[4:5], v[18:19]
	v_mov_b64_e32 v[32:33], v[16:17]
	v_mov_b64_e32 v[48:49], v[16:17]
	;; [unrolled: 1-line block ×16, first 2 shown]
	s_and_b32 s33, s2, vcc_lo
	s_delay_alu instid0(SALU_CYCLE_1)
	s_and_saveexec_b32 s18, s33
	s_cbranch_execz .LBB126_10
; %bb.9:                                ;   in Loop: Header=BB126_3 Depth=1
	v_add_nc_u64_e32 v[4:5], v[54:55], v[52:53]
	v_add_nc_u64_e32 v[6:7], v[56:57], v[52:53]
	v_dual_mov_b32 v36, v2 :: v_dual_mov_b32 v37, v2
	v_dual_mov_b32 v38, v2 :: v_dual_mov_b32 v39, v2
	;; [unrolled: 1-line block ×3, first 2 shown]
	global_load_b64 v[34:35], v[4:5], off
	global_load_b64 v[18:19], v[6:7], off
	v_dual_mov_b32 v42, v2 :: v_dual_mov_b32 v43, v2
	v_dual_mov_b32 v44, v2 :: v_dual_mov_b32 v45, v2
	v_dual_mov_b32 v46, v2 :: v_dual_mov_b32 v47, v2
	v_dual_mov_b32 v48, v2 :: v_dual_mov_b32 v49, v2
	v_dual_mov_b32 v20, v2 :: v_dual_mov_b32 v21, v2
	v_dual_mov_b32 v22, v2 :: v_dual_mov_b32 v23, v2
	v_dual_mov_b32 v24, v2 :: v_dual_mov_b32 v25, v2
	v_dual_mov_b32 v26, v2 :: v_dual_mov_b32 v27, v2
	v_dual_mov_b32 v28, v2 :: v_dual_mov_b32 v29, v2
	v_dual_mov_b32 v30, v2 :: v_dual_mov_b32 v31, v2
	v_dual_mov_b32 v32, v2 :: v_dual_mov_b32 v33, v2
.LBB126_10:                             ;   in Loop: Header=BB126_3 Depth=1
	s_wait_xcnt 0x0
	s_or_b32 exec_lo, exec_lo, s18
	v_add_nc_u64_e32 v[4:5], s[22:23], v[88:89]
	s_delay_alu instid0(VALU_DEP_1) | instskip(SKIP_1) | instid1(SALU_CYCLE_1)
	v_cmp_gt_i64_e32 vcc_lo, s[4:5], v[4:5]
	s_and_b32 s33, s2, vcc_lo
	s_and_saveexec_b32 s18, s33
	s_cbranch_execz .LBB126_12
; %bb.11:                               ;   in Loop: Header=BB126_3 Depth=1
	v_add_nc_u64_e32 v[4:5], v[82:83], v[52:53]
	v_add_nc_u64_e32 v[6:7], v[84:85], v[52:53]
	global_load_b64 v[36:37], v[4:5], off
	global_load_b64 v[20:21], v[6:7], off
.LBB126_12:                             ;   in Loop: Header=BB126_3 Depth=1
	s_wait_xcnt 0x0
	s_or_b32 exec_lo, exec_lo, s18
	v_add_nc_u64_e32 v[4:5], s[24:25], v[88:89]
	s_delay_alu instid0(VALU_DEP_1) | instskip(SKIP_1) | instid1(SALU_CYCLE_1)
	v_cmp_gt_i64_e32 vcc_lo, s[4:5], v[4:5]
	s_and_b32 s33, s2, vcc_lo
	s_and_saveexec_b32 s18, s33
	s_cbranch_execz .LBB126_14
; %bb.13:                               ;   in Loop: Header=BB126_3 Depth=1
	v_add_nc_u64_e32 v[4:5], v[78:79], v[52:53]
	v_add_nc_u64_e32 v[6:7], v[80:81], v[52:53]
	global_load_b64 v[38:39], v[4:5], off
	global_load_b64 v[22:23], v[6:7], off
.LBB126_14:                             ;   in Loop: Header=BB126_3 Depth=1
	;; [unrolled: 14-line block ×7, first 2 shown]
	s_wait_xcnt 0x0
	s_or_b32 exec_lo, exec_lo, s18
	s_wait_loadcnt 0x0
	v_mul_f64_e32 v[4:5], v[18:19], v[34:35]
	ds_bpermute_b32 v6, v2, v90
	ds_bpermute_b32 v7, v2, v91
	v_mul_f64_e32 v[8:9], v[20:21], v[36:37]
	v_mul_f64_e32 v[10:11], v[22:23], v[38:39]
	s_mov_b32 s18, 0
	s_wait_dscnt 0x0
	v_fma_f64 v[4:5], v[4:5], v[6:7], v[86:87]
	ds_bpermute_b32 v6, v2, v90 offset:4
	ds_bpermute_b32 v7, v2, v91 offset:4
	s_wait_dscnt 0x0
	v_fmac_f64_e32 v[4:5], v[8:9], v[6:7]
	ds_bpermute_b32 v6, v2, v90 offset:8
	ds_bpermute_b32 v7, v2, v91 offset:8
	v_mul_f64_e32 v[8:9], v[24:25], v[40:41]
	s_wait_dscnt 0x0
	v_fmac_f64_e32 v[4:5], v[10:11], v[6:7]
	ds_bpermute_b32 v6, v2, v90 offset:12
	ds_bpermute_b32 v7, v2, v91 offset:12
	v_mul_f64_e32 v[10:11], v[26:27], v[42:43]
	;; [unrolled: 5-line block ×3, first 2 shown]
	s_wait_dscnt 0x0
	v_fmac_f64_e32 v[4:5], v[10:11], v[6:7]
	ds_bpermute_b32 v6, v2, v90 offset:20
	ds_bpermute_b32 v7, v2, v91 offset:20
	s_wait_dscnt 0x0
	v_fmac_f64_e32 v[4:5], v[8:9], v[6:7]
	v_mul_f64_e32 v[6:7], v[30:31], v[46:47]
	ds_bpermute_b32 v8, v2, v90 offset:24
	ds_bpermute_b32 v9, v2, v91 offset:24
	s_wait_dscnt 0x0
	v_fmac_f64_e32 v[4:5], v[6:7], v[8:9]
	ds_bpermute_b32 v6, v2, v90 offset:28
	ds_bpermute_b32 v7, v2, v91 offset:28
.LBB126_25:                             ;   in Loop: Header=BB126_3 Depth=1
	s_and_b32 vcc_lo, exec_lo, s18
	s_cbranch_vccz .LBB126_40
; %bb.26:                               ;   in Loop: Header=BB126_3 Depth=1
	s_load_b32 s18, s[40:41], 0x0
	v_mov_b64_e32 v[90:91], 0
	s_wait_kmcnt 0x0
	s_cmp_lt_u32 s12, s18
	s_cselect_b32 s18, 12, 18
	s_delay_alu instid0(SALU_CYCLE_1) | instskip(SKIP_4) | instid1(VALU_DEP_1)
	s_add_nc_u64 s[48:49], s[40:41], s[18:19]
	s_load_u16 s18, s[48:49], 0x0
	s_wait_kmcnt 0x0
	v_mad_u32_u24 v3, v1, s18, v92
	s_mov_b32 s18, exec_lo
	v_and_b32_e32 v4, 31, v3
	s_delay_alu instid0(VALU_DEP_1)
	v_cmpx_gt_u32_e32 8, v4
	s_cbranch_execz .LBB126_30
; %bb.27:                               ;   in Loop: Header=BB126_3 Depth=1
	v_mov_b32_e32 v5, v2
	v_mov_b64_e32 v[90:91], 0
	s_mov_b32 s33, exec_lo
	s_delay_alu instid0(VALU_DEP_2) | instskip(NEXT) | instid1(VALU_DEP_1)
	v_add_nc_u64_e32 v[4:5], v[88:89], v[4:5]
	v_add_nc_u64_e32 v[4:5], s[20:21], v[4:5]
	s_delay_alu instid0(VALU_DEP_1)
	v_cmpx_gt_i64_e64 s[4:5], v[4:5]
	s_cbranch_execz .LBB126_29
; %bb.28:                               ;   in Loop: Header=BB126_3 Depth=1
	v_lshl_add_u64 v[4:5], v[4:5], 3, s[14:15]
	global_load_b64 v[90:91], v[4:5], off
.LBB126_29:                             ;   in Loop: Header=BB126_3 Depth=1
	s_wait_xcnt 0x0
	s_or_b32 exec_lo, exec_lo, s33
.LBB126_30:                             ;   in Loop: Header=BB126_3 Depth=1
	s_delay_alu instid0(SALU_CYCLE_1)
	s_or_b32 exec_lo, exec_lo, s18
	v_dual_mov_b32 v15, v2 :: v_dual_mov_b32 v16, v2
	v_dual_mov_b32 v17, v2 :: v_dual_mov_b32 v3, v2
	;; [unrolled: 1-line block ×3, first 2 shown]
	s_wait_dscnt 0x0
	v_dual_mov_b32 v6, v2 :: v_dual_mov_b32 v7, v2
	v_dual_mov_b32 v8, v2 :: v_dual_mov_b32 v9, v2
	;; [unrolled: 1-line block ×4, first 2 shown]
	v_mov_b32_e32 v14, v2
	v_mov_b64_e32 v[32:33], v[16:17]
	v_mov_b64_e32 v[48:49], v[16:17]
	;; [unrolled: 1-line block ×16, first 2 shown]
	s_and_saveexec_b32 s18, s2
	s_cbranch_execnz .LBB126_42
; %bb.31:                               ;   in Loop: Header=BB126_3 Depth=1
	s_or_b32 exec_lo, exec_lo, s18
	s_and_saveexec_b32 s18, s2
	s_cbranch_execnz .LBB126_43
.LBB126_32:                             ;   in Loop: Header=BB126_3 Depth=1
	s_or_b32 exec_lo, exec_lo, s18
	s_and_saveexec_b32 s18, s2
	s_cbranch_execnz .LBB126_44
.LBB126_33:                             ;   in Loop: Header=BB126_3 Depth=1
	s_or_b32 exec_lo, exec_lo, s18
	s_and_saveexec_b32 s18, s2
	s_cbranch_execnz .LBB126_45
.LBB126_34:                             ;   in Loop: Header=BB126_3 Depth=1
	s_or_b32 exec_lo, exec_lo, s18
	s_and_saveexec_b32 s18, s2
	s_cbranch_execnz .LBB126_46
.LBB126_35:                             ;   in Loop: Header=BB126_3 Depth=1
	s_or_b32 exec_lo, exec_lo, s18
	s_and_saveexec_b32 s18, s2
	s_cbranch_execnz .LBB126_47
.LBB126_36:                             ;   in Loop: Header=BB126_3 Depth=1
	s_or_b32 exec_lo, exec_lo, s18
	s_and_saveexec_b32 s18, s2
	s_cbranch_execnz .LBB126_48
.LBB126_37:                             ;   in Loop: Header=BB126_3 Depth=1
	s_or_b32 exec_lo, exec_lo, s18
	s_and_saveexec_b32 s18, s2
	s_cbranch_execz .LBB126_39
.LBB126_38:                             ;   in Loop: Header=BB126_3 Depth=1
	v_add_nc_u64_e32 v[4:5], v[58:59], v[52:53]
	v_add_nc_u64_e32 v[6:7], v[60:61], v[52:53]
	global_load_b64 v[48:49], v[4:5], off
	global_load_b64 v[32:33], v[6:7], off
.LBB126_39:                             ;   in Loop: Header=BB126_3 Depth=1
	s_wait_xcnt 0x0
	s_or_b32 exec_lo, exec_lo, s18
	s_wait_loadcnt 0x0
	v_mul_f64_e32 v[4:5], v[18:19], v[34:35]
	ds_bpermute_b32 v6, v2, v90
	ds_bpermute_b32 v7, v2, v91
	v_mul_f64_e32 v[8:9], v[20:21], v[36:37]
	s_wait_dscnt 0x0
	v_fmac_f64_e32 v[86:87], v[4:5], v[6:7]
	ds_bpermute_b32 v4, v2, v90 offset:4
	ds_bpermute_b32 v5, v2, v91 offset:4
	v_mul_f64_e32 v[6:7], v[22:23], v[38:39]
	s_wait_dscnt 0x0
	v_fmac_f64_e32 v[86:87], v[8:9], v[4:5]
	ds_bpermute_b32 v4, v2, v90 offset:8
	ds_bpermute_b32 v5, v2, v91 offset:8
	;; [unrolled: 5-line block ×5, first 2 shown]
	ds_bpermute_b32 v6, v2, v90 offset:24
	ds_bpermute_b32 v7, v2, v91 offset:24
	s_wait_dscnt 0x2
	v_fmac_f64_e32 v[86:87], v[8:9], v[4:5]
	v_mul_f64_e32 v[4:5], v[30:31], v[46:47]
	s_wait_dscnt 0x0
	s_delay_alu instid0(VALU_DEP_1)
	v_fmac_f64_e32 v[86:87], v[4:5], v[6:7]
	ds_bpermute_b32 v6, v2, v90 offset:28
	ds_bpermute_b32 v7, v2, v91 offset:28
	v_mov_b64_e32 v[4:5], v[86:87]
.LBB126_40:                             ;   in Loop: Header=BB126_3 Depth=1
	v_mul_f64_e32 v[8:9], v[48:49], v[32:33]
	s_add_nc_u64 s[46:47], s[46:47], s[30:31]
	v_add_nc_u64_e32 v[54:55], s[42:43], v[54:55]
	v_cmp_lt_i64_e64 s18, s[46:47], s[4:5]
	v_add_nc_u64_e32 v[56:57], s[42:43], v[56:57]
	v_add_nc_u64_e32 v[58:59], s[42:43], v[58:59]
	;; [unrolled: 1-line block ×15, first 2 shown]
	s_and_b32 vcc_lo, exec_lo, s18
	s_add_nc_u64 s[44:45], s[44:45], s[30:31]
	s_wait_dscnt 0x0
	v_fmac_f64_e32 v[4:5], v[8:9], v[6:7]
	s_cbranch_vccz .LBB126_50
; %bb.41:                               ;   in Loop: Header=BB126_3 Depth=1
	s_delay_alu instid0(VALU_DEP_1)
	v_mov_b64_e32 v[86:87], v[4:5]
	s_branch .LBB126_3
.LBB126_42:                             ;   in Loop: Header=BB126_3 Depth=1
	v_add_nc_u64_e32 v[4:5], v[54:55], v[52:53]
	v_add_nc_u64_e32 v[6:7], v[56:57], v[52:53]
	v_dual_mov_b32 v36, v2 :: v_dual_mov_b32 v37, v2
	v_dual_mov_b32 v38, v2 :: v_dual_mov_b32 v39, v2
	;; [unrolled: 1-line block ×3, first 2 shown]
	global_load_b64 v[34:35], v[4:5], off
	global_load_b64 v[18:19], v[6:7], off
	v_dual_mov_b32 v42, v2 :: v_dual_mov_b32 v43, v2
	v_dual_mov_b32 v44, v2 :: v_dual_mov_b32 v45, v2
	;; [unrolled: 1-line block ×11, first 2 shown]
	s_wait_xcnt 0x0
	s_or_b32 exec_lo, exec_lo, s18
	s_and_saveexec_b32 s18, s2
	s_cbranch_execz .LBB126_32
.LBB126_43:                             ;   in Loop: Header=BB126_3 Depth=1
	v_add_nc_u64_e32 v[4:5], v[82:83], v[52:53]
	v_add_nc_u64_e32 v[6:7], v[84:85], v[52:53]
	global_load_b64 v[36:37], v[4:5], off
	global_load_b64 v[20:21], v[6:7], off
	s_wait_xcnt 0x0
	s_or_b32 exec_lo, exec_lo, s18
	s_and_saveexec_b32 s18, s2
	s_cbranch_execz .LBB126_33
.LBB126_44:                             ;   in Loop: Header=BB126_3 Depth=1
	v_add_nc_u64_e32 v[4:5], v[78:79], v[52:53]
	v_add_nc_u64_e32 v[6:7], v[80:81], v[52:53]
	global_load_b64 v[38:39], v[4:5], off
	global_load_b64 v[22:23], v[6:7], off
	s_wait_xcnt 0x0
	s_or_b32 exec_lo, exec_lo, s18
	s_and_saveexec_b32 s18, s2
	s_cbranch_execz .LBB126_34
.LBB126_45:                             ;   in Loop: Header=BB126_3 Depth=1
	v_add_nc_u64_e32 v[4:5], v[74:75], v[52:53]
	v_add_nc_u64_e32 v[6:7], v[76:77], v[52:53]
	global_load_b64 v[40:41], v[4:5], off
	global_load_b64 v[24:25], v[6:7], off
	s_wait_xcnt 0x0
	s_or_b32 exec_lo, exec_lo, s18
	s_and_saveexec_b32 s18, s2
	s_cbranch_execz .LBB126_35
.LBB126_46:                             ;   in Loop: Header=BB126_3 Depth=1
	v_add_nc_u64_e32 v[4:5], v[70:71], v[52:53]
	v_add_nc_u64_e32 v[6:7], v[72:73], v[52:53]
	global_load_b64 v[42:43], v[4:5], off
	global_load_b64 v[26:27], v[6:7], off
	s_wait_xcnt 0x0
	s_or_b32 exec_lo, exec_lo, s18
	s_and_saveexec_b32 s18, s2
	s_cbranch_execz .LBB126_36
.LBB126_47:                             ;   in Loop: Header=BB126_3 Depth=1
	v_add_nc_u64_e32 v[4:5], v[66:67], v[52:53]
	v_add_nc_u64_e32 v[6:7], v[68:69], v[52:53]
	global_load_b64 v[44:45], v[4:5], off
	global_load_b64 v[28:29], v[6:7], off
	s_wait_xcnt 0x0
	s_or_b32 exec_lo, exec_lo, s18
	s_and_saveexec_b32 s18, s2
	s_cbranch_execz .LBB126_37
.LBB126_48:                             ;   in Loop: Header=BB126_3 Depth=1
	v_add_nc_u64_e32 v[4:5], v[62:63], v[52:53]
	v_add_nc_u64_e32 v[6:7], v[64:65], v[52:53]
	global_load_b64 v[46:47], v[4:5], off
	global_load_b64 v[30:31], v[6:7], off
	s_wait_xcnt 0x0
	s_or_b32 exec_lo, exec_lo, s18
	s_and_saveexec_b32 s18, s2
	s_cbranch_execnz .LBB126_38
	s_branch .LBB126_39
.LBB126_49:
                                        ; implicit-def: $vgpr4_vgpr5
	s_branch .LBB126_51
.LBB126_50:
	s_cbranch_execnz .LBB126_83
.LBB126_51:
	v_mov_b64_e32 v[4:5], 0
	s_and_not1_b32 vcc_lo, exec_lo, s13
	s_cbranch_vccnz .LBB126_83
; %bb.52:
	v_bfe_u32 v1, v0, 10, 10
	v_mov_b32_e32 v2, 0
	v_and_b32_e32 v120, 0x3ff, v0
	s_load_b32 s2, s[0:1], 0x44
	v_mov_b64_e32 v[114:115], 0
	s_delay_alu instid0(VALU_DEP_3) | instskip(SKIP_3) | instid1(VALU_DEP_2)
	v_dual_mov_b32 v5, v2 :: v_dual_lshlrev_b32 v4, 6, v1
	v_dual_mov_b32 v51, v2 :: v_dual_lshlrev_b32 v50, 3, v1
	s_mov_b64 s[20:21], 0xffffffffffffff83
	s_mov_b64 s[22:23], 0xffffffffffffff84
	v_lshl_add_u64 v[8:9], s[16:17], 3, v[4:5]
	s_mov_b64 s[24:25], 0xffffffffffffff85
	s_mov_b64 s[26:27], 0xffffffffffffff86
	;; [unrolled: 1-line block ×4, first 2 shown]
	v_add_nc_u64_e32 v[10:11], 8, v[8:9]
	v_add_nc_u64_e32 v[12:13], 16, v[8:9]
	;; [unrolled: 1-line block ×7, first 2 shown]
	v_mad_nc_u64_u32 v[52:53], s6, v10, s[8:9]
	v_mul_lo_u32 v3, s6, v11
	v_mul_lo_u32 v20, s7, v10
	v_mad_nc_u64_u32 v[62:63], s6, v10, s[10:11]
	v_mad_nc_u64_u32 v[56:57], s6, v14, s[8:9]
	v_mul_lo_u32 v26, s6, v15
	v_mad_nc_u64_u32 v[72:73], s6, v8, s[8:9]
	v_mul_lo_u32 v33, s7, v8
	v_mad_nc_u64_u32 v[78:79], s6, v8, s[10:11]
	v_add_nc_u32_e32 v8, s3, v120
	v_add_nc_u64_e32 v[4:5], s[16:17], v[50:51]
	v_mul_lo_u32 v27, s7, v14
	v_mad_nc_u64_u32 v[66:67], s6, v14, s[10:11]
	v_mad_nc_u64_u32 v[54:55], s6, v12, s[8:9]
	v_mul_lo_u32 v24, s6, v13
	v_mul_lo_u32 v25, s7, v12
	v_mad_nc_u64_u32 v[58:59], s6, v16, s[8:9]
	v_add_nc_u64_e32 v[10:11], 7, v[4:5]
	v_add_nc_u64_e32 v[14:15], 6, v[4:5]
	v_mul_lo_u32 v28, s6, v17
	v_mul_lo_u32 v29, s7, v16
	v_mad_nc_u64_u32 v[64:65], s6, v12, s[10:11]
	v_add3_u32 v53, v20, v53, v3
	v_mul_u64_e32 v[12:13], s[6:7], v[4:5]
	v_mul_u64_e32 v[10:11], s[6:7], v[10:11]
	v_add3_u32 v63, v20, v63, v3
	v_add_nc_u64_e32 v[20:21], 5, v[4:5]
	v_add_nc_u64_e32 v[22:23], 4, v[4:5]
	v_mad_nc_u64_u32 v[70:71], s6, v16, s[10:11]
	v_mul_u64_e32 v[14:15], s[6:7], v[14:15]
	v_add_nc_u64_e32 v[16:17], 3, v[4:5]
	v_add_nc_u64_e32 v[4:5], 2, v[4:5]
	v_mad_nc_u64_u32 v[60:61], s6, v6, s[8:9]
	v_mul_lo_u32 v30, s6, v7
	v_mul_lo_u32 v31, s7, v6
	v_mul_u64_e32 v[20:21], s[6:7], v[20:21]
	v_mul_u64_e32 v[22:23], s[6:7], v[22:23]
	v_mad_nc_u64_u32 v[74:75], s6, v6, s[10:11]
	v_mul_u64_e32 v[6:7], s[6:7], v[16:17]
	v_mul_u64_e32 v[4:5], s[6:7], v[4:5]
	v_mul_lo_u32 v3, s6, v9
	v_mov_b32_e32 v9, v2
	v_mad_nc_u64_u32 v[68:69], s6, v18, s[8:9]
	v_mul_lo_u32 v19, s6, v19
	v_mul_lo_u32 v32, s7, v18
	v_mad_nc_u64_u32 v[76:77], s6, v18, s[10:11]
	v_lshlrev_b64_e32 v[80:81], 3, v[8:9]
	s_mov_b32 s3, 0
	s_wait_kmcnt 0x0
	s_lshl_b32 s18, s2, 7
	s_mov_b32 s19, s3
	v_add3_u32 v55, v25, v55, v24
	v_add3_u32 v57, v27, v57, v26
	;; [unrolled: 1-line block ×5, first 2 shown]
	v_lshlrev_b64_e32 v[16:17], 3, v[12:13]
	v_lshlrev_b64_e32 v[10:11], 3, v[10:11]
	v_add_nc_u64_e32 v[12:13], s[6:7], v[12:13]
	v_add3_u32 v71, v29, v71, v28
	v_add3_u32 v61, v31, v61, v30
	;; [unrolled: 1-line block ×3, first 2 shown]
	v_lshlrev_b64_e32 v[8:9], 3, v[14:15]
	v_add_nc_u64_e32 v[82:83], s[8:9], v[16:17]
	v_add_nc_u64_e32 v[86:87], s[8:9], v[10:11]
	;; [unrolled: 1-line block ×4, first 2 shown]
	v_add3_u32 v69, v32, v69, v19
	v_lshlrev_b64_e32 v[10:11], 3, v[20:21]
	v_lshlrev_b64_e32 v[14:15], 3, v[22:23]
	v_add_nc_u64_e32 v[90:91], s[8:9], v[8:9]
	v_add_nc_u64_e32 v[92:93], s[10:11], v[8:9]
	v_lshlrev_b64_e32 v[6:7], 3, v[6:7]
	v_lshlrev_b64_e32 v[4:5], 3, v[4:5]
	;; [unrolled: 1-line block ×3, first 2 shown]
	v_add_nc_u64_e32 v[94:95], s[8:9], v[10:11]
	v_add_nc_u64_e32 v[96:97], s[10:11], v[10:11]
	;; [unrolled: 1-line block ×10, first 2 shown]
	v_add3_u32 v73, v33, v73, v3
	v_add3_u32 v77, v32, v77, v19
	;; [unrolled: 1-line block ×3, first 2 shown]
	s_mul_u64 s[36:37], s[6:7], s[18:19]
	s_mov_b64 s[8:9], 0xffffffffffffff81
	s_mov_b64 s[10:11], 0xffffffffffffff82
	s_add_nc_u64 s[34:35], s[0:1], 64
	s_lshl_b64 s[36:37], s[36:37], 3
	s_add_nc_u64 s[38:39], s[16:17], 0x7f
.LBB126_53:                             ; =>This Inner Loop Header: Depth=1
	s_delay_alu instid0(SALU_CYCLE_1)
	v_cmp_ge_i64_e64 s2, s[38:39], s[4:5]
	v_add_nc_u64_e32 v[116:117], s[38:39], v[50:51]
                                        ; implicit-def: $vgpr4_vgpr5
	s_and_b32 vcc_lo, exec_lo, s2
	s_mov_b32 s2, -1
	s_cbranch_vccz .LBB126_75
; %bb.54:                               ;   in Loop: Header=BB126_53 Depth=1
	s_load_b32 s2, s[34:35], 0xc
	v_mov_b64_e32 v[118:119], 0
	s_wait_kmcnt 0x0
	s_and_b32 s2, s2, 0xffff
	s_delay_alu instid0(SALU_CYCLE_1) | instskip(SKIP_1) | instid1(VALU_DEP_1)
	v_mad_u32_u24 v3, v1, s2, v120
	s_mov_b32 s2, exec_lo
	v_and_b32_e32 v4, 31, v3
	s_delay_alu instid0(VALU_DEP_1)
	v_cmpx_gt_u32_e32 8, v4
	s_cbranch_execz .LBB126_58
; %bb.55:                               ;   in Loop: Header=BB126_53 Depth=1
	v_mov_b32_e32 v5, v2
	v_mov_b64_e32 v[118:119], 0
	s_mov_b32 s13, exec_lo
	s_delay_alu instid0(VALU_DEP_2) | instskip(NEXT) | instid1(VALU_DEP_1)
	v_add_nc_u64_e32 v[4:5], v[116:117], v[4:5]
	v_add_nc_u64_e32 v[4:5], s[8:9], v[4:5]
	s_delay_alu instid0(VALU_DEP_1)
	v_cmpx_gt_i64_e64 s[4:5], v[4:5]
	s_cbranch_execz .LBB126_57
; %bb.56:                               ;   in Loop: Header=BB126_53 Depth=1
	v_lshl_add_u64 v[4:5], v[4:5], 3, s[14:15]
	global_load_b64 v[118:119], v[4:5], off
.LBB126_57:                             ;   in Loop: Header=BB126_53 Depth=1
	s_wait_xcnt 0x0
	s_or_b32 exec_lo, exec_lo, s13
.LBB126_58:                             ;   in Loop: Header=BB126_53 Depth=1
	s_delay_alu instid0(SALU_CYCLE_1)
	s_or_b32 exec_lo, exec_lo, s2
	v_add_nc_u64_e32 v[18:19], s[8:9], v[116:117]
	v_dual_mov_b32 v15, v2 :: v_dual_mov_b32 v16, v2
	v_dual_mov_b32 v17, v2 :: v_dual_mov_b32 v3, v2
	;; [unrolled: 1-line block ×7, first 2 shown]
	v_mov_b32_e32 v14, v2
	v_cmp_gt_i64_e32 vcc_lo, s[4:5], v[18:19]
	v_mov_b64_e32 v[32:33], v[16:17]
	v_mov_b64_e32 v[48:49], v[16:17]
	;; [unrolled: 1-line block ×16, first 2 shown]
	s_and_saveexec_b32 s2, vcc_lo
	s_cbranch_execz .LBB126_60
; %bb.59:                               ;   in Loop: Header=BB126_53 Depth=1
	v_add_nc_u64_e32 v[4:5], v[82:83], v[80:81]
	v_add_nc_u64_e32 v[6:7], v[84:85], v[80:81]
	v_dual_mov_b32 v36, v2 :: v_dual_mov_b32 v37, v2
	v_dual_mov_b32 v38, v2 :: v_dual_mov_b32 v39, v2
	;; [unrolled: 1-line block ×3, first 2 shown]
	global_load_b64 v[34:35], v[4:5], off
	global_load_b64 v[18:19], v[6:7], off
	v_dual_mov_b32 v42, v2 :: v_dual_mov_b32 v43, v2
	v_dual_mov_b32 v44, v2 :: v_dual_mov_b32 v45, v2
	;; [unrolled: 1-line block ×11, first 2 shown]
.LBB126_60:                             ;   in Loop: Header=BB126_53 Depth=1
	s_wait_xcnt 0x0
	s_or_b32 exec_lo, exec_lo, s2
	v_add_nc_u64_e32 v[4:5], s[10:11], v[116:117]
	s_mov_b32 s2, exec_lo
	s_delay_alu instid0(VALU_DEP_1)
	v_cmpx_gt_i64_e64 s[4:5], v[4:5]
	s_cbranch_execz .LBB126_62
; %bb.61:                               ;   in Loop: Header=BB126_53 Depth=1
	v_add_nc_u64_e32 v[4:5], v[110:111], v[80:81]
	v_add_nc_u64_e32 v[6:7], v[112:113], v[80:81]
	global_load_b64 v[36:37], v[4:5], off
	global_load_b64 v[20:21], v[6:7], off
.LBB126_62:                             ;   in Loop: Header=BB126_53 Depth=1
	s_wait_xcnt 0x0
	s_or_b32 exec_lo, exec_lo, s2
	v_add_nc_u64_e32 v[4:5], s[20:21], v[116:117]
	s_mov_b32 s2, exec_lo
	s_delay_alu instid0(VALU_DEP_1)
	v_cmpx_gt_i64_e64 s[4:5], v[4:5]
	s_cbranch_execz .LBB126_64
; %bb.63:                               ;   in Loop: Header=BB126_53 Depth=1
	v_add_nc_u64_e32 v[4:5], v[106:107], v[80:81]
	v_add_nc_u64_e32 v[6:7], v[108:109], v[80:81]
	global_load_b64 v[38:39], v[4:5], off
	global_load_b64 v[22:23], v[6:7], off
.LBB126_64:                             ;   in Loop: Header=BB126_53 Depth=1
	;; [unrolled: 13-line block ×7, first 2 shown]
	s_wait_xcnt 0x0
	s_or_b32 exec_lo, exec_lo, s2
	s_wait_loadcnt 0x0
	v_mul_f64_e32 v[4:5], v[18:19], v[34:35]
	ds_bpermute_b32 v6, v2, v118
	ds_bpermute_b32 v7, v2, v119
	v_mul_f64_e32 v[8:9], v[20:21], v[36:37]
	v_mul_f64_e32 v[10:11], v[22:23], v[38:39]
	s_mov_b32 s2, 0
	s_wait_dscnt 0x0
	v_fma_f64 v[4:5], v[4:5], v[6:7], v[114:115]
	ds_bpermute_b32 v6, v2, v118 offset:4
	ds_bpermute_b32 v7, v2, v119 offset:4
	s_wait_dscnt 0x0
	v_fmac_f64_e32 v[4:5], v[8:9], v[6:7]
	ds_bpermute_b32 v6, v2, v118 offset:8
	ds_bpermute_b32 v7, v2, v119 offset:8
	v_mul_f64_e32 v[8:9], v[24:25], v[40:41]
	s_wait_dscnt 0x0
	v_fmac_f64_e32 v[4:5], v[10:11], v[6:7]
	ds_bpermute_b32 v6, v2, v118 offset:12
	ds_bpermute_b32 v7, v2, v119 offset:12
	v_mul_f64_e32 v[10:11], v[26:27], v[42:43]
	;; [unrolled: 5-line block ×4, first 2 shown]
	s_wait_dscnt 0x0
	v_fmac_f64_e32 v[4:5], v[8:9], v[6:7]
	ds_bpermute_b32 v6, v2, v118 offset:24
	ds_bpermute_b32 v7, v2, v119 offset:24
	;; [unrolled: 1-line block ×4, first 2 shown]
	s_wait_dscnt 0x2
	v_fmac_f64_e32 v[4:5], v[10:11], v[6:7]
	v_mul_f64_e32 v[6:7], v[32:33], v[48:49]
	s_wait_dscnt 0x0
	s_delay_alu instid0(VALU_DEP_1)
	v_fmac_f64_e32 v[4:5], v[6:7], v[8:9]
.LBB126_75:                             ;   in Loop: Header=BB126_53 Depth=1
	s_and_b32 vcc_lo, exec_lo, s2
	s_cbranch_vccz .LBB126_81
; %bb.76:                               ;   in Loop: Header=BB126_53 Depth=1
	s_load_b32 s2, s[34:35], 0x0
	v_mov_b64_e32 v[4:5], 0
	s_wait_kmcnt 0x0
	s_cmp_lt_u32 s12, s2
	s_cselect_b32 s2, 12, 18
	s_delay_alu instid0(SALU_CYCLE_1) | instskip(SKIP_4) | instid1(VALU_DEP_1)
	s_add_nc_u64 s[40:41], s[34:35], s[2:3]
	s_load_u16 s2, s[40:41], 0x0
	s_wait_kmcnt 0x0
	v_mad_u32_u24 v3, v1, s2, v120
	s_mov_b32 s2, exec_lo
	v_and_b32_e32 v6, 31, v3
	s_delay_alu instid0(VALU_DEP_1)
	v_cmpx_gt_u32_e32 8, v6
	s_cbranch_execz .LBB126_80
; %bb.77:                               ;   in Loop: Header=BB126_53 Depth=1
	v_mov_b32_e32 v7, v2
	s_mov_b32 s13, exec_lo
	s_delay_alu instid0(VALU_DEP_1) | instskip(NEXT) | instid1(VALU_DEP_1)
	v_add_nc_u64_e32 v[4:5], v[116:117], v[6:7]
	v_add_nc_u64_e32 v[6:7], s[8:9], v[4:5]
	v_mov_b64_e32 v[4:5], 0
	s_delay_alu instid0(VALU_DEP_2)
	v_cmpx_gt_i64_e64 s[4:5], v[6:7]
	s_cbranch_execz .LBB126_79
; %bb.78:                               ;   in Loop: Header=BB126_53 Depth=1
	v_lshl_add_u64 v[4:5], v[6:7], 3, s[14:15]
	global_load_b64 v[4:5], v[4:5], off
.LBB126_79:                             ;   in Loop: Header=BB126_53 Depth=1
	s_wait_xcnt 0x0
	s_or_b32 exec_lo, exec_lo, s13
.LBB126_80:                             ;   in Loop: Header=BB126_53 Depth=1
	s_delay_alu instid0(SALU_CYCLE_1)
	s_or_b32 exec_lo, exec_lo, s2
	v_add_nc_u64_e32 v[6:7], v[82:83], v[80:81]
	v_add_nc_u64_e32 v[8:9], v[84:85], v[80:81]
	;; [unrolled: 1-line block ×7, first 2 shown]
	global_load_b64 v[6:7], v[6:7], off
	global_load_b64 v[8:9], v[8:9], off
	;; [unrolled: 1-line block ×6, first 2 shown]
	v_add_nc_u64_e32 v[20:21], v[66:67], v[80:81]
	global_load_b64 v[18:19], v[18:19], off
	global_load_b64 v[20:21], v[20:21], off
	v_add_nc_u64_e32 v[22:23], v[58:59], v[80:81]
	v_add_nc_u64_e32 v[24:25], v[70:71], v[80:81]
	global_load_b64 v[22:23], v[22:23], off
	global_load_b64 v[24:25], v[24:25], off
	v_add_nc_u64_e32 v[26:27], v[60:61], v[80:81]
	;; [unrolled: 4-line block ×4, first 2 shown]
	v_add_nc_u64_e32 v[36:37], v[78:79], v[80:81]
	global_load_b64 v[34:35], v[34:35], off
	global_load_b64 v[36:37], v[36:37], off
	s_wait_loadcnt 0xe
	s_wait_xcnt 0xf
	v_mul_f64_e32 v[6:7], v[6:7], v[8:9]
	ds_bpermute_b32 v8, v2, v4
	ds_bpermute_b32 v9, v2, v5
	s_wait_loadcnt 0xc
	s_wait_xcnt 0xd
	v_mul_f64_e32 v[10:11], v[10:11], v[12:13]
	s_wait_dscnt 0x0
	v_fmac_f64_e32 v[114:115], v[6:7], v[8:9]
	ds_bpermute_b32 v6, v2, v4 offset:4
	ds_bpermute_b32 v7, v2, v5 offset:4
	s_wait_loadcnt 0xa
	v_mul_f64_e32 v[8:9], v[14:15], v[16:17]
	s_wait_dscnt 0x0
	v_fmac_f64_e32 v[114:115], v[10:11], v[6:7]
	ds_bpermute_b32 v6, v2, v4 offset:8
	ds_bpermute_b32 v7, v2, v5 offset:8
	s_wait_loadcnt 0x8
	;; [unrolled: 6-line block ×5, first 2 shown]
	v_mul_f64_e32 v[8:9], v[30:31], v[32:33]
	s_wait_dscnt 0x0
	v_fmac_f64_e32 v[114:115], v[10:11], v[6:7]
	ds_bpermute_b32 v6, v2, v4 offset:24
	ds_bpermute_b32 v7, v2, v5 offset:24
	;; [unrolled: 1-line block ×4, first 2 shown]
	s_wait_dscnt 0x2
	v_fmac_f64_e32 v[114:115], v[8:9], v[6:7]
	s_wait_loadcnt 0x0
	v_mul_f64_e32 v[6:7], v[34:35], v[36:37]
	s_wait_dscnt 0x0
	s_delay_alu instid0(VALU_DEP_1) | instskip(NEXT) | instid1(VALU_DEP_1)
	v_fmac_f64_e32 v[114:115], v[6:7], v[4:5]
	v_mov_b64_e32 v[4:5], v[114:115]
.LBB126_81:                             ;   in Loop: Header=BB126_53 Depth=1
	s_add_nc_u64 s[16:17], s[16:17], s[18:19]
	v_add_nc_u64_e32 v[82:83], s[36:37], v[82:83]
	v_cmp_ge_i64_e64 s2, s[16:17], s[4:5]
	v_add_nc_u64_e32 v[84:85], s[36:37], v[84:85]
	v_add_nc_u64_e32 v[52:53], s[36:37], v[52:53]
	;; [unrolled: 1-line block ×29, first 2 shown]
	s_and_b32 vcc_lo, exec_lo, s2
	s_add_nc_u64 s[38:39], s[38:39], s[18:19]
	s_cbranch_vccnz .LBB126_83
; %bb.82:                               ;   in Loop: Header=BB126_53 Depth=1
	v_mov_b64_e32 v[114:115], v[4:5]
	s_branch .LBB126_53
.LBB126_83:
	v_and_b32_e32 v6, 0x3ff, v0
	v_bfe_u32 v0, v0, 10, 10
	v_mov_b64_e32 v[2:3], 0
	s_mov_b32 s2, exec_lo
	s_delay_alu instid0(VALU_DEP_2) | instskip(NEXT) | instid1(VALU_DEP_1)
	v_mad_u32_u24 v1, 0x41, v0, v6
	v_lshl_add_u32 v7, v1, 3, 0
	v_sub_nc_u32_e32 v1, v1, v0
	ds_store_b64 v7, v[4:5]
	ds_store_b64 v7, v[2:3] offset:8320
	s_wait_dscnt 0x0
	s_barrier_signal -1
	s_barrier_wait -1
	v_cmpx_gt_u32_e32 0x800, v1
	s_cbranch_execz .LBB126_93
; %bb.84:
	s_load_b64 s[2:3], s[0:1], 0x30
	v_dual_lshrrev_b32 v0, 5, v1 :: v_dual_bitop2_b32 v2, 31, v6 bitop3:0x40
	s_delay_alu instid0(VALU_DEP_1)
	v_cmp_gt_u32_e32 vcc_lo, 16, v2
	v_mul_u32_u24_e32 v7, 0x41, v2
                                        ; implicit-def: $vgpr2_vgpr3
	s_wait_xcnt 0x0
	s_and_saveexec_b32 s0, vcc_lo
; %bb.85:
	s_delay_alu instid0(VALU_DEP_1) | instskip(NEXT) | instid1(VALU_DEP_1)
	v_dual_lshlrev_b32 v2, 3, v0 :: v_dual_lshlrev_b32 v3, 3, v7
	v_add3_u32 v2, 0, v2, v3
	ds_load_b64 v[2:3], v2
; %bb.86:
	s_or_b32 exec_lo, exec_lo, s0
	v_mbcnt_lo_u32_b32 v11, -1, 0
	s_mov_b32 s13, 0
	s_delay_alu instid0(SALU_CYCLE_1) | instskip(SKIP_4) | instid1(VALU_DEP_1)
	s_lshl_b64 s[4:5], s[12:13], 6
	s_wait_kmcnt 0x0
	s_cmp_eq_u64 s[2:3], 0
	v_xor_b32_e32 v4, 8, v11
	s_cselect_b32 s8, -1, 0
	v_cmp_gt_i32_e64 s0, 32, v4
	s_delay_alu instid0(VALU_DEP_1) | instskip(NEXT) | instid1(VALU_DEP_1)
	v_cndmask_b32_e64 v4, v11, v4, s0
	v_lshlrev_b32_e32 v8, 2, v4
	s_wait_dscnt 0x0
	ds_bpermute_b32 v4, v8, v2
	ds_bpermute_b32 v5, v8, v3
	s_wait_dscnt 0x0
	v_dual_add_f64 v[2:3], v[2:3], v[4:5] :: v_dual_bitop2_b32 v4, 4, v11 bitop3:0x14
	s_delay_alu instid0(VALU_DEP_1) | instskip(NEXT) | instid1(VALU_DEP_1)
	v_cmp_gt_i32_e64 s0, 32, v4
	v_cndmask_b32_e64 v4, v11, v4, s0
	s_delay_alu instid0(VALU_DEP_1) | instskip(SKIP_4) | instid1(VALU_DEP_1)
	v_lshlrev_b32_e32 v9, 2, v4
	ds_bpermute_b32 v4, v9, v2
	ds_bpermute_b32 v5, v9, v3
	s_wait_dscnt 0x0
	v_dual_add_f64 v[2:3], v[2:3], v[4:5] :: v_dual_bitop2_b32 v4, 2, v11 bitop3:0x14
	v_cmp_gt_i32_e64 s0, 32, v4
	s_delay_alu instid0(VALU_DEP_1) | instskip(NEXT) | instid1(VALU_DEP_1)
	v_cndmask_b32_e64 v4, v11, v4, s0
	v_lshlrev_b32_e32 v10, 2, v4
	ds_bpermute_b32 v4, v10, v2
	ds_bpermute_b32 v5, v10, v3
	s_wait_dscnt 0x0
	v_dual_add_f64 v[2:3], v[2:3], v[4:5] :: v_dual_bitop2_b32 v4, 1, v11 bitop3:0x14
	s_delay_alu instid0(VALU_DEP_1) | instskip(NEXT) | instid1(VALU_DEP_1)
	v_cmp_gt_i32_e64 s0, 32, v4
	v_cndmask_b32_e64 v4, v11, v4, s0
	v_cmp_ne_u32_e64 s0, 0, v6
	s_delay_alu instid0(VALU_DEP_2)
	v_lshlrev_b32_e32 v11, 2, v4
	ds_bpermute_b32 v4, v11, v2
	ds_bpermute_b32 v5, v11, v3
	s_wait_dscnt 0x0
	v_add_f64_e32 v[2:3], v[2:3], v[4:5]
	v_dual_mov_b32 v5, s5 :: v_dual_bitop2_b32 v4, s4, v0 bitop3:0x54
	s_delay_alu instid0(VALU_DEP_1) | instskip(SKIP_1) | instid1(SALU_CYCLE_1)
	v_cmp_le_i64_e64 s1, s[6:7], v[4:5]
	s_or_b32 s1, s0, s1
	s_nor_b32 s9, s8, s1
	s_delay_alu instid0(SALU_CYCLE_1)
	s_and_saveexec_b32 s1, s9
	s_cbranch_execz .LBB126_88
; %bb.87:
	v_lshl_add_u64 v[4:5], v[4:5], 3, s[2:3]
	global_store_b64 v[4:5], v[2:3], off
.LBB126_88:
	s_wait_xcnt 0x0
	s_or_b32 exec_lo, exec_lo, s1
	v_cmp_gt_u32_e64 s1, 0x400, v1
	s_and_b32 exec_lo, exec_lo, s1
	s_cbranch_execz .LBB126_93
; %bb.89:
	s_and_saveexec_b32 s1, vcc_lo
; %bb.90:
	v_dual_lshlrev_b32 v1, 3, v0 :: v_dual_lshlrev_b32 v2, 3, v7
	s_delay_alu instid0(VALU_DEP_1)
	v_add3_u32 v1, 0, v1, v2
	ds_load_b64 v[2:3], v1 offset:256
; %bb.91:
	s_or_b32 exec_lo, exec_lo, s1
	s_wait_dscnt 0x0
	ds_bpermute_b32 v4, v8, v2
	ds_bpermute_b32 v5, v8, v3
	v_dual_add_nc_u32 v1, 32, v0 :: v_dual_mov_b32 v7, s5
	s_delay_alu instid0(VALU_DEP_1) | instskip(NEXT) | instid1(VALU_DEP_1)
	v_or_b32_e32 v6, s4, v1
	v_cmp_le_i64_e32 vcc_lo, s[6:7], v[6:7]
	s_or_b32 s0, s0, vcc_lo
	s_wait_dscnt 0x0
	v_add_f64_e32 v[2:3], v[2:3], v[4:5]
	s_nor_b32 s0, s8, s0
	ds_bpermute_b32 v4, v9, v2
	ds_bpermute_b32 v5, v9, v3
	s_wait_dscnt 0x0
	v_add_f64_e32 v[2:3], v[2:3], v[4:5]
	ds_bpermute_b32 v4, v10, v2
	ds_bpermute_b32 v5, v10, v3
	s_wait_dscnt 0x0
	v_add_f64_e32 v[2:3], v[2:3], v[4:5]
	ds_bpermute_b32 v4, v11, v2
	ds_bpermute_b32 v5, v11, v3
	s_and_saveexec_b32 s1, s0
	s_delay_alu instid0(SALU_CYCLE_1)
	s_xor_b32 s1, exec_lo, s1
	s_cbranch_execz .LBB126_93
; %bb.92:
	s_wait_dscnt 0x0
	v_dual_add_f64 v[2:3], v[2:3], v[4:5] :: v_dual_mov_b32 v1, 0
	s_delay_alu instid0(VALU_DEP_1) | instskip(NEXT) | instid1(VALU_DEP_1)
	v_add_nc_u64_e32 v[0:1], s[4:5], v[0:1]
	v_lshl_add_u64 v[0:1], v[0:1], 3, s[2:3]
	global_store_b64 v[0:1], v[2:3], off offset:256
.LBB126_93:
	s_sendmsg sendmsg(MSG_DEALLOC_VGPRS)
	s_endpgm
	.section	.rodata,"a",@progbits
	.p2align	6, 0x0
	.amdhsa_kernel _ZN2at6native12_GLOBAL__N_135GammaBetaBackwardCUDAKernelTemplateIddLj64ELj16ELj128ELb0ELb0ELb1EEEvllPKT_S5_PKT0_S8_PS3_S9_
		.amdhsa_group_segment_fixed_size 0
		.amdhsa_private_segment_fixed_size 0
		.amdhsa_kernarg_size 320
		.amdhsa_user_sgpr_count 2
		.amdhsa_user_sgpr_dispatch_ptr 0
		.amdhsa_user_sgpr_queue_ptr 0
		.amdhsa_user_sgpr_kernarg_segment_ptr 1
		.amdhsa_user_sgpr_dispatch_id 0
		.amdhsa_user_sgpr_kernarg_preload_length 0
		.amdhsa_user_sgpr_kernarg_preload_offset 0
		.amdhsa_user_sgpr_private_segment_size 0
		.amdhsa_wavefront_size32 1
		.amdhsa_uses_dynamic_stack 0
		.amdhsa_enable_private_segment 0
		.amdhsa_system_sgpr_workgroup_id_x 1
		.amdhsa_system_sgpr_workgroup_id_y 1
		.amdhsa_system_sgpr_workgroup_id_z 0
		.amdhsa_system_sgpr_workgroup_info 0
		.amdhsa_system_vgpr_workitem_id 1
		.amdhsa_next_free_vgpr 121
		.amdhsa_next_free_sgpr 50
		.amdhsa_named_barrier_count 0
		.amdhsa_reserve_vcc 1
		.amdhsa_float_round_mode_32 0
		.amdhsa_float_round_mode_16_64 0
		.amdhsa_float_denorm_mode_32 3
		.amdhsa_float_denorm_mode_16_64 3
		.amdhsa_fp16_overflow 0
		.amdhsa_memory_ordered 1
		.amdhsa_forward_progress 1
		.amdhsa_inst_pref_size 50
		.amdhsa_round_robin_scheduling 0
		.amdhsa_exception_fp_ieee_invalid_op 0
		.amdhsa_exception_fp_denorm_src 0
		.amdhsa_exception_fp_ieee_div_zero 0
		.amdhsa_exception_fp_ieee_overflow 0
		.amdhsa_exception_fp_ieee_underflow 0
		.amdhsa_exception_fp_ieee_inexact 0
		.amdhsa_exception_int_div_zero 0
	.end_amdhsa_kernel
	.section	.text._ZN2at6native12_GLOBAL__N_135GammaBetaBackwardCUDAKernelTemplateIddLj64ELj16ELj128ELb0ELb0ELb1EEEvllPKT_S5_PKT0_S8_PS3_S9_,"axG",@progbits,_ZN2at6native12_GLOBAL__N_135GammaBetaBackwardCUDAKernelTemplateIddLj64ELj16ELj128ELb0ELb0ELb1EEEvllPKT_S5_PKT0_S8_PS3_S9_,comdat
.Lfunc_end126:
	.size	_ZN2at6native12_GLOBAL__N_135GammaBetaBackwardCUDAKernelTemplateIddLj64ELj16ELj128ELb0ELb0ELb1EEEvllPKT_S5_PKT0_S8_PS3_S9_, .Lfunc_end126-_ZN2at6native12_GLOBAL__N_135GammaBetaBackwardCUDAKernelTemplateIddLj64ELj16ELj128ELb0ELb0ELb1EEEvllPKT_S5_PKT0_S8_PS3_S9_
                                        ; -- End function
	.set _ZN2at6native12_GLOBAL__N_135GammaBetaBackwardCUDAKernelTemplateIddLj64ELj16ELj128ELb0ELb0ELb1EEEvllPKT_S5_PKT0_S8_PS3_S9_.num_vgpr, 121
	.set _ZN2at6native12_GLOBAL__N_135GammaBetaBackwardCUDAKernelTemplateIddLj64ELj16ELj128ELb0ELb0ELb1EEEvllPKT_S5_PKT0_S8_PS3_S9_.num_agpr, 0
	.set _ZN2at6native12_GLOBAL__N_135GammaBetaBackwardCUDAKernelTemplateIddLj64ELj16ELj128ELb0ELb0ELb1EEEvllPKT_S5_PKT0_S8_PS3_S9_.numbered_sgpr, 50
	.set _ZN2at6native12_GLOBAL__N_135GammaBetaBackwardCUDAKernelTemplateIddLj64ELj16ELj128ELb0ELb0ELb1EEEvllPKT_S5_PKT0_S8_PS3_S9_.num_named_barrier, 0
	.set _ZN2at6native12_GLOBAL__N_135GammaBetaBackwardCUDAKernelTemplateIddLj64ELj16ELj128ELb0ELb0ELb1EEEvllPKT_S5_PKT0_S8_PS3_S9_.private_seg_size, 0
	.set _ZN2at6native12_GLOBAL__N_135GammaBetaBackwardCUDAKernelTemplateIddLj64ELj16ELj128ELb0ELb0ELb1EEEvllPKT_S5_PKT0_S8_PS3_S9_.uses_vcc, 1
	.set _ZN2at6native12_GLOBAL__N_135GammaBetaBackwardCUDAKernelTemplateIddLj64ELj16ELj128ELb0ELb0ELb1EEEvllPKT_S5_PKT0_S8_PS3_S9_.uses_flat_scratch, 0
	.set _ZN2at6native12_GLOBAL__N_135GammaBetaBackwardCUDAKernelTemplateIddLj64ELj16ELj128ELb0ELb0ELb1EEEvllPKT_S5_PKT0_S8_PS3_S9_.has_dyn_sized_stack, 0
	.set _ZN2at6native12_GLOBAL__N_135GammaBetaBackwardCUDAKernelTemplateIddLj64ELj16ELj128ELb0ELb0ELb1EEEvllPKT_S5_PKT0_S8_PS3_S9_.has_recursion, 0
	.set _ZN2at6native12_GLOBAL__N_135GammaBetaBackwardCUDAKernelTemplateIddLj64ELj16ELj128ELb0ELb0ELb1EEEvllPKT_S5_PKT0_S8_PS3_S9_.has_indirect_call, 0
	.section	.AMDGPU.csdata,"",@progbits
; Kernel info:
; codeLenInByte = 6292
; TotalNumSgprs: 52
; NumVgprs: 121
; ScratchSize: 0
; MemoryBound: 1
; FloatMode: 240
; IeeeMode: 1
; LDSByteSize: 0 bytes/workgroup (compile time only)
; SGPRBlocks: 0
; VGPRBlocks: 7
; NumSGPRsForWavesPerEU: 52
; NumVGPRsForWavesPerEU: 121
; NamedBarCnt: 0
; Occupancy: 8
; WaveLimiterHint : 0
; COMPUTE_PGM_RSRC2:SCRATCH_EN: 0
; COMPUTE_PGM_RSRC2:USER_SGPR: 2
; COMPUTE_PGM_RSRC2:TRAP_HANDLER: 0
; COMPUTE_PGM_RSRC2:TGID_X_EN: 1
; COMPUTE_PGM_RSRC2:TGID_Y_EN: 1
; COMPUTE_PGM_RSRC2:TGID_Z_EN: 0
; COMPUTE_PGM_RSRC2:TIDIG_COMP_CNT: 1
	.section	.text._ZN2at6native12_GLOBAL__N_135GammaBetaBackwardCUDAKernelTemplateIddLj64ELj16ELj256ELb0ELb1ELb1EEEvllPKT_S5_PKT0_S8_PS3_S9_,"axG",@progbits,_ZN2at6native12_GLOBAL__N_135GammaBetaBackwardCUDAKernelTemplateIddLj64ELj16ELj256ELb0ELb1ELb1EEEvllPKT_S5_PKT0_S8_PS3_S9_,comdat
	.globl	_ZN2at6native12_GLOBAL__N_135GammaBetaBackwardCUDAKernelTemplateIddLj64ELj16ELj256ELb0ELb1ELb1EEEvllPKT_S5_PKT0_S8_PS3_S9_ ; -- Begin function _ZN2at6native12_GLOBAL__N_135GammaBetaBackwardCUDAKernelTemplateIddLj64ELj16ELj256ELb0ELb1ELb1EEEvllPKT_S5_PKT0_S8_PS3_S9_
	.p2align	8
	.type	_ZN2at6native12_GLOBAL__N_135GammaBetaBackwardCUDAKernelTemplateIddLj64ELj16ELj256ELb0ELb1ELb1EEEvllPKT_S5_PKT0_S8_PS3_S9_,@function
_ZN2at6native12_GLOBAL__N_135GammaBetaBackwardCUDAKernelTemplateIddLj64ELj16ELj256ELb0ELb1ELb1EEEvllPKT_S5_PKT0_S8_PS3_S9_: ; @_ZN2at6native12_GLOBAL__N_135GammaBetaBackwardCUDAKernelTemplateIddLj64ELj16ELj256ELb0ELb1ELb1EEEvllPKT_S5_PKT0_S8_PS3_S9_
; %bb.0:
	s_load_b128 s[4:7], s[0:1], 0x0
	s_bfe_u32 s2, ttmp6, 0x40010
	s_bfe_u32 s3, ttmp6, 0x40004
	s_add_co_i32 s2, s2, 1
	s_getreg_b32 s20, hwreg(HW_REG_IB_STS2, 6, 4)
	s_mul_i32 s2, ttmp7, s2
	s_mov_b32 s13, 0
	s_add_co_i32 s3, s3, s2
	s_cmp_eq_u32 s20, 0
	v_bfe_u32 v13, v0, 10, 10
	s_cselect_b32 s2, ttmp7, s3
	s_delay_alu instid0(SALU_CYCLE_1)
	s_lshl_b32 s12, s2, 8
	s_wait_kmcnt 0x0
	v_cmp_gt_i64_e64 s2, s[4:5], s[12:13]
	s_and_b32 vcc_lo, exec_lo, s2
	s_cbranch_vccnz .LBB127_2
; %bb.1:
	v_bfe_u32 v1, v0, 10, 10
	s_mov_b32 s2, s13
	v_mov_b64_e32 v[2:3], 0
	v_and_b32_e32 v12, 0x3ff, v0
	s_and_not1_b32 vcc_lo, exec_lo, s2
	s_cbranch_vccz .LBB127_3
	s_branch .LBB127_10
.LBB127_2:
                                        ; implicit-def: $vgpr1
	v_mov_b64_e32 v[2:3], 0
	v_and_b32_e32 v12, 0x3ff, v0
.LBB127_3:
	v_dual_mov_b32 v1, 0 :: v_dual_lshlrev_b32 v0, 4, v13
	s_clause 0x1
	s_load_b32 s2, s[0:1], 0x44
	s_load_b32 s3, s[0:1], 0x4c
	s_bfe_u32 s18, ttmp6, 0x4000c
	s_clause 0x1
	s_load_b128 s[8:11], s[0:1], 0x10
	s_load_b64 s[16:17], s[0:1], 0x28
	s_add_co_i32 s18, s18, 1
	v_add_nc_u64_e32 v[2:3], s[12:13], v[0:1]
	s_and_b32 s14, ttmp6, 15
	s_mul_i32 s18, ttmp9, s18
	v_dual_mov_b32 v7, v1 :: v_dual_mov_b32 v11, v1
	s_add_co_i32 s14, s14, s18
	s_mov_b32 s15, 0
	s_delay_alu instid0(VALU_DEP_2)
	v_mul_u64_e32 v[8:9], s[6:7], v[2:3]
	v_dual_mov_b32 v0, 16 :: v_dual_mov_b32 v14, 4
	v_dual_mov_b32 v15, 8 :: v_dual_mov_b32 v16, 12
	;; [unrolled: 1-line block ×4, first 2 shown]
	s_wait_kmcnt 0x0
	s_and_b32 s3, s3, 0xffff
	s_cmp_eq_u32 s20, 0
	v_mad_u32_u24 v4, v13, s3, v12
	s_cselect_b32 s3, ttmp9, s14
	s_lshl_b32 s14, s2, 8
	v_lshl_add_u32 v10, s3, 6, v12
	s_delay_alu instid0(VALU_DEP_2) | instskip(SKIP_1) | instid1(VALU_DEP_3)
	v_dual_mov_b32 v23, 44 :: v_dual_bitop2_b32 v6, 31, v4 bitop3:0x40
	v_dual_mov_b32 v21, 36 :: v_dual_mov_b32 v22, 40
	v_lshlrev_b64_e32 v[10:11], 3, v[10:11]
	v_dual_mov_b32 v24, 48 :: v_dual_mov_b32 v25, 52
	s_delay_alu instid0(VALU_DEP_4)
	v_add_nc_u64_e32 v[4:5], v[2:3], v[6:7]
	v_mov_b64_e32 v[2:3], 0
	v_dual_mov_b32 v26, 56 :: v_dual_mov_b32 v27, 60
	v_cmp_gt_u32_e64 s2, 16, v6
	s_mul_u64 s[18:19], s[6:7], s[14:15]
	s_lshl_b64 s[6:7], s[6:7], 3
	v_lshl_add_u64 v[6:7], v[4:5], 3, s[16:17]
	s_lshl_b64 s[16:17], s[14:15], 3
	s_lshl_b64 s[18:19], s[18:19], 3
	v_lshl_add_u64 v[8:9], v[8:9], 3, v[10:11]
	s_branch .LBB127_6
.LBB127_4:                              ;   in Loop: Header=BB127_6 Depth=1
	s_wait_xcnt 0x0
	s_or_b32 exec_lo, exec_lo, s21
.LBB127_5:                              ;   in Loop: Header=BB127_6 Depth=1
	s_delay_alu instid0(SALU_CYCLE_1)
	s_or_b32 exec_lo, exec_lo, s3
	v_add_nc_u64_e32 v[28:29], s[8:9], v[8:9]
	v_add_nc_u64_e32 v[30:31], s[10:11], v[8:9]
	s_wait_loadcnt 0x0
	ds_bpermute_b32 v58, v1, v10
	ds_bpermute_b32 v59, v1, v11
	s_add_nc_u64 s[12:13], s[12:13], s[14:15]
	v_add_nc_u64_e32 v[6:7], s[16:17], v[6:7]
	v_cmp_lt_i64_e64 s3, s[12:13], s[4:5]
	global_load_b64 v[32:33], v[28:29], off
	global_load_b64 v[34:35], v[30:31], off
	s_wait_xcnt 0x1
	v_add_nc_u64_e32 v[28:29], s[6:7], v[28:29]
	s_wait_xcnt 0x0
	v_add_nc_u64_e32 v[30:31], s[6:7], v[30:31]
	v_add_nc_u64_e32 v[4:5], s[14:15], v[4:5]
	;; [unrolled: 1-line block ×3, first 2 shown]
	global_load_b64 v[36:37], v[28:29], off
	global_load_b64 v[38:39], v[30:31], off
	s_wait_xcnt 0x1
	v_add_nc_u64_e32 v[28:29], s[6:7], v[28:29]
	s_wait_xcnt 0x0
	v_add_nc_u64_e32 v[30:31], s[6:7], v[30:31]
	s_and_b32 vcc_lo, exec_lo, s3
	global_load_b64 v[40:41], v[28:29], off
	global_load_b64 v[42:43], v[30:31], off
	s_wait_xcnt 0x1
	v_add_nc_u64_e32 v[28:29], s[6:7], v[28:29]
	s_wait_xcnt 0x0
	v_add_nc_u64_e32 v[30:31], s[6:7], v[30:31]
	global_load_b64 v[44:45], v[28:29], off
	global_load_b64 v[46:47], v[30:31], off
	s_wait_xcnt 0x1
	v_add_nc_u64_e32 v[28:29], s[6:7], v[28:29]
	s_wait_xcnt 0x0
	v_add_nc_u64_e32 v[30:31], s[6:7], v[30:31]
	;; [unrolled: 6-line block ×4, first 2 shown]
	s_wait_loadcnt 0xa
	v_mul_f64_e32 v[32:33], v[32:33], v[34:35]
	global_load_b64 v[34:35], v[28:29], off
	global_load_b64 v[56:57], v[30:31], off
	s_wait_xcnt 0x1
	v_add_nc_u64_e32 v[28:29], s[6:7], v[28:29]
	s_wait_xcnt 0x0
	v_add_nc_u64_e32 v[30:31], s[6:7], v[30:31]
	s_wait_loadcnt 0xa
	v_mul_f64_e32 v[36:37], v[36:37], v[38:39]
	ds_bpermute_b32 v38, v14, v10
	ds_bpermute_b32 v39, v14, v11
	s_wait_loadcnt 0x8
	v_mul_f64_e32 v[40:41], v[40:41], v[42:43]
	ds_bpermute_b32 v42, v15, v10
	ds_bpermute_b32 v43, v15, v11
	;; [unrolled: 4-line block ×3, first 2 shown]
	s_wait_loadcnt 0x4
	v_mul_f64_e32 v[48:49], v[48:49], v[50:51]
	s_wait_dscnt 0x6
	v_fmac_f64_e32 v[2:3], v[32:33], v[58:59]
	global_load_b64 v[32:33], v[28:29], off
	global_load_b64 v[58:59], v[30:31], off
	s_wait_xcnt 0x1
	v_add_nc_u64_e32 v[28:29], s[6:7], v[28:29]
	s_wait_xcnt 0x0
	v_add_nc_u64_e32 v[30:31], s[6:7], v[30:31]
	ds_bpermute_b32 v50, v0, v10
	ds_bpermute_b32 v51, v0, v11
	s_wait_loadcnt 0x4
	v_mul_f64_e32 v[52:53], v[52:53], v[54:55]
	ds_bpermute_b32 v54, v17, v10
	ds_bpermute_b32 v55, v17, v11
	s_wait_dscnt 0x8
	v_fmac_f64_e32 v[2:3], v[36:37], v[38:39]
	global_load_b64 v[36:37], v[28:29], off
	global_load_b64 v[38:39], v[30:31], off
	s_wait_xcnt 0x1
	v_add_nc_u64_e32 v[28:29], s[6:7], v[28:29]
	s_wait_xcnt 0x0
	v_add_nc_u64_e32 v[30:31], s[6:7], v[30:31]
	s_wait_dscnt 0x6
	v_fmac_f64_e32 v[2:3], v[40:41], v[42:43]
	global_load_b64 v[40:41], v[28:29], off
	global_load_b64 v[42:43], v[30:31], off
	s_wait_xcnt 0x1
	v_add_nc_u64_e32 v[28:29], s[6:7], v[28:29]
	s_wait_xcnt 0x0
	v_add_nc_u64_e32 v[30:31], s[6:7], v[30:31]
	;; [unrolled: 8-line block ×5, first 2 shown]
	s_wait_loadcnt 0xc
	v_mul_f64_e32 v[34:35], v[34:35], v[56:57]
	ds_bpermute_b32 v56, v18, v10
	ds_bpermute_b32 v57, v18, v11
	s_wait_dscnt 0x0
	v_fmac_f64_e32 v[2:3], v[34:35], v[56:57]
	s_wait_loadcnt 0xa
	v_mul_f64_e32 v[32:33], v[32:33], v[58:59]
	global_load_b64 v[34:35], v[28:29], off
	global_load_b64 v[56:57], v[30:31], off
	ds_bpermute_b32 v58, v19, v10
	ds_bpermute_b32 v59, v19, v11
	s_wait_xcnt 0x1
	v_add_nc_u64_e32 v[28:29], s[6:7], v[28:29]
	s_wait_xcnt 0x0
	v_add_nc_u64_e32 v[30:31], s[6:7], v[30:31]
	s_wait_dscnt 0x0
	v_fmac_f64_e32 v[2:3], v[32:33], v[58:59]
	global_load_b64 v[32:33], v[28:29], off
	global_load_b64 v[58:59], v[30:31], off
	s_wait_xcnt 0x1
	v_add_nc_u64_e32 v[28:29], s[6:7], v[28:29]
	s_wait_xcnt 0x0
	v_add_nc_u64_e32 v[30:31], s[6:7], v[30:31]
	global_load_b64 v[60:61], v[28:29], off
	global_load_b64 v[62:63], v[30:31], off
	s_wait_loadcnt 0xe
	s_wait_xcnt 0x1
	v_mul_f64_e32 v[28:29], v[36:37], v[38:39]
	s_wait_xcnt 0x0
	ds_bpermute_b32 v30, v20, v10
	ds_bpermute_b32 v31, v20, v11
	s_wait_loadcnt 0xc
	v_mul_f64_e32 v[36:37], v[40:41], v[42:43]
	s_wait_dscnt 0x0
	v_fmac_f64_e32 v[2:3], v[28:29], v[30:31]
	ds_bpermute_b32 v28, v21, v10
	ds_bpermute_b32 v29, v21, v11
	s_wait_loadcnt 0xa
	v_mul_f64_e32 v[30:31], v[44:45], v[46:47]
	s_wait_dscnt 0x0
	v_fmac_f64_e32 v[2:3], v[36:37], v[28:29]
	;; [unrolled: 6-line block ×4, first 2 shown]
	ds_bpermute_b32 v28, v24, v10
	ds_bpermute_b32 v29, v24, v11
	s_wait_dscnt 0x0
	v_fmac_f64_e32 v[2:3], v[30:31], v[28:29]
	ds_bpermute_b32 v28, v25, v10
	ds_bpermute_b32 v29, v25, v11
	s_wait_loadcnt 0x4
	v_mul_f64_e32 v[34:35], v[34:35], v[56:57]
	s_wait_loadcnt 0x2
	v_mul_f64_e32 v[30:31], v[32:33], v[58:59]
	s_wait_dscnt 0x0
	s_delay_alu instid0(VALU_DEP_2)
	v_fmac_f64_e32 v[2:3], v[34:35], v[28:29]
	ds_bpermute_b32 v28, v26, v10
	ds_bpermute_b32 v29, v26, v11
	;; [unrolled: 1-line block ×4, first 2 shown]
	s_wait_dscnt 0x2
	v_fmac_f64_e32 v[2:3], v[30:31], v[28:29]
	s_wait_loadcnt 0x0
	v_mul_f64_e32 v[28:29], v[60:61], v[62:63]
	s_wait_dscnt 0x0
	s_delay_alu instid0(VALU_DEP_1)
	v_fmac_f64_e32 v[2:3], v[28:29], v[10:11]
	s_cbranch_vccz .LBB127_9
.LBB127_6:                              ; =>This Inner Loop Header: Depth=1
	v_mov_b64_e32 v[10:11], 0
	s_and_saveexec_b32 s3, s2
	s_cbranch_execz .LBB127_5
; %bb.7:                                ;   in Loop: Header=BB127_6 Depth=1
	v_mov_b64_e32 v[10:11], 0
	s_mov_b32 s21, exec_lo
	v_cmpx_gt_i64_e64 s[4:5], v[4:5]
	s_cbranch_execz .LBB127_4
; %bb.8:                                ;   in Loop: Header=BB127_6 Depth=1
	global_load_b64 v[10:11], v[6:7], off
	s_branch .LBB127_4
.LBB127_9:
	v_mov_b32_e32 v1, v13
.LBB127_10:
	s_load_b64 s[2:3], s[0:1], 0x30
	s_delay_alu instid0(VALU_DEP_1) | instskip(SKIP_3) | instid1(VALU_DEP_2)
	v_mad_u32_u24 v0, 0x41, v1, v12
	v_mov_b64_e32 v[6:7], 0
	s_wait_xcnt 0x0
	s_mov_b32 s0, exec_lo
	v_lshl_add_u32 v4, v0, 3, 0
	v_sub_nc_u32_e32 v5, v0, v1
	ds_store_b64 v4, v[2:3]
	ds_store_b64 v4, v[6:7] offset:8320
	s_wait_dscnt 0x0
	s_barrier_signal -1
	s_barrier_wait -1
	v_cmpx_gt_u32_e32 0x800, v5
	s_cbranch_execz .LBB127_20
; %bb.11:
	v_dual_lshrrev_b32 v4, 5, v5 :: v_dual_bitop2_b32 v0, 31, v12 bitop3:0x40
	s_delay_alu instid0(VALU_DEP_1)
	v_cmp_gt_u32_e32 vcc_lo, 16, v0
	v_mul_u32_u24_e32 v2, 0x41, v0
                                        ; implicit-def: $vgpr0_vgpr1
	s_and_saveexec_b32 s0, vcc_lo
; %bb.12:
	s_delay_alu instid0(VALU_DEP_1) | instskip(NEXT) | instid1(VALU_DEP_1)
	v_dual_lshlrev_b32 v0, 3, v4 :: v_dual_lshlrev_b32 v1, 3, v2
	v_add3_u32 v0, 0, v0, v1
	ds_load_b64 v[0:1], v0
; %bb.13:
	s_or_b32 exec_lo, exec_lo, s0
	v_mbcnt_lo_u32_b32 v10, -1, 0
	s_wait_kmcnt 0x0
	s_cmp_lg_u64 s[2:3], 0
	s_cselect_b32 s1, -1, 0
	s_bfe_u32 s4, ttmp6, 0x4000c
	v_xor_b32_e32 v3, 8, v10
	s_add_co_i32 s4, s4, 1
	s_and_b32 s5, ttmp6, 15
	s_mul_i32 s4, ttmp9, s4
	s_delay_alu instid0(VALU_DEP_1) | instskip(NEXT) | instid1(VALU_DEP_1)
	v_cmp_gt_i32_e64 s0, 32, v3
	v_cndmask_b32_e64 v3, v10, v3, s0
	s_delay_alu instid0(VALU_DEP_1)
	v_lshlrev_b32_e32 v3, 2, v3
	s_wait_dscnt 0x0
	ds_bpermute_b32 v6, v3, v0
	ds_bpermute_b32 v7, v3, v1
	s_wait_dscnt 0x0
	v_add_f64_e32 v[0:1], v[0:1], v[6:7]
	v_xor_b32_e32 v6, 4, v10
	v_xor_b32_e32 v7, 2, v10
	s_delay_alu instid0(VALU_DEP_2) | instskip(NEXT) | instid1(VALU_DEP_1)
	v_cmp_gt_i32_e64 s0, 32, v6
	v_cndmask_b32_e64 v6, v10, v6, s0
	s_delay_alu instid0(VALU_DEP_3) | instskip(NEXT) | instid1(VALU_DEP_1)
	v_cmp_gt_i32_e64 s0, 32, v7
	v_dual_lshlrev_b32 v6, 2, v6 :: v_dual_cndmask_b32 v7, v10, v7, s0
	s_delay_alu instid0(VALU_DEP_1)
	v_lshlrev_b32_e32 v7, 2, v7
	ds_bpermute_b32 v8, v6, v0
	ds_bpermute_b32 v9, v6, v1
	s_wait_dscnt 0x0
	v_add_f64_e32 v[0:1], v[0:1], v[8:9]
	ds_bpermute_b32 v8, v7, v0
	ds_bpermute_b32 v9, v7, v1
	s_wait_dscnt 0x0
	v_dual_add_f64 v[0:1], v[0:1], v[8:9] :: v_dual_bitop2_b32 v8, 1, v10 bitop3:0x14
	s_delay_alu instid0(VALU_DEP_1) | instskip(NEXT) | instid1(VALU_DEP_1)
	v_cmp_gt_i32_e64 s0, 32, v8
	v_cndmask_b32_e64 v8, v10, v8, s0
	v_cmp_eq_u32_e64 s0, 0, v12
	s_delay_alu instid0(VALU_DEP_2)
	v_lshlrev_b32_e32 v8, 2, v8
	s_and_b32 s1, s0, s1
	s_add_co_i32 s0, s5, s4
	s_cmp_eq_u32 s20, 0
	s_mov_b32 s5, 0
	s_cselect_b32 s4, ttmp9, s0
	s_delay_alu instid0(SALU_CYCLE_1) | instskip(NEXT) | instid1(SALU_CYCLE_1)
	s_lshl_b64 s[4:5], s[4:5], 9
	s_add_nc_u64 s[2:3], s[2:3], s[4:5]
	ds_bpermute_b32 v10, v8, v0
	ds_bpermute_b32 v11, v8, v1
	s_wait_dscnt 0x0
	v_add_f64_e32 v[0:1], v[0:1], v[10:11]
	s_and_saveexec_b32 s0, s1
	s_cbranch_execz .LBB127_15
; %bb.14:
	global_store_b64 v4, v[0:1], s[2:3] scale_offset
.LBB127_15:
	s_wait_xcnt 0x0
	s_or_b32 exec_lo, exec_lo, s0
	v_cmp_gt_u32_e64 s0, 0x400, v5
	s_and_b32 exec_lo, exec_lo, s0
	s_cbranch_execz .LBB127_20
; %bb.16:
	s_and_saveexec_b32 s0, vcc_lo
; %bb.17:
	v_dual_lshlrev_b32 v0, 3, v4 :: v_dual_lshlrev_b32 v1, 3, v2
	s_delay_alu instid0(VALU_DEP_1)
	v_add3_u32 v0, 0, v0, v1
	ds_load_b64 v[0:1], v0 offset:256
; %bb.18:
	s_or_b32 exec_lo, exec_lo, s0
	s_wait_dscnt 0x0
	ds_bpermute_b32 v2, v3, v0
	ds_bpermute_b32 v3, v3, v1
	s_wait_dscnt 0x0
	v_add_f64_e32 v[0:1], v[0:1], v[2:3]
	ds_bpermute_b32 v2, v6, v0
	ds_bpermute_b32 v3, v6, v1
	s_wait_dscnt 0x0
	v_add_f64_e32 v[0:1], v[0:1], v[2:3]
	;; [unrolled: 4-line block ×3, first 2 shown]
	ds_bpermute_b32 v2, v8, v0
	ds_bpermute_b32 v3, v8, v1
	s_and_saveexec_b32 s0, s1
	s_delay_alu instid0(SALU_CYCLE_1)
	s_xor_b32 s0, exec_lo, s0
	s_cbranch_execz .LBB127_20
; %bb.19:
	s_wait_dscnt 0x0
	v_add_f64_e32 v[0:1], v[0:1], v[2:3]
	global_store_b64 v4, v[0:1], s[2:3] offset:256 scale_offset
.LBB127_20:
	s_endpgm
	.section	.rodata,"a",@progbits
	.p2align	6, 0x0
	.amdhsa_kernel _ZN2at6native12_GLOBAL__N_135GammaBetaBackwardCUDAKernelTemplateIddLj64ELj16ELj256ELb0ELb1ELb1EEEvllPKT_S5_PKT0_S8_PS3_S9_
		.amdhsa_group_segment_fixed_size 0
		.amdhsa_private_segment_fixed_size 0
		.amdhsa_kernarg_size 320
		.amdhsa_user_sgpr_count 2
		.amdhsa_user_sgpr_dispatch_ptr 0
		.amdhsa_user_sgpr_queue_ptr 0
		.amdhsa_user_sgpr_kernarg_segment_ptr 1
		.amdhsa_user_sgpr_dispatch_id 0
		.amdhsa_user_sgpr_kernarg_preload_length 0
		.amdhsa_user_sgpr_kernarg_preload_offset 0
		.amdhsa_user_sgpr_private_segment_size 0
		.amdhsa_wavefront_size32 1
		.amdhsa_uses_dynamic_stack 0
		.amdhsa_enable_private_segment 0
		.amdhsa_system_sgpr_workgroup_id_x 1
		.amdhsa_system_sgpr_workgroup_id_y 1
		.amdhsa_system_sgpr_workgroup_id_z 0
		.amdhsa_system_sgpr_workgroup_info 0
		.amdhsa_system_vgpr_workitem_id 1
		.amdhsa_next_free_vgpr 64
		.amdhsa_next_free_sgpr 22
		.amdhsa_named_barrier_count 0
		.amdhsa_reserve_vcc 1
		.amdhsa_float_round_mode_32 0
		.amdhsa_float_round_mode_16_64 0
		.amdhsa_float_denorm_mode_32 3
		.amdhsa_float_denorm_mode_16_64 3
		.amdhsa_fp16_overflow 0
		.amdhsa_memory_ordered 1
		.amdhsa_forward_progress 1
		.amdhsa_inst_pref_size 19
		.amdhsa_round_robin_scheduling 0
		.amdhsa_exception_fp_ieee_invalid_op 0
		.amdhsa_exception_fp_denorm_src 0
		.amdhsa_exception_fp_ieee_div_zero 0
		.amdhsa_exception_fp_ieee_overflow 0
		.amdhsa_exception_fp_ieee_underflow 0
		.amdhsa_exception_fp_ieee_inexact 0
		.amdhsa_exception_int_div_zero 0
	.end_amdhsa_kernel
	.section	.text._ZN2at6native12_GLOBAL__N_135GammaBetaBackwardCUDAKernelTemplateIddLj64ELj16ELj256ELb0ELb1ELb1EEEvllPKT_S5_PKT0_S8_PS3_S9_,"axG",@progbits,_ZN2at6native12_GLOBAL__N_135GammaBetaBackwardCUDAKernelTemplateIddLj64ELj16ELj256ELb0ELb1ELb1EEEvllPKT_S5_PKT0_S8_PS3_S9_,comdat
.Lfunc_end127:
	.size	_ZN2at6native12_GLOBAL__N_135GammaBetaBackwardCUDAKernelTemplateIddLj64ELj16ELj256ELb0ELb1ELb1EEEvllPKT_S5_PKT0_S8_PS3_S9_, .Lfunc_end127-_ZN2at6native12_GLOBAL__N_135GammaBetaBackwardCUDAKernelTemplateIddLj64ELj16ELj256ELb0ELb1ELb1EEEvllPKT_S5_PKT0_S8_PS3_S9_
                                        ; -- End function
	.set _ZN2at6native12_GLOBAL__N_135GammaBetaBackwardCUDAKernelTemplateIddLj64ELj16ELj256ELb0ELb1ELb1EEEvllPKT_S5_PKT0_S8_PS3_S9_.num_vgpr, 64
	.set _ZN2at6native12_GLOBAL__N_135GammaBetaBackwardCUDAKernelTemplateIddLj64ELj16ELj256ELb0ELb1ELb1EEEvllPKT_S5_PKT0_S8_PS3_S9_.num_agpr, 0
	.set _ZN2at6native12_GLOBAL__N_135GammaBetaBackwardCUDAKernelTemplateIddLj64ELj16ELj256ELb0ELb1ELb1EEEvllPKT_S5_PKT0_S8_PS3_S9_.numbered_sgpr, 22
	.set _ZN2at6native12_GLOBAL__N_135GammaBetaBackwardCUDAKernelTemplateIddLj64ELj16ELj256ELb0ELb1ELb1EEEvllPKT_S5_PKT0_S8_PS3_S9_.num_named_barrier, 0
	.set _ZN2at6native12_GLOBAL__N_135GammaBetaBackwardCUDAKernelTemplateIddLj64ELj16ELj256ELb0ELb1ELb1EEEvllPKT_S5_PKT0_S8_PS3_S9_.private_seg_size, 0
	.set _ZN2at6native12_GLOBAL__N_135GammaBetaBackwardCUDAKernelTemplateIddLj64ELj16ELj256ELb0ELb1ELb1EEEvllPKT_S5_PKT0_S8_PS3_S9_.uses_vcc, 1
	.set _ZN2at6native12_GLOBAL__N_135GammaBetaBackwardCUDAKernelTemplateIddLj64ELj16ELj256ELb0ELb1ELb1EEEvllPKT_S5_PKT0_S8_PS3_S9_.uses_flat_scratch, 0
	.set _ZN2at6native12_GLOBAL__N_135GammaBetaBackwardCUDAKernelTemplateIddLj64ELj16ELj256ELb0ELb1ELb1EEEvllPKT_S5_PKT0_S8_PS3_S9_.has_dyn_sized_stack, 0
	.set _ZN2at6native12_GLOBAL__N_135GammaBetaBackwardCUDAKernelTemplateIddLj64ELj16ELj256ELb0ELb1ELb1EEEvllPKT_S5_PKT0_S8_PS3_S9_.has_recursion, 0
	.set _ZN2at6native12_GLOBAL__N_135GammaBetaBackwardCUDAKernelTemplateIddLj64ELj16ELj256ELb0ELb1ELb1EEEvllPKT_S5_PKT0_S8_PS3_S9_.has_indirect_call, 0
	.section	.AMDGPU.csdata,"",@progbits
; Kernel info:
; codeLenInByte = 2360
; TotalNumSgprs: 24
; NumVgprs: 64
; ScratchSize: 0
; MemoryBound: 0
; FloatMode: 240
; IeeeMode: 1
; LDSByteSize: 0 bytes/workgroup (compile time only)
; SGPRBlocks: 0
; VGPRBlocks: 3
; NumSGPRsForWavesPerEU: 24
; NumVGPRsForWavesPerEU: 64
; NamedBarCnt: 0
; Occupancy: 16
; WaveLimiterHint : 0
; COMPUTE_PGM_RSRC2:SCRATCH_EN: 0
; COMPUTE_PGM_RSRC2:USER_SGPR: 2
; COMPUTE_PGM_RSRC2:TRAP_HANDLER: 0
; COMPUTE_PGM_RSRC2:TGID_X_EN: 1
; COMPUTE_PGM_RSRC2:TGID_Y_EN: 1
; COMPUTE_PGM_RSRC2:TGID_Z_EN: 0
; COMPUTE_PGM_RSRC2:TIDIG_COMP_CNT: 1
	.section	.text._ZN2at6native12_GLOBAL__N_135GammaBetaBackwardCUDAKernelTemplateIddLj64ELj16ELj256ELb0ELb0ELb1EEEvllPKT_S5_PKT0_S8_PS3_S9_,"axG",@progbits,_ZN2at6native12_GLOBAL__N_135GammaBetaBackwardCUDAKernelTemplateIddLj64ELj16ELj256ELb0ELb0ELb1EEEvllPKT_S5_PKT0_S8_PS3_S9_,comdat
	.globl	_ZN2at6native12_GLOBAL__N_135GammaBetaBackwardCUDAKernelTemplateIddLj64ELj16ELj256ELb0ELb0ELb1EEEvllPKT_S5_PKT0_S8_PS3_S9_ ; -- Begin function _ZN2at6native12_GLOBAL__N_135GammaBetaBackwardCUDAKernelTemplateIddLj64ELj16ELj256ELb0ELb0ELb1EEEvllPKT_S5_PKT0_S8_PS3_S9_
	.p2align	8
	.type	_ZN2at6native12_GLOBAL__N_135GammaBetaBackwardCUDAKernelTemplateIddLj64ELj16ELj256ELb0ELb0ELb1EEEvllPKT_S5_PKT0_S8_PS3_S9_,@function
_ZN2at6native12_GLOBAL__N_135GammaBetaBackwardCUDAKernelTemplateIddLj64ELj16ELj256ELb0ELb0ELb1EEEvllPKT_S5_PKT0_S8_PS3_S9_: ; @_ZN2at6native12_GLOBAL__N_135GammaBetaBackwardCUDAKernelTemplateIddLj64ELj16ELj256ELb0ELb0ELb1EEEvllPKT_S5_PKT0_S8_PS3_S9_
; %bb.0:
	s_load_b256 s[4:11], s[0:1], 0x0
	s_bfe_u32 s3, ttmp6, 0x4000c
	s_bfe_u32 s12, ttmp6, 0x40010
	s_add_co_i32 s3, s3, 1
	s_add_co_i32 s12, s12, 1
	s_and_b32 s2, ttmp6, 15
	s_bfe_u32 s13, ttmp6, 0x40004
	s_mul_i32 s3, ttmp9, s3
	s_mul_i32 s12, ttmp7, s12
	s_getreg_b32 s14, hwreg(HW_REG_IB_STS2, 6, 4)
	s_add_co_i32 s2, s2, s3
	s_add_co_i32 s13, s13, s12
	s_cmp_eq_u32 s14, 0
	s_mov_b32 s17, 0
	s_cselect_b32 s12, ttmp9, s2
	s_cselect_b32 s2, ttmp7, s13
	s_lshl_b32 s13, s12, 6
	s_load_b64 s[14:15], s[0:1], 0x28
	s_or_b32 s16, s13, 63
	s_wait_kmcnt 0x0
	v_cmp_le_i64_e64 s18, s[6:7], s[16:17]
	s_lshl_b32 s16, s2, 8
	s_delay_alu instid0(SALU_CYCLE_1) | instskip(SKIP_2) | instid1(VALU_DEP_1)
	v_cmp_gt_i64_e64 s3, s[4:5], s[16:17]
	s_and_b32 vcc_lo, exec_lo, s18
	v_cndmask_b32_e64 v1, 0, 1, s3
	v_cmp_ne_u32_e64 s2, 1, v1
	s_cbranch_vccz .LBB128_81
; %bb.1:
	v_mov_b64_e32 v[68:69], 0
	s_and_b32 vcc_lo, exec_lo, s2
	s_cbranch_vccnz .LBB128_83
; %bb.2:
	v_bfe_u32 v1, v0, 10, 10
	v_mov_b32_e32 v2, 0
	scratch_store_b32 off, v0, off offset:312 ; 4-byte Folded Spill
	s_wait_xcnt 0x0
	v_and_b32_e32 v0, 0x3ff, v0
	s_load_b32 s18, s[0:1], 0x44
	v_dual_mov_b32 v5, v2 :: v_dual_lshlrev_b32 v4, 4, v1
	s_delay_alu instid0(VALU_DEP_2)
	v_dual_mov_b32 v23, v2 :: v_dual_add_nc_u32 v22, s13, v0
	s_clause 0x2
	scratch_store_b32 off, v1, off offset:40
	scratch_store_b32 off, v0, off offset:56
	scratch_store_b64 off, v[4:5], off offset:48
	v_add_nc_u64_e32 v[34:35], s[16:17], v[4:5]
	v_cmp_gt_i64_e64 s2, s[6:7], v[22:23]
	v_lshlrev_b64_e32 v[38:39], 3, v[22:23]
	s_mov_b32 s19, 0
	s_mov_b64 s[22:23], 0xffffffffffffff01
	s_mov_b32 s21, s19
	s_mov_b64 s[24:25], 0xffffffffffffff02
	v_add_nc_u64_e32 v[6:7], 15, v[34:35]
	v_add_nc_u64_e32 v[8:9], 14, v[34:35]
	;; [unrolled: 1-line block ×5, first 2 shown]
	s_wait_xcnt 0x0
	v_mul_u64_e32 v[4:5], s[6:7], v[34:35]
	v_add_nc_u64_e32 v[12:13], 12, v[34:35]
	v_mul_u64_e32 v[6:7], s[6:7], v[6:7]
	v_mul_u64_e32 v[8:9], s[6:7], v[8:9]
	v_add_nc_u64_e32 v[14:15], 11, v[34:35]
	v_add_nc_u64_e32 v[16:17], 10, v[34:35]
	;; [unrolled: 1-line block ×4, first 2 shown]
	v_mul_u64_e32 v[10:11], s[6:7], v[10:11]
	v_add_nc_u64_e32 v[28:29], 5, v[34:35]
	v_add_nc_u64_e32 v[30:31], 4, v[34:35]
	v_mul_u64_e32 v[24:25], s[6:7], v[24:25]
	v_add_nc_u64_e32 v[32:33], 3, v[34:35]
	v_add_nc_u64_e32 v[0:1], 2, v[34:35]
	v_mul_u64_e32 v[26:27], s[6:7], v[26:27]
	v_mul_u64_e32 v[12:13], s[6:7], v[12:13]
	;; [unrolled: 1-line block ×10, first 2 shown]
	s_wait_kmcnt 0x0
	s_lshl_b32 s20, s18, 8
	s_mov_b64 s[26:27], 0xffffffffffffff03
	s_mul_u64 s[58:59], s[6:7], s[20:21]
	s_mov_b64 s[28:29], 0xffffffffffffff04
	s_mov_b64 s[30:31], 0xffffffffffffff05
	;; [unrolled: 1-line block ×5, first 2 shown]
	v_lshlrev_b64_e32 v[34:35], 3, v[4:5]
	v_add_nc_u64_e32 v[4:5], s[6:7], v[4:5]
	v_lshlrev_b64_e32 v[6:7], 3, v[6:7]
	v_lshlrev_b64_e32 v[8:9], 3, v[8:9]
	s_mov_b64 s[40:41], 0xffffffffffffff09
	s_mov_b64 s[42:43], 0xffffffffffffff0a
	;; [unrolled: 1-line block ×3, first 2 shown]
	v_add_nc_u64_e32 v[40:41], s[8:9], v[34:35]
	v_lshlrev_b64_e32 v[10:11], 3, v[10:11]
	v_add_nc_u64_e32 v[44:45], s[8:9], v[6:7]
	v_add_nc_u64_e32 v[46:47], s[10:11], v[6:7]
	;; [unrolled: 1-line block ×4, first 2 shown]
	v_lshlrev_b64_e32 v[6:7], 3, v[24:25]
	v_lshlrev_b64_e32 v[8:9], 3, v[26:27]
	;; [unrolled: 1-line block ×7, first 2 shown]
	v_add_nc_u64_e32 v[52:53], s[8:9], v[10:11]
	v_add_nc_u64_e32 v[54:55], s[10:11], v[10:11]
	;; [unrolled: 1-line block ×3, first 2 shown]
	v_lshlrev_b64_e32 v[10:11], 3, v[22:23]
	v_add_nc_u64_e32 v[78:79], s[10:11], v[6:7]
	v_add_nc_u64_e32 v[80:81], s[8:9], v[8:9]
	v_lshlrev_b64_e32 v[6:7], 3, v[28:29]
	v_add_nc_u64_e32 v[82:83], s[10:11], v[8:9]
	v_lshlrev_b64_e32 v[8:9], 3, v[30:31]
	v_lshlrev_b64_e32 v[0:1], 3, v[0:1]
	;; [unrolled: 1-line block ×3, first 2 shown]
	v_add_nc_u64_e32 v[42:43], s[10:11], v[34:35]
	v_add_nc_u64_e32 v[56:57], s[8:9], v[12:13]
	;; [unrolled: 1-line block ×21, first 2 shown]
	v_mov_b64_e32 v[0:1], 0
	s_mov_b64 s[46:47], 0xffffffffffffff0c
	s_mov_b64 s[48:49], 0xffffffffffffff0d
	;; [unrolled: 1-line block ×5, first 2 shown]
	s_add_nc_u64 s[56:57], s[0:1], 64
	s_lshl_b64 s[58:59], s[58:59], 3
	s_add_nc_u64 s[60:61], s[16:17], 0xff
	s_mov_b64 s[62:63], s[16:17]
.LBB128_3:                              ; =>This Inner Loop Header: Depth=1
	scratch_load_b64 v[4:5], off, off offset:48 ; 8-byte Folded Reload
	v_cmp_ge_i64_e64 s18, s[60:61], s[4:5]
                                        ; implicit-def: $vgpr68_vgpr69
                                        ; implicit-def: $vgpr110_vgpr111
	s_and_b32 vcc_lo, exec_lo, s18
	s_mov_b32 s18, -1
	s_wait_loadcnt 0x0
	v_add_nc_u64_e32 v[104:105], s[60:61], v[4:5]
                                        ; implicit-def: $vgpr4_vgpr5_vgpr6_vgpr7_vgpr8_vgpr9_vgpr10_vgpr11_vgpr12_vgpr13_vgpr14_vgpr15_vgpr16_vgpr17_vgpr18_vgpr19_vgpr20_vgpr21_vgpr22_vgpr23_vgpr24_vgpr25_vgpr26_vgpr27_vgpr28_vgpr29_vgpr30_vgpr31_vgpr32_vgpr33_vgpr34_vgpr35
                                        ; implicit-def: $vgpr4
	s_cbranch_vccz .LBB128_41
; %bb.4:                                ;   in Loop: Header=BB128_3 Depth=1
	s_load_b32 s18, s[56:57], 0xc
	s_clause 0x1
	scratch_load_b32 v3, off, off offset:40
	scratch_load_b32 v4, off, off offset:56
	v_mov_b64_e32 v[68:69], 0
	v_mov_b64_e32 v[106:107], 0
	s_wait_kmcnt 0x0
	s_and_b32 s18, s18, 0xffff
	s_wait_loadcnt 0x0
	v_mad_u32_u24 v3, v3, s18, v4
	s_mov_b32 s18, exec_lo
	s_delay_alu instid0(VALU_DEP_1) | instskip(SKIP_1) | instid1(VALU_DEP_1)
	v_and_b32_e32 v4, 31, v3
	s_wait_xcnt 0x0
	v_cmpx_gt_u32_e32 16, v4
	s_cbranch_execz .LBB128_8
; %bb.5:                                ;   in Loop: Header=BB128_3 Depth=1
	v_mov_b32_e32 v5, v2
	v_mov_b64_e32 v[106:107], 0
	s_mov_b32 s33, exec_lo
	s_delay_alu instid0(VALU_DEP_2) | instskip(NEXT) | instid1(VALU_DEP_1)
	v_add_nc_u64_e32 v[4:5], v[104:105], v[4:5]
	v_add_nc_u64_e32 v[4:5], s[22:23], v[4:5]
	s_delay_alu instid0(VALU_DEP_1)
	v_cmpx_gt_i64_e64 s[4:5], v[4:5]
	s_cbranch_execz .LBB128_7
; %bb.6:                                ;   in Loop: Header=BB128_3 Depth=1
	v_lshl_add_u64 v[4:5], v[4:5], 3, s[14:15]
	global_load_b64 v[106:107], v[4:5], off
.LBB128_7:                              ;   in Loop: Header=BB128_3 Depth=1
	s_wait_xcnt 0x0
	s_or_b32 exec_lo, exec_lo, s33
.LBB128_8:                              ;   in Loop: Header=BB128_3 Depth=1
	s_delay_alu instid0(SALU_CYCLE_1)
	s_or_b32 exec_lo, exec_lo, s18
	v_add_nc_u64_e32 v[34:35], s[22:23], v[104:105]
	v_dual_mov_b32 v31, v2 :: v_dual_mov_b32 v32, v2
	v_dual_mov_b32 v33, v2 :: v_dual_mov_b32 v3, v2
	;; [unrolled: 1-line block ×15, first 2 shown]
	v_mov_b32_e32 v30, v2
	v_cmp_gt_i64_e32 vcc_lo, s[4:5], v[34:35]
	v_mov_b64_e32 v[34:35], v[32:33]
	s_delay_alu instid0(VALU_DEP_3)
	v_mov_b64_e32 v[32:33], v[30:31]
	v_mov_b64_e32 v[30:31], v[28:29]
	;; [unrolled: 1-line block ×15, first 2 shown]
	s_and_b32 s33, s2, vcc_lo
	s_delay_alu instid0(SALU_CYCLE_1)
	s_and_saveexec_b32 s18, s33
	s_cbranch_execz .LBB128_10
; %bb.9:                                ;   in Loop: Header=BB128_3 Depth=1
	v_add_nc_u64_e32 v[4:5], v[40:41], v[38:39]
	v_add_nc_u64_e32 v[6:7], v[42:43], v[38:39]
	v_dual_mov_b32 v8, v2 :: v_dual_mov_b32 v9, v2
	v_dual_mov_b32 v10, v2 :: v_dual_mov_b32 v11, v2
	;; [unrolled: 1-line block ×3, first 2 shown]
	global_load_b64 v[4:5], v[4:5], off
	global_load_b64 v[68:69], v[6:7], off
	s_wait_xcnt 0x0
	v_dual_mov_b32 v6, v2 :: v_dual_mov_b32 v7, v2
	v_dual_mov_b32 v14, v2 :: v_dual_mov_b32 v15, v2
	;; [unrolled: 1-line block ×12, first 2 shown]
.LBB128_10:                             ;   in Loop: Header=BB128_3 Depth=1
	s_or_b32 exec_lo, exec_lo, s18
	v_add_nc_u64_e32 v[36:37], s[24:25], v[104:105]
	v_mov_b64_e32 v[122:123], 0
	s_delay_alu instid0(VALU_DEP_2)
	v_cmp_gt_i64_e32 vcc_lo, s[4:5], v[36:37]
	v_mov_b64_e32 v[36:37], 0
	s_and_b32 s33, s2, vcc_lo
	scratch_store_b64 off, v[36:37], off    ; 8-byte Folded Spill
	s_wait_xcnt 0x0
	s_and_saveexec_b32 s18, s33
	s_cbranch_execz .LBB128_12
; %bb.11:                               ;   in Loop: Header=BB128_3 Depth=1
	v_add_nc_u64_e32 v[6:7], v[100:101], v[38:39]
	v_add_nc_u64_e32 v[36:37], v[102:103], v[38:39]
	global_load_b64 v[6:7], v[6:7], off
	global_load_b64 v[122:123], v[36:37], off
.LBB128_12:                             ;   in Loop: Header=BB128_3 Depth=1
	s_wait_xcnt 0x0
	s_or_b32 exec_lo, exec_lo, s18
	v_add_nc_u64_e32 v[36:37], s[26:27], v[104:105]
	s_delay_alu instid0(VALU_DEP_1) | instskip(SKIP_1) | instid1(SALU_CYCLE_1)
	v_cmp_gt_i64_e32 vcc_lo, s[4:5], v[36:37]
	s_and_b32 s33, s2, vcc_lo
	s_and_saveexec_b32 s18, s33
	s_cbranch_execz .LBB128_14
; %bb.13:                               ;   in Loop: Header=BB128_3 Depth=1
	v_add_nc_u64_e32 v[8:9], v[96:97], v[38:39]
	v_add_nc_u64_e32 v[36:37], v[98:99], v[38:39]
	global_load_b64 v[8:9], v[8:9], off
	global_load_b64 v[36:37], v[36:37], off
	s_wait_loadcnt 0x0
	scratch_store_b64 off, v[36:37], off    ; 8-byte Folded Spill
.LBB128_14:                             ;   in Loop: Header=BB128_3 Depth=1
	s_wait_xcnt 0x0
	s_or_b32 exec_lo, exec_lo, s18
	v_add_nc_u64_e32 v[36:37], s[28:29], v[104:105]
	s_delay_alu instid0(VALU_DEP_1)
	v_cmp_gt_i64_e32 vcc_lo, s[4:5], v[36:37]
	v_mov_b64_e32 v[36:37], 0
	s_and_b32 s33, s2, vcc_lo
	scratch_store_b64 off, v[36:37], off offset:8 ; 8-byte Folded Spill
	s_wait_xcnt 0x0
	v_mov_b64_e32 v[36:37], 0
	scratch_store_b64 off, v[36:37], off offset:16 ; 8-byte Folded Spill
	s_wait_xcnt 0x0
	s_and_saveexec_b32 s18, s33
	s_cbranch_execz .LBB128_16
; %bb.15:                               ;   in Loop: Header=BB128_3 Depth=1
	v_add_nc_u64_e32 v[10:11], v[92:93], v[38:39]
	v_add_nc_u64_e32 v[36:37], v[94:95], v[38:39]
	global_load_b64 v[10:11], v[10:11], off
	global_load_b64 v[36:37], v[36:37], off
	s_wait_loadcnt 0x0
	scratch_store_b64 off, v[36:37], off offset:16 ; 8-byte Folded Spill
.LBB128_16:                             ;   in Loop: Header=BB128_3 Depth=1
	s_wait_xcnt 0x0
	s_or_b32 exec_lo, exec_lo, s18
	v_add_nc_u64_e32 v[36:37], s[30:31], v[104:105]
	s_delay_alu instid0(VALU_DEP_1) | instskip(SKIP_1) | instid1(SALU_CYCLE_1)
	v_cmp_gt_i64_e32 vcc_lo, s[4:5], v[36:37]
	s_and_b32 s33, s2, vcc_lo
	s_and_saveexec_b32 s18, s33
	s_cbranch_execz .LBB128_18
; %bb.17:                               ;   in Loop: Header=BB128_3 Depth=1
	v_add_nc_u64_e32 v[12:13], v[88:89], v[38:39]
	v_add_nc_u64_e32 v[36:37], v[90:91], v[38:39]
	global_load_b64 v[12:13], v[12:13], off
	global_load_b64 v[36:37], v[36:37], off
	s_wait_loadcnt 0x0
	scratch_store_b64 off, v[36:37], off offset:8 ; 8-byte Folded Spill
.LBB128_18:                             ;   in Loop: Header=BB128_3 Depth=1
	s_wait_xcnt 0x0
	s_or_b32 exec_lo, exec_lo, s18
	v_add_nc_u64_e32 v[36:37], s[34:35], v[104:105]
	s_delay_alu instid0(VALU_DEP_1)
	v_cmp_gt_i64_e32 vcc_lo, s[4:5], v[36:37]
	v_mov_b64_e32 v[36:37], 0
	s_and_b32 s33, s2, vcc_lo
	scratch_store_b64 off, v[36:37], off offset:24 ; 8-byte Folded Spill
	s_wait_xcnt 0x0
	v_mov_b64_e32 v[36:37], 0
	scratch_store_b64 off, v[36:37], off offset:32 ; 8-byte Folded Spill
	s_wait_xcnt 0x0
	s_and_saveexec_b32 s18, s33
	s_cbranch_execz .LBB128_20
; %bb.19:                               ;   in Loop: Header=BB128_3 Depth=1
	v_add_nc_u64_e32 v[14:15], v[84:85], v[38:39]
	v_add_nc_u64_e32 v[36:37], v[86:87], v[38:39]
	global_load_b64 v[14:15], v[14:15], off
	global_load_b64 v[36:37], v[36:37], off
	s_wait_loadcnt 0x0
	scratch_store_b64 off, v[36:37], off offset:32 ; 8-byte Folded Spill
.LBB128_20:                             ;   in Loop: Header=BB128_3 Depth=1
	s_wait_xcnt 0x0
	s_or_b32 exec_lo, exec_lo, s18
	v_add_nc_u64_e32 v[36:37], s[36:37], v[104:105]
	s_delay_alu instid0(VALU_DEP_1) | instskip(SKIP_1) | instid1(SALU_CYCLE_1)
	v_cmp_gt_i64_e32 vcc_lo, s[4:5], v[36:37]
	s_and_b32 s33, s2, vcc_lo
	s_and_saveexec_b32 s18, s33
	s_cbranch_execz .LBB128_22
; %bb.21:                               ;   in Loop: Header=BB128_3 Depth=1
	v_add_nc_u64_e32 v[16:17], v[80:81], v[38:39]
	v_add_nc_u64_e32 v[36:37], v[82:83], v[38:39]
	global_load_b64 v[16:17], v[16:17], off
	global_load_b64 v[36:37], v[36:37], off
	s_wait_loadcnt 0x0
	scratch_store_b64 off, v[36:37], off offset:24 ; 8-byte Folded Spill
.LBB128_22:                             ;   in Loop: Header=BB128_3 Depth=1
	s_wait_xcnt 0x0
	s_or_b32 exec_lo, exec_lo, s18
	v_add_nc_u64_e32 v[36:37], s[38:39], v[104:105]
	v_mov_b64_e32 v[124:125], 0
	v_mov_b64_e32 v[126:127], 0
	s_delay_alu instid0(VALU_DEP_3) | instskip(SKIP_1) | instid1(SALU_CYCLE_1)
	v_cmp_gt_i64_e32 vcc_lo, s[4:5], v[36:37]
	s_and_b32 s33, s2, vcc_lo
	s_and_saveexec_b32 s18, s33
	s_cbranch_execz .LBB128_24
; %bb.23:                               ;   in Loop: Header=BB128_3 Depth=1
	v_add_nc_u64_e32 v[18:19], v[76:77], v[38:39]
	v_add_nc_u64_e32 v[36:37], v[78:79], v[38:39]
	global_load_b64 v[18:19], v[18:19], off
	global_load_b64 v[126:127], v[36:37], off
.LBB128_24:                             ;   in Loop: Header=BB128_3 Depth=1
	s_wait_xcnt 0x0
	s_or_b32 exec_lo, exec_lo, s18
	v_add_nc_u64_e32 v[36:37], s[40:41], v[104:105]
	s_delay_alu instid0(VALU_DEP_1) | instskip(SKIP_1) | instid1(SALU_CYCLE_1)
	v_cmp_gt_i64_e32 vcc_lo, s[4:5], v[36:37]
	s_and_b32 s33, s2, vcc_lo
	s_and_saveexec_b32 s18, s33
	s_cbranch_execz .LBB128_26
; %bb.25:                               ;   in Loop: Header=BB128_3 Depth=1
	v_add_nc_u64_e32 v[20:21], v[72:73], v[38:39]
	v_add_nc_u64_e32 v[36:37], v[74:75], v[38:39]
	global_load_b64 v[20:21], v[20:21], off
	global_load_b64 v[124:125], v[36:37], off
.LBB128_26:                             ;   in Loop: Header=BB128_3 Depth=1
	s_wait_xcnt 0x0
	s_or_b32 exec_lo, exec_lo, s18
	v_add_nc_u64_e32 v[36:37], s[42:43], v[104:105]
	v_mov_b64_e32 v[112:113], 0
	s_delay_alu instid0(VALU_DEP_2) | instskip(SKIP_2) | instid1(SALU_CYCLE_1)
	v_cmp_gt_i64_e32 vcc_lo, s[4:5], v[36:37]
	v_mov_b64_e32 v[36:37], 0
	s_and_b32 s33, s2, vcc_lo
	s_and_saveexec_b32 s18, s33
	s_cbranch_execz .LBB128_28
; %bb.27:                               ;   in Loop: Header=BB128_3 Depth=1
	v_add_nc_u64_e32 v[22:23], v[108:109], v[38:39]
	v_add_nc_u64_e32 v[110:111], v[70:71], v[38:39]
	global_load_b64 v[22:23], v[22:23], off
	global_load_b64 v[112:113], v[110:111], off
.LBB128_28:                             ;   in Loop: Header=BB128_3 Depth=1
	s_wait_xcnt 0x0
	s_or_b32 exec_lo, exec_lo, s18
	v_add_nc_u64_e32 v[110:111], s[44:45], v[104:105]
	s_delay_alu instid0(VALU_DEP_1) | instskip(SKIP_1) | instid1(SALU_CYCLE_1)
	v_cmp_gt_i64_e32 vcc_lo, s[4:5], v[110:111]
	s_and_b32 s33, s2, vcc_lo
	s_and_saveexec_b32 s18, s33
	s_cbranch_execz .LBB128_30
; %bb.29:                               ;   in Loop: Header=BB128_3 Depth=1
	v_add_nc_u64_e32 v[24:25], v[64:65], v[38:39]
	v_add_nc_u64_e32 v[36:37], v[66:67], v[38:39]
	global_load_b64 v[24:25], v[24:25], off
	global_load_b64 v[36:37], v[36:37], off
.LBB128_30:                             ;   in Loop: Header=BB128_3 Depth=1
	s_wait_xcnt 0x0
	s_or_b32 exec_lo, exec_lo, s18
	v_add_nc_u64_e32 v[110:111], s[46:47], v[104:105]
	v_mov_b64_e32 v[114:115], 0
	v_mov_b64_e32 v[116:117], 0
	s_delay_alu instid0(VALU_DEP_3) | instskip(SKIP_1) | instid1(SALU_CYCLE_1)
	v_cmp_gt_i64_e32 vcc_lo, s[4:5], v[110:111]
	s_and_b32 s33, s2, vcc_lo
	s_and_saveexec_b32 s18, s33
	s_cbranch_execz .LBB128_32
; %bb.31:                               ;   in Loop: Header=BB128_3 Depth=1
	v_add_nc_u64_e32 v[26:27], v[60:61], v[38:39]
	v_add_nc_u64_e32 v[110:111], v[62:63], v[38:39]
	global_load_b64 v[26:27], v[26:27], off
	global_load_b64 v[116:117], v[110:111], off
.LBB128_32:                             ;   in Loop: Header=BB128_3 Depth=1
	s_wait_xcnt 0x0
	s_or_b32 exec_lo, exec_lo, s18
	v_add_nc_u64_e32 v[110:111], s[48:49], v[104:105]
	s_delay_alu instid0(VALU_DEP_1) | instskip(SKIP_1) | instid1(SALU_CYCLE_1)
	v_cmp_gt_i64_e32 vcc_lo, s[4:5], v[110:111]
	s_and_b32 s33, s2, vcc_lo
	s_and_saveexec_b32 s18, s33
	s_cbranch_execz .LBB128_34
; %bb.33:                               ;   in Loop: Header=BB128_3 Depth=1
	v_add_nc_u64_e32 v[28:29], v[56:57], v[38:39]
	v_add_nc_u64_e32 v[110:111], v[58:59], v[38:39]
	global_load_b64 v[28:29], v[28:29], off
	global_load_b64 v[114:115], v[110:111], off
.LBB128_34:                             ;   in Loop: Header=BB128_3 Depth=1
	s_wait_xcnt 0x0
	s_or_b32 exec_lo, exec_lo, s18
	v_add_nc_u64_e32 v[110:111], s[50:51], v[104:105]
	v_mov_b64_e32 v[118:119], 0
	v_mov_b64_e32 v[120:121], 0
	s_delay_alu instid0(VALU_DEP_3) | instskip(SKIP_1) | instid1(SALU_CYCLE_1)
	v_cmp_gt_i64_e32 vcc_lo, s[4:5], v[110:111]
	s_and_b32 s33, s2, vcc_lo
	s_and_saveexec_b32 s18, s33
	s_cbranch_execz .LBB128_36
; %bb.35:                               ;   in Loop: Header=BB128_3 Depth=1
	v_add_nc_u64_e32 v[30:31], v[52:53], v[38:39]
	v_add_nc_u64_e32 v[110:111], v[54:55], v[38:39]
	global_load_b64 v[30:31], v[30:31], off
	global_load_b64 v[120:121], v[110:111], off
.LBB128_36:                             ;   in Loop: Header=BB128_3 Depth=1
	s_wait_xcnt 0x0
	s_or_b32 exec_lo, exec_lo, s18
	v_add_nc_u64_e32 v[110:111], s[52:53], v[104:105]
	s_delay_alu instid0(VALU_DEP_1) | instskip(SKIP_1) | instid1(SALU_CYCLE_1)
	v_cmp_gt_i64_e32 vcc_lo, s[4:5], v[110:111]
	s_and_b32 s33, s2, vcc_lo
	s_and_saveexec_b32 s18, s33
	s_cbranch_execz .LBB128_38
; %bb.37:                               ;   in Loop: Header=BB128_3 Depth=1
	v_add_nc_u64_e32 v[32:33], v[48:49], v[38:39]
	v_add_nc_u64_e32 v[110:111], v[50:51], v[38:39]
	global_load_b64 v[32:33], v[32:33], off
	global_load_b64 v[118:119], v[110:111], off
.LBB128_38:                             ;   in Loop: Header=BB128_3 Depth=1
	s_wait_xcnt 0x0
	s_or_b32 exec_lo, exec_lo, s18
	v_add_nc_u64_e32 v[110:111], s[54:55], v[104:105]
	s_delay_alu instid0(VALU_DEP_1) | instskip(SKIP_2) | instid1(SALU_CYCLE_1)
	v_cmp_gt_i64_e32 vcc_lo, s[4:5], v[110:111]
	v_mov_b64_e32 v[110:111], 0
	s_and_b32 s33, s2, vcc_lo
	s_and_saveexec_b32 s18, s33
	s_cbranch_execz .LBB128_40
; %bb.39:                               ;   in Loop: Header=BB128_3 Depth=1
	v_add_nc_u64_e32 v[34:35], v[44:45], v[38:39]
	v_add_nc_u64_e32 v[110:111], v[46:47], v[38:39]
	global_load_b64 v[34:35], v[34:35], off
	global_load_b64 v[110:111], v[110:111], off
.LBB128_40:                             ;   in Loop: Header=BB128_3 Depth=1
	s_wait_xcnt 0x0
	s_or_b32 exec_lo, exec_lo, s18
	s_wait_loadcnt 0x0
	v_mul_f64_e32 v[6:7], v[122:123], v[6:7]
	scratch_load_b64 v[122:123], off, off th:TH_LOAD_LU ; 8-byte Folded Reload
	v_mul_f64_e32 v[4:5], v[68:69], v[4:5]
	ds_bpermute_b32 v68, v2, v106
	ds_bpermute_b32 v69, v2, v107
	s_mov_b32 s18, 0
	s_wait_dscnt 0x0
	v_fma_f64 v[68:69], v[4:5], v[68:69], v[0:1]
	ds_bpermute_b32 v4, v2, v106 offset:4
	ds_bpermute_b32 v5, v2, v107 offset:4
	s_wait_dscnt 0x0
	v_fmac_f64_e32 v[68:69], v[6:7], v[4:5]
	scratch_load_b64 v[6:7], off, off offset:16 th:TH_LOAD_LU ; 8-byte Folded Reload
	ds_bpermute_b32 v4, v2, v106 offset:8
	ds_bpermute_b32 v5, v2, v107 offset:8
	s_wait_loadcnt 0x1
	v_mul_f64_e32 v[8:9], v[122:123], v[8:9]
	s_wait_dscnt 0x0
	s_delay_alu instid0(VALU_DEP_1)
	v_fmac_f64_e32 v[68:69], v[8:9], v[4:5]
	scratch_load_b64 v[8:9], off, off offset:8 th:TH_LOAD_LU ; 8-byte Folded Reload
	ds_bpermute_b32 v4, v2, v106 offset:12
	ds_bpermute_b32 v5, v2, v107 offset:12
	s_wait_loadcnt 0x1
	v_mul_f64_e32 v[6:7], v[6:7], v[10:11]
	s_wait_dscnt 0x0
	s_delay_alu instid0(VALU_DEP_1)
	;; [unrolled: 8-line block ×4, first 2 shown]
	v_fmac_f64_e32 v[68:69], v[6:7], v[4:5]
	ds_bpermute_b32 v4, v2, v106 offset:24
	ds_bpermute_b32 v5, v2, v107 offset:24
	v_mul_f64_e32 v[6:7], v[126:127], v[18:19]
	s_wait_loadcnt 0x0
	v_mul_f64_e32 v[8:9], v[8:9], v[16:17]
	s_wait_dscnt 0x0
	s_delay_alu instid0(VALU_DEP_1)
	v_fmac_f64_e32 v[68:69], v[8:9], v[4:5]
	ds_bpermute_b32 v4, v2, v106 offset:28
	ds_bpermute_b32 v5, v2, v107 offset:28
	v_mul_f64_e32 v[8:9], v[124:125], v[20:21]
	s_wait_dscnt 0x0
	v_fmac_f64_e32 v[68:69], v[6:7], v[4:5]
	ds_bpermute_b32 v4, v2, v106 offset:32
	ds_bpermute_b32 v5, v2, v107 offset:32
	v_mul_f64_e32 v[6:7], v[112:113], v[22:23]
	s_wait_dscnt 0x0
	;; [unrolled: 5-line block ×6, first 2 shown]
	v_fmac_f64_e32 v[68:69], v[8:9], v[4:5]
	ds_bpermute_b32 v4, v2, v106 offset:52
	ds_bpermute_b32 v5, v2, v107 offset:52
	s_wait_dscnt 0x0
	v_fmac_f64_e32 v[68:69], v[6:7], v[4:5]
	v_mul_f64_e32 v[4:5], v[118:119], v[32:33]
	ds_bpermute_b32 v6, v2, v106 offset:56
	ds_bpermute_b32 v7, v2, v107 offset:56
	s_wait_dscnt 0x0
	v_fmac_f64_e32 v[68:69], v[4:5], v[6:7]
	ds_bpermute_b32 v4, v2, v106 offset:60
	ds_bpermute_b32 v5, v2, v107 offset:60
.LBB128_41:                             ;   in Loop: Header=BB128_3 Depth=1
	s_and_b32 vcc_lo, exec_lo, s18
	s_cbranch_vccz .LBB128_77
; %bb.42:                               ;   in Loop: Header=BB128_3 Depth=1
	s_load_b32 s18, s[56:57], 0x0
	v_mov_b64_e32 v[116:117], 0
	v_mov_b64_e32 v[68:69], 0
	s_wait_kmcnt 0x0
	s_cmp_lt_u32 s12, s18
	s_cselect_b32 s18, 12, 18
	s_delay_alu instid0(SALU_CYCLE_1)
	s_add_nc_u64 s[64:65], s[56:57], s[18:19]
	s_load_u16 s18, s[64:65], 0x0
	scratch_load_b32 v3, off, off offset:40 ; 4-byte Folded Reload
	s_wait_dscnt 0x1
	scratch_load_b32 v4, off, off offset:56 ; 4-byte Folded Reload
	s_wait_loadcnt 0x0
	s_wait_kmcnt 0x0
	v_mad_u32_u24 v3, v3, s18, v4
	s_mov_b32 s18, exec_lo
	s_delay_alu instid0(VALU_DEP_1) | instskip(SKIP_1) | instid1(VALU_DEP_1)
	v_and_b32_e32 v4, 31, v3
	s_wait_xcnt 0x0
	v_cmpx_gt_u32_e32 16, v4
	s_cbranch_execz .LBB128_46
; %bb.43:                               ;   in Loop: Header=BB128_3 Depth=1
	s_wait_dscnt 0x0
	v_mov_b32_e32 v5, v2
	v_mov_b64_e32 v[68:69], 0
	s_mov_b32 s33, exec_lo
	s_delay_alu instid0(VALU_DEP_2) | instskip(NEXT) | instid1(VALU_DEP_1)
	v_add_nc_u64_e32 v[4:5], v[104:105], v[4:5]
	v_add_nc_u64_e32 v[4:5], s[22:23], v[4:5]
	s_delay_alu instid0(VALU_DEP_1)
	v_cmpx_gt_i64_e64 s[4:5], v[4:5]
	s_cbranch_execz .LBB128_45
; %bb.44:                               ;   in Loop: Header=BB128_3 Depth=1
	v_lshl_add_u64 v[4:5], v[4:5], 3, s[14:15]
	global_load_b64 v[68:69], v[4:5], off
.LBB128_45:                             ;   in Loop: Header=BB128_3 Depth=1
	s_wait_xcnt 0x0
	s_or_b32 exec_lo, exec_lo, s33
.LBB128_46:                             ;   in Loop: Header=BB128_3 Depth=1
	s_delay_alu instid0(SALU_CYCLE_1)
	s_or_b32 exec_lo, exec_lo, s18
	v_dual_mov_b32 v31, v2 :: v_dual_mov_b32 v32, v2
	v_dual_mov_b32 v33, v2 :: v_dual_mov_b32 v3, v2
	s_wait_dscnt 0x0
	v_dual_mov_b32 v4, v2 :: v_dual_mov_b32 v5, v2
	v_dual_mov_b32 v6, v2 :: v_dual_mov_b32 v7, v2
	v_dual_mov_b32 v8, v2 :: v_dual_mov_b32 v9, v2
	v_dual_mov_b32 v10, v2 :: v_dual_mov_b32 v11, v2
	v_dual_mov_b32 v12, v2 :: v_dual_mov_b32 v13, v2
	v_dual_mov_b32 v14, v2 :: v_dual_mov_b32 v15, v2
	v_dual_mov_b32 v16, v2 :: v_dual_mov_b32 v17, v2
	v_dual_mov_b32 v18, v2 :: v_dual_mov_b32 v19, v2
	v_dual_mov_b32 v20, v2 :: v_dual_mov_b32 v21, v2
	v_dual_mov_b32 v22, v2 :: v_dual_mov_b32 v23, v2
	v_dual_mov_b32 v24, v2 :: v_dual_mov_b32 v25, v2
	v_dual_mov_b32 v26, v2 :: v_dual_mov_b32 v27, v2
	v_dual_mov_b32 v28, v2 :: v_dual_mov_b32 v29, v2
	v_mov_b32_e32 v30, v2
	v_mov_b64_e32 v[34:35], v[32:33]
	s_delay_alu instid0(VALU_DEP_2) | instskip(NEXT) | instid1(VALU_DEP_4)
	v_mov_b64_e32 v[32:33], v[30:31]
	v_mov_b64_e32 v[30:31], v[28:29]
	;; [unrolled: 1-line block ×15, first 2 shown]
	s_and_saveexec_b32 s18, s2
	s_cbranch_execz .LBB128_48
; %bb.47:                               ;   in Loop: Header=BB128_3 Depth=1
	v_add_nc_u64_e32 v[4:5], v[40:41], v[38:39]
	v_add_nc_u64_e32 v[6:7], v[42:43], v[38:39]
	v_dual_mov_b32 v8, v2 :: v_dual_mov_b32 v9, v2
	v_dual_mov_b32 v10, v2 :: v_dual_mov_b32 v11, v2
	;; [unrolled: 1-line block ×3, first 2 shown]
	global_load_b64 v[4:5], v[4:5], off
	global_load_b64 v[116:117], v[6:7], off
	s_wait_xcnt 0x0
	v_dual_mov_b32 v6, v2 :: v_dual_mov_b32 v7, v2
	v_dual_mov_b32 v14, v2 :: v_dual_mov_b32 v15, v2
	;; [unrolled: 1-line block ×12, first 2 shown]
.LBB128_48:                             ;   in Loop: Header=BB128_3 Depth=1
	s_or_b32 exec_lo, exec_lo, s18
	v_mov_b64_e32 v[36:37], 0
	scratch_store_b64 off, v[36:37], off    ; 8-byte Folded Spill
	s_wait_xcnt 0x0
	v_mov_b64_e32 v[36:37], 0
	scratch_store_b64 off, v[36:37], off offset:8 ; 8-byte Folded Spill
	s_wait_xcnt 0x0
	s_and_saveexec_b32 s18, s2
	s_cbranch_execz .LBB128_50
; %bb.49:                               ;   in Loop: Header=BB128_3 Depth=1
	v_add_nc_u64_e32 v[6:7], v[100:101], v[38:39]
	v_add_nc_u64_e32 v[36:37], v[102:103], v[38:39]
	global_load_b64 v[6:7], v[6:7], off
	global_load_b64 v[36:37], v[36:37], off
	s_wait_loadcnt 0x0
	scratch_store_b64 off, v[36:37], off offset:8 ; 8-byte Folded Spill
.LBB128_50:                             ;   in Loop: Header=BB128_3 Depth=1
	s_wait_xcnt 0x0
	s_or_b32 exec_lo, exec_lo, s18
	s_and_saveexec_b32 s18, s2
	s_cbranch_execz .LBB128_52
; %bb.51:                               ;   in Loop: Header=BB128_3 Depth=1
	v_add_nc_u64_e32 v[8:9], v[96:97], v[38:39]
	v_add_nc_u64_e32 v[36:37], v[98:99], v[38:39]
	global_load_b64 v[8:9], v[8:9], off
	global_load_b64 v[36:37], v[36:37], off
	s_wait_loadcnt 0x0
	scratch_store_b64 off, v[36:37], off    ; 8-byte Folded Spill
.LBB128_52:                             ;   in Loop: Header=BB128_3 Depth=1
	s_wait_xcnt 0x0
	s_or_b32 exec_lo, exec_lo, s18
	v_mov_b64_e32 v[120:121], 0
	v_mov_b64_e32 v[36:37], 0
	scratch_store_b64 off, v[36:37], off offset:16 ; 8-byte Folded Spill
	s_wait_xcnt 0x0
	s_and_saveexec_b32 s18, s2
	s_cbranch_execz .LBB128_54
; %bb.53:                               ;   in Loop: Header=BB128_3 Depth=1
	v_add_nc_u64_e32 v[10:11], v[92:93], v[38:39]
	v_add_nc_u64_e32 v[36:37], v[94:95], v[38:39]
	global_load_b64 v[10:11], v[10:11], off
	global_load_b64 v[36:37], v[36:37], off
	s_wait_loadcnt 0x0
	scratch_store_b64 off, v[36:37], off offset:16 ; 8-byte Folded Spill
.LBB128_54:                             ;   in Loop: Header=BB128_3 Depth=1
	s_wait_xcnt 0x0
	s_or_b32 exec_lo, exec_lo, s18
	s_and_saveexec_b32 s18, s2
	s_cbranch_execz .LBB128_56
; %bb.55:                               ;   in Loop: Header=BB128_3 Depth=1
	v_add_nc_u64_e32 v[12:13], v[88:89], v[38:39]
	v_add_nc_u64_e32 v[36:37], v[90:91], v[38:39]
	global_load_b64 v[12:13], v[12:13], off
	global_load_b64 v[120:121], v[36:37], off
.LBB128_56:                             ;   in Loop: Header=BB128_3 Depth=1
	s_wait_xcnt 0x0
	s_or_b32 exec_lo, exec_lo, s18
	v_mov_b64_e32 v[36:37], 0
	scratch_store_b64 off, v[36:37], off offset:24 ; 8-byte Folded Spill
	s_wait_xcnt 0x0
	v_mov_b64_e32 v[36:37], 0
	scratch_store_b64 off, v[36:37], off offset:32 ; 8-byte Folded Spill
	s_wait_xcnt 0x0
	s_and_saveexec_b32 s18, s2
	s_cbranch_execz .LBB128_58
; %bb.57:                               ;   in Loop: Header=BB128_3 Depth=1
	v_add_nc_u64_e32 v[14:15], v[84:85], v[38:39]
	v_add_nc_u64_e32 v[36:37], v[86:87], v[38:39]
	global_load_b64 v[14:15], v[14:15], off
	global_load_b64 v[36:37], v[36:37], off
	s_wait_loadcnt 0x0
	scratch_store_b64 off, v[36:37], off offset:32 ; 8-byte Folded Spill
.LBB128_58:                             ;   in Loop: Header=BB128_3 Depth=1
	s_wait_xcnt 0x0
	s_or_b32 exec_lo, exec_lo, s18
	s_and_saveexec_b32 s18, s2
	s_cbranch_execz .LBB128_60
; %bb.59:                               ;   in Loop: Header=BB128_3 Depth=1
	v_add_nc_u64_e32 v[16:17], v[80:81], v[38:39]
	v_add_nc_u64_e32 v[36:37], v[82:83], v[38:39]
	global_load_b64 v[16:17], v[16:17], off
	global_load_b64 v[36:37], v[36:37], off
	s_wait_loadcnt 0x0
	scratch_store_b64 off, v[36:37], off offset:24 ; 8-byte Folded Spill
.LBB128_60:                             ;   in Loop: Header=BB128_3 Depth=1
	s_wait_xcnt 0x0
	s_or_b32 exec_lo, exec_lo, s18
	v_mov_b64_e32 v[122:123], 0
	v_mov_b64_e32 v[36:37], 0
	s_and_saveexec_b32 s18, s2
	s_cbranch_execz .LBB128_62
; %bb.61:                               ;   in Loop: Header=BB128_3 Depth=1
	v_add_nc_u64_e32 v[18:19], v[76:77], v[38:39]
	v_add_nc_u64_e32 v[36:37], v[78:79], v[38:39]
	global_load_b64 v[18:19], v[18:19], off
	global_load_b64 v[36:37], v[36:37], off
.LBB128_62:                             ;   in Loop: Header=BB128_3 Depth=1
	s_wait_xcnt 0x0
	s_or_b32 exec_lo, exec_lo, s18
	s_and_saveexec_b32 s18, s2
	s_cbranch_execz .LBB128_64
; %bb.63:                               ;   in Loop: Header=BB128_3 Depth=1
	v_add_nc_u64_e32 v[20:21], v[72:73], v[38:39]
	v_add_nc_u64_e32 v[104:105], v[74:75], v[38:39]
	global_load_b64 v[20:21], v[20:21], off
	global_load_b64 v[122:123], v[104:105], off
.LBB128_64:                             ;   in Loop: Header=BB128_3 Depth=1
	s_wait_xcnt 0x0
	s_or_b32 exec_lo, exec_lo, s18
	v_mov_b64_e32 v[124:125], 0
	v_mov_b64_e32 v[126:127], 0
	s_and_saveexec_b32 s18, s2
	s_cbranch_execz .LBB128_66
; %bb.65:                               ;   in Loop: Header=BB128_3 Depth=1
	v_add_nc_u64_e32 v[22:23], v[108:109], v[38:39]
	v_add_nc_u64_e32 v[104:105], v[70:71], v[38:39]
	global_load_b64 v[22:23], v[22:23], off
	global_load_b64 v[126:127], v[104:105], off
.LBB128_66:                             ;   in Loop: Header=BB128_3 Depth=1
	s_wait_xcnt 0x0
	s_or_b32 exec_lo, exec_lo, s18
	s_and_saveexec_b32 s18, s2
	s_cbranch_execz .LBB128_68
; %bb.67:                               ;   in Loop: Header=BB128_3 Depth=1
	v_add_nc_u64_e32 v[24:25], v[64:65], v[38:39]
	v_add_nc_u64_e32 v[104:105], v[66:67], v[38:39]
	global_load_b64 v[24:25], v[24:25], off
	global_load_b64 v[124:125], v[104:105], off
.LBB128_68:                             ;   in Loop: Header=BB128_3 Depth=1
	;; [unrolled: 22-line block ×3, first 2 shown]
	s_wait_xcnt 0x0
	s_or_b32 exec_lo, exec_lo, s18
	v_mov_b64_e32 v[112:113], 0
	v_mov_b64_e32 v[114:115], 0
	s_and_saveexec_b32 s18, s2
	s_cbranch_execnz .LBB128_79
; %bb.73:                               ;   in Loop: Header=BB128_3 Depth=1
	s_or_b32 exec_lo, exec_lo, s18
	s_and_saveexec_b32 s18, s2
	s_cbranch_execnz .LBB128_80
.LBB128_74:                             ;   in Loop: Header=BB128_3 Depth=1
	s_or_b32 exec_lo, exec_lo, s18
	v_mov_b64_e32 v[110:111], 0
	s_and_saveexec_b32 s18, s2
	s_cbranch_execz .LBB128_76
.LBB128_75:                             ;   in Loop: Header=BB128_3 Depth=1
	v_add_nc_u64_e32 v[34:35], v[44:45], v[38:39]
	v_add_nc_u64_e32 v[110:111], v[46:47], v[38:39]
	global_load_b64 v[34:35], v[34:35], off
	global_load_b64 v[110:111], v[110:111], off
.LBB128_76:                             ;   in Loop: Header=BB128_3 Depth=1
	s_wait_xcnt 0x0
	s_or_b32 exec_lo, exec_lo, s18
	scratch_load_b64 v[118:119], off, off offset:8 th:TH_LOAD_LU ; 8-byte Folded Reload
	s_wait_loadcnt 0x1
	v_mul_f64_e32 v[4:5], v[116:117], v[4:5]
	ds_bpermute_b32 v116, v2, v68
	ds_bpermute_b32 v117, v2, v69
	s_wait_dscnt 0x0
	v_fmac_f64_e32 v[0:1], v[4:5], v[116:117]
	scratch_load_b64 v[116:117], off, off th:TH_LOAD_LU ; 8-byte Folded Reload
	ds_bpermute_b32 v4, v2, v68 offset:4
	ds_bpermute_b32 v5, v2, v69 offset:4
	s_wait_loadcnt 0x1
	v_mul_f64_e32 v[6:7], v[118:119], v[6:7]
	s_wait_dscnt 0x0
	s_delay_alu instid0(VALU_DEP_1)
	v_fmac_f64_e32 v[0:1], v[6:7], v[4:5]
	scratch_load_b64 v[6:7], off, off offset:16 th:TH_LOAD_LU ; 8-byte Folded Reload
	s_wait_loadcnt 0x1
	v_mul_f64_e32 v[8:9], v[116:117], v[8:9]
	ds_bpermute_b32 v4, v2, v68 offset:8
	ds_bpermute_b32 v5, v2, v69 offset:8
	s_wait_dscnt 0x0
	v_fmac_f64_e32 v[0:1], v[8:9], v[4:5]
	ds_bpermute_b32 v4, v2, v68 offset:12
	ds_bpermute_b32 v5, v2, v69 offset:12
	v_mul_f64_e32 v[8:9], v[120:121], v[12:13]
	s_wait_loadcnt 0x0
	v_mul_f64_e32 v[6:7], v[6:7], v[10:11]
	s_wait_dscnt 0x0
	s_delay_alu instid0(VALU_DEP_1)
	v_fmac_f64_e32 v[0:1], v[6:7], v[4:5]
	scratch_load_b64 v[6:7], off, off offset:32 th:TH_LOAD_LU ; 8-byte Folded Reload
	ds_bpermute_b32 v4, v2, v68 offset:16
	ds_bpermute_b32 v5, v2, v69 offset:16
	s_wait_dscnt 0x0
	v_fmac_f64_e32 v[0:1], v[8:9], v[4:5]
	scratch_load_b64 v[8:9], off, off offset:24 th:TH_LOAD_LU ; 8-byte Folded Reload
	ds_bpermute_b32 v4, v2, v68 offset:20
	ds_bpermute_b32 v5, v2, v69 offset:20
	s_wait_loadcnt 0x1
	v_mul_f64_e32 v[6:7], v[6:7], v[14:15]
	s_wait_loadcnt 0x0
	v_mul_f64_e32 v[8:9], v[8:9], v[16:17]
	s_wait_dscnt 0x0
	s_delay_alu instid0(VALU_DEP_2)
	v_fmac_f64_e32 v[0:1], v[6:7], v[4:5]
	ds_bpermute_b32 v4, v2, v68 offset:24
	ds_bpermute_b32 v5, v2, v69 offset:24
	v_mul_f64_e32 v[6:7], v[36:37], v[18:19]
	s_wait_dscnt 0x0
	v_fmac_f64_e32 v[0:1], v[8:9], v[4:5]
	ds_bpermute_b32 v4, v2, v68 offset:28
	ds_bpermute_b32 v5, v2, v69 offset:28
	v_mul_f64_e32 v[8:9], v[122:123], v[20:21]
	s_wait_dscnt 0x0
	v_fmac_f64_e32 v[0:1], v[6:7], v[4:5]
	ds_bpermute_b32 v4, v2, v68 offset:32
	ds_bpermute_b32 v5, v2, v69 offset:32
	v_mul_f64_e32 v[6:7], v[126:127], v[22:23]
	s_wait_dscnt 0x0
	v_fmac_f64_e32 v[0:1], v[8:9], v[4:5]
	ds_bpermute_b32 v4, v2, v68 offset:36
	ds_bpermute_b32 v5, v2, v69 offset:36
	v_mul_f64_e32 v[8:9], v[124:125], v[24:25]
	s_wait_dscnt 0x0
	v_fmac_f64_e32 v[0:1], v[6:7], v[4:5]
	ds_bpermute_b32 v4, v2, v68 offset:40
	ds_bpermute_b32 v5, v2, v69 offset:40
	v_mul_f64_e32 v[6:7], v[104:105], v[26:27]
	s_wait_dscnt 0x0
	v_fmac_f64_e32 v[0:1], v[8:9], v[4:5]
	ds_bpermute_b32 v4, v2, v68 offset:44
	ds_bpermute_b32 v5, v2, v69 offset:44
	v_mul_f64_e32 v[8:9], v[106:107], v[28:29]
	s_wait_dscnt 0x0
	v_fmac_f64_e32 v[0:1], v[6:7], v[4:5]
	ds_bpermute_b32 v4, v2, v68 offset:48
	ds_bpermute_b32 v5, v2, v69 offset:48
	v_mul_f64_e32 v[6:7], v[114:115], v[30:31]
	s_wait_dscnt 0x0
	v_fmac_f64_e32 v[0:1], v[8:9], v[4:5]
	ds_bpermute_b32 v4, v2, v68 offset:52
	ds_bpermute_b32 v5, v2, v69 offset:52
	s_wait_dscnt 0x0
	v_fmac_f64_e32 v[0:1], v[6:7], v[4:5]
	v_mul_f64_e32 v[4:5], v[112:113], v[32:33]
	ds_bpermute_b32 v6, v2, v68 offset:56
	ds_bpermute_b32 v7, v2, v69 offset:56
	s_wait_dscnt 0x0
	v_fmac_f64_e32 v[0:1], v[4:5], v[6:7]
	ds_bpermute_b32 v4, v2, v68 offset:60
	ds_bpermute_b32 v5, v2, v69 offset:60
	v_mov_b64_e32 v[68:69], v[0:1]
.LBB128_77:                             ;   in Loop: Header=BB128_3 Depth=1
	v_mul_f64_e32 v[0:1], v[110:111], v[34:35]
	s_add_nc_u64 s[62:63], s[62:63], s[20:21]
	v_add_nc_u64_e32 v[40:41], s[58:59], v[40:41]
	v_cmp_lt_i64_e64 s18, s[62:63], s[4:5]
	v_add_nc_u64_e32 v[42:43], s[58:59], v[42:43]
	v_add_nc_u64_e32 v[44:45], s[58:59], v[44:45]
	;; [unrolled: 1-line block ×28, first 2 shown]
	s_wait_dscnt 0x0
	v_fmac_f64_e32 v[68:69], v[0:1], v[4:5]
	v_add_nc_u64_e32 v[98:99], s[58:59], v[98:99]
	v_add_nc_u64_e32 v[100:101], s[58:59], v[100:101]
	;; [unrolled: 1-line block ×3, first 2 shown]
	s_and_b32 vcc_lo, exec_lo, s18
	s_add_nc_u64 s[60:61], s[60:61], s[20:21]
	s_cbranch_vccz .LBB128_82
; %bb.78:                               ;   in Loop: Header=BB128_3 Depth=1
	s_delay_alu instid0(VALU_DEP_4)
	v_mov_b64_e32 v[0:1], v[68:69]
	s_branch .LBB128_3
.LBB128_79:                             ;   in Loop: Header=BB128_3 Depth=1
	v_add_nc_u64_e32 v[30:31], v[52:53], v[38:39]
	v_add_nc_u64_e32 v[110:111], v[54:55], v[38:39]
	global_load_b64 v[30:31], v[30:31], off
	global_load_b64 v[114:115], v[110:111], off
	s_wait_xcnt 0x0
	s_or_b32 exec_lo, exec_lo, s18
	s_and_saveexec_b32 s18, s2
	s_cbranch_execz .LBB128_74
.LBB128_80:                             ;   in Loop: Header=BB128_3 Depth=1
	v_add_nc_u64_e32 v[32:33], v[48:49], v[38:39]
	v_add_nc_u64_e32 v[110:111], v[50:51], v[38:39]
	global_load_b64 v[32:33], v[32:33], off
	global_load_b64 v[112:113], v[110:111], off
	s_wait_xcnt 0x0
	s_or_b32 exec_lo, exec_lo, s18
	v_mov_b64_e32 v[110:111], 0
	s_and_saveexec_b32 s18, s2
	s_cbranch_execnz .LBB128_75
	s_branch .LBB128_76
.LBB128_81:
                                        ; implicit-def: $vgpr68_vgpr69
	s_branch .LBB128_84
.LBB128_82:
	scratch_load_b32 v0, off, off offset:312 ; 4-byte Folded Reload
.LBB128_83:
	s_cbranch_execnz .LBB128_133
.LBB128_84:
	v_mov_b64_e32 v[68:69], 0
	s_and_not1_b32 vcc_lo, exec_lo, s3
	s_cbranch_vccnz .LBB128_133
; %bb.85:
	s_wait_loadcnt 0x0
	v_bfe_u32 v1, v0, 10, 10
	v_mov_b32_e32 v2, 0
	s_load_b32 s2, s[0:1], 0x44
	s_mov_b32 s3, 0
	v_mov_b64_e32 v[74:75], 0
	s_delay_alu instid0(VALU_DEP_2)
	v_dual_mov_b32 v5, v2 :: v_dual_lshlrev_b32 v4, 7, v1
	s_mov_b32 s19, s3
	s_add_nc_u64 s[20:21], s[0:1], 64
	s_add_nc_u64 s[24:25], s[16:17], 0xff
	s_mov_b64 s[26:27], 0xffffffffffffff03
	v_lshl_add_u64 v[20:21], s[16:17], 3, v[4:5]
	s_mov_b64 s[28:29], 0xffffffffffffff04
	s_mov_b64 s[30:31], 0xffffffffffffff05
	s_mov_b64 s[34:35], 0xffffffffffffff06
	s_mov_b64 s[36:37], 0xffffffffffffff07
	v_add_nc_u64_e32 v[6:7], 8, v[20:21]
	v_add_nc_u64_e32 v[8:9], 16, v[20:21]
	;; [unrolled: 1-line block ×5, first 2 shown]
	s_mov_b64 s[38:39], 0xffffffffffffff08
	s_wait_kmcnt 0x0
	s_lshl_b32 s18, s2, 8
	v_mad_nc_u64_u32 v[16:17], s6, v6, s[8:9]
	v_mul_lo_u32 v3, s6, v7
	v_mul_lo_u32 v7, s7, v6
	v_mad_nc_u64_u32 v[18:19], s6, v6, s[10:11]
	v_mad_nc_u64_u32 v[22:23], s6, v8, s[8:9]
	v_mul_lo_u32 v6, s6, v9
	v_mul_lo_u32 v9, s7, v8
	v_mad_nc_u64_u32 v[24:25], s6, v10, s[8:9]
	;; [unrolled: 4-line block ×5, first 2 shown]
	v_add_nc_u64_e32 v[4:5], 48, v[20:21]
	v_add3_u32 v17, v7, v17, v3
	v_add3_u32 v19, v7, v19, v3
	;; [unrolled: 1-line block ×5, first 2 shown]
	s_clause 0x1
	scratch_store_b64 off, v[16:17], off
	scratch_store_b64 off, v[18:19], off offset:8
	v_add3_u32 v33, v13, v33, v10
	v_mul_lo_u32 v3, s6, v5
	v_mul_lo_u32 v10, s7, v4
	s_wait_xcnt 0x1
	v_mad_nc_u64_u32 v[16:17], s6, v4, s[8:9]
	v_add_nc_u64_e32 v[6:7], 56, v[20:21]
	v_add3_u32 v25, v11, v25, v8
	s_wait_xcnt 0x0
	v_mad_nc_u64_u32 v[18:19], s6, v4, s[10:11]
	scratch_store_b64 off, v[22:23], off offset:16 ; 8-byte Folded Spill
	v_add3_u32 v29, v11, v29, v8
	v_add3_u32 v35, v14, v35, v12
	scratch_store_b64 off, v[24:25], off offset:24 ; 8-byte Folded Spill
	v_add3_u32 v37, v14, v37, v12
	v_mul_lo_u32 v11, s6, v7
	v_mul_lo_u32 v12, s7, v6
	s_wait_xcnt 0x1
	v_mad_nc_u64_u32 v[22:23], s6, v6, s[8:9]
	s_wait_xcnt 0x0
	v_mad_nc_u64_u32 v[24:25], s6, v6, s[10:11]
	v_add_nc_u64_e32 v[6:7], 0x50, v[20:21]
	v_add3_u32 v17, v10, v17, v3
	v_add_nc_u64_e32 v[8:9], 64, v[20:21]
	v_add_nc_u64_e32 v[4:5], 0x48, v[20:21]
	s_clause 0x1
	scratch_store_b64 off, v[34:35], off offset:64
	scratch_store_b64 off, v[36:37], off offset:72
	v_add3_u32 v19, v10, v19, v3
	v_mul_lo_u32 v7, s6, v7
	v_mul_lo_u32 v15, s7, v6
	s_wait_xcnt 0x1
	v_mad_nc_u64_u32 v[34:35], s6, v6, s[8:9]
	s_clause 0x1
	scratch_store_b64 off, v[16:17], off offset:80
	scratch_store_b64 off, v[18:19], off offset:88
	s_wait_xcnt 0x1
	v_mad_nc_u64_u32 v[16:17], s6, v6, s[10:11]
	s_clause 0x3
	scratch_store_b64 off, v[26:27], off offset:32
	scratch_store_b64 off, v[28:29], off offset:40
	;; [unrolled: 1-line block ×4, first 2 shown]
	v_mul_lo_u32 v13, s7, v8
	s_wait_xcnt 0x3
	v_mad_nc_u64_u32 v[26:27], s6, v8, s[8:9]
	s_wait_xcnt 0x2
	v_mad_nc_u64_u32 v[28:29], s6, v8, s[10:11]
	v_mul_lo_u32 v8, s6, v5
	v_mul_lo_u32 v14, s7, v4
	s_wait_xcnt 0x1
	v_mad_nc_u64_u32 v[30:31], s6, v4, s[8:9]
	s_wait_xcnt 0x0
	v_mad_nc_u64_u32 v[32:33], s6, v4, s[10:11]
	v_mul_lo_u32 v9, s6, v9
	v_add3_u32 v23, v12, v23, v11
	v_add3_u32 v25, v12, v25, v11
	v_dual_mov_b32 v11, v2 :: v_dual_lshlrev_b32 v10, 4, v1
	v_add_nc_u64_e32 v[4:5], 0x58, v[20:21]
	v_add3_u32 v35, v15, v35, v7
	v_add3_u32 v17, v15, v17, v7
	scratch_store_b64 off, v[22:23], off offset:96 ; 8-byte Folded Spill
	v_add_nc_u64_e32 v[6:7], s[16:17], v[10:11]
	scratch_store_b64 off, v[10:11], off offset:300 ; 8-byte Folded Spill
	s_wait_xcnt 0x0
	v_add_nc_u64_e32 v[10:11], 0x68, v[20:21]
	v_add3_u32 v31, v14, v31, v8
	v_add3_u32 v33, v14, v33, v8
	;; [unrolled: 1-line block ×4, first 2 shown]
	v_add_nc_u64_e32 v[8:9], 0x60, v[20:21]
	scratch_store_b64 off, v[24:25], off offset:104 ; 8-byte Folded Spill
	v_mul_lo_u32 v3, s6, v5
	v_mul_lo_u32 v14, s7, v4
	v_mad_nc_u64_u32 v[22:23], s6, v4, s[8:9]
	s_wait_xcnt 0x0
	v_mad_nc_u64_u32 v[24:25], s6, v4, s[10:11]
	v_mul_u64_e32 v[4:5], s[6:7], v[6:7]
	v_add_nc_u64_e32 v[12:13], 15, v[6:7]
	s_clause 0x3
	scratch_store_b64 off, v[30:31], off offset:128
	scratch_store_b64 off, v[32:33], off offset:136
	;; [unrolled: 1-line block ×4, first 2 shown]
	s_wait_xcnt 0x0
	v_mul_lo_u32 v17, s6, v11
	v_mul_lo_u32 v18, s7, v10
	v_mad_nc_u64_u32 v[30:31], s6, v10, s[8:9]
	s_clause 0x1
	scratch_store_b64 off, v[26:27], off offset:112
	scratch_store_b64 off, v[28:29], off offset:120
	v_mul_lo_u32 v15, s6, v9
	v_mul_lo_u32 v16, s7, v8
	s_wait_xcnt 0x1
	v_mad_nc_u64_u32 v[26:27], s6, v8, s[8:9]
	s_wait_xcnt 0x0
	v_mad_nc_u64_u32 v[28:29], s6, v8, s[10:11]
	v_add_nc_u64_e32 v[8:9], 0x70, v[20:21]
	v_mad_nc_u64_u32 v[32:33], s6, v10, s[10:11]
	v_mul_u64_e32 v[10:11], s[6:7], v[12:13]
	v_add_nc_u64_e32 v[20:21], 0x78, v[20:21]
	v_add3_u32 v31, v18, v31, v17
	v_add3_u32 v23, v14, v23, v3
	;; [unrolled: 1-line block ×3, first 2 shown]
	v_mul_lo_u32 v9, s6, v9
	v_mul_lo_u32 v12, s7, v8
	v_mad_nc_u64_u32 v[34:35], s6, v8, s[8:9]
	v_mad_nc_u64_u32 v[36:37], s6, v8, s[10:11]
	v_mul_lo_u32 v8, s7, v20
	v_mad_nc_u64_u32 v[38:39], s6, v20, s[8:9]
	v_add3_u32 v33, v18, v33, v17
	s_clause 0x1
	scratch_store_b64 off, v[30:31], off offset:192
	scratch_store_b32 off, v1, off offset:296
	s_wait_xcnt 0x0
	v_mul_lo_u32 v1, s6, v21
	v_mad_nc_u64_u32 v[96:97], s6, v20, s[10:11]
	v_add3_u32 v27, v16, v27, v15
	v_add3_u32 v29, v16, v29, v15
	;; [unrolled: 1-line block ×3, first 2 shown]
	s_clause 0x6
	scratch_store_b64 off, v[22:23], off offset:160
	scratch_store_b64 off, v[24:25], off offset:168
	scratch_store_b64 off, v[26:27], off offset:176
	scratch_store_b64 off, v[28:29], off offset:184
	scratch_store_b64 off, v[32:33], off offset:200
	scratch_store_b64 off, v[34:35], off offset:208
	scratch_store_b32 off, v0, off offset:312
	s_wait_xcnt 0x0
	v_and_b32_e32 v0, 0x3ff, v0
	v_add3_u32 v37, v12, v37, v9
	v_add3_u32 v39, v8, v39, v1
	;; [unrolled: 1-line block ×3, first 2 shown]
	v_lshlrev_b64_e32 v[8:9], 3, v[4:5]
	s_clause 0x2
	scratch_store_b32 off, v0, off offset:308
	scratch_store_b64 off, v[36:37], off offset:216
	scratch_store_b64 off, v[38:39], off offset:224
	s_wait_xcnt 0x2
	v_dual_mov_b32 v1, v2 :: v_dual_add_nc_u32 v0, s13, v0
	v_add_nc_u64_e32 v[14:15], 11, v[6:7]
	v_add_nc_u64_e32 v[100:101], s[8:9], v[8:9]
	;; [unrolled: 1-line block ×4, first 2 shown]
	v_lshlrev_b64_e32 v[98:99], 3, v[0:1]
	v_lshlrev_b64_e32 v[0:1], 3, v[10:11]
	v_add_nc_u64_e32 v[10:11], 13, v[6:7]
	v_add_nc_u64_e32 v[16:17], 10, v[6:7]
	;; [unrolled: 1-line block ×4, first 2 shown]
	v_mul_u64_e32 v[8:9], s[6:7], v[8:9]
	v_mul_u64_e32 v[14:15], s[6:7], v[14:15]
	v_add_nc_u64_e32 v[22:23], 7, v[6:7]
	v_mul_u64_e32 v[10:11], s[6:7], v[10:11]
	v_mul_u64_e32 v[16:17], s[6:7], v[16:17]
	v_add_nc_u64_e32 v[24:25], 6, v[6:7]
	v_add_nc_u64_e32 v[18:19], 9, v[6:7]
	v_mul_u64_e32 v[12:13], s[6:7], v[12:13]
	v_mul_u64_e32 v[20:21], s[6:7], v[20:21]
	;; [unrolled: 1-line block ×3, first 2 shown]
	v_add_nc_u64_e32 v[26:27], 5, v[6:7]
	v_add_nc_u64_e32 v[28:29], 4, v[6:7]
	v_mul_u64_e32 v[24:25], s[6:7], v[24:25]
	v_add_nc_u64_e32 v[30:31], 3, v[6:7]
	v_add_nc_u64_e32 v[6:7], 2, v[6:7]
	v_mul_u64_e32 v[18:19], s[6:7], v[18:19]
	v_add_nc_u64_e32 v[94:95], s[8:9], v[0:1]
	v_mul_u64_e32 v[26:27], s[6:7], v[26:27]
	v_mul_u64_e32 v[28:29], s[6:7], v[28:29]
	v_add_nc_u64_e32 v[106:107], s[10:11], v[0:1]
	v_mul_u64_e32 v[30:31], s[6:7], v[30:31]
	v_mul_u64_e32 v[6:7], s[6:7], v[6:7]
	v_add_nc_u64_e32 v[4:5], s[6:7], v[4:5]
	s_mul_u64 s[22:23], s[6:7], s[18:19]
	s_mov_b64 s[40:41], 0xffffffffffffff09
	s_lshl_b64 s[22:23], s[22:23], 3
	s_mov_b64 s[42:43], 0xffffffffffffff0a
	s_mov_b64 s[44:45], 0xffffffffffffff0b
	s_mov_b64 s[46:47], 0xffffffffffffff0c
	v_lshlrev_b64_e32 v[4:5], 3, v[4:5]
	s_mov_b64 s[48:49], 0xffffffffffffff0d
	s_mov_b64 s[50:51], 0xffffffffffffff0e
	v_lshlrev_b64_e32 v[8:9], 3, v[8:9]
	s_mov_b64 s[52:53], 0xffffffffffffff0f
	s_mov_b64 s[54:55], 0xffffffffffffff10
	v_lshlrev_b64_e32 v[10:11], 3, v[10:11]
	v_add_nc_u64_e32 v[64:65], s[8:9], v[4:5]
	v_add_nc_u64_e32 v[66:67], s[10:11], v[4:5]
	s_delay_alu instid0(VALU_DEP_4)
	v_add_nc_u64_e32 v[108:109], s[8:9], v[8:9]
	v_add_nc_u64_e32 v[110:111], s[10:11], v[8:9]
	v_lshlrev_b64_e32 v[8:9], 3, v[14:15]
	v_add_nc_u64_e32 v[112:113], s[8:9], v[10:11]
	v_add_nc_u64_e32 v[114:115], s[10:11], v[10:11]
	v_lshlrev_b64_e32 v[10:11], 3, v[16:17]
	v_lshlrev_b64_e32 v[0:1], 3, v[12:13]
	;; [unrolled: 1-line block ×3, first 2 shown]
	v_add_nc_u64_e32 v[120:121], s[8:9], v[8:9]
	v_add_nc_u64_e32 v[122:123], s[10:11], v[8:9]
	v_lshlrev_b64_e32 v[8:9], 3, v[20:21]
	v_add_nc_u64_e32 v[124:125], s[8:9], v[10:11]
	v_add_nc_u64_e32 v[126:127], s[10:11], v[10:11]
	v_lshlrev_b64_e32 v[10:11], 3, v[24:25]
	;; [unrolled: 3-line block ×3, first 2 shown]
	s_wait_xcnt 0x1
	v_add_nc_u64_e32 v[36:37], s[8:9], v[8:9]
	s_wait_xcnt 0x0
	v_add_nc_u64_e32 v[38:39], s[10:11], v[8:9]
	v_add_nc_u64_e32 v[40:41], s[8:9], v[12:13]
	;; [unrolled: 1-line block ×3, first 2 shown]
	v_lshlrev_b64_e32 v[8:9], 3, v[26:27]
	v_lshlrev_b64_e32 v[12:13], 3, v[28:29]
	v_add_nc_u64_e32 v[44:45], s[8:9], v[10:11]
	v_add_nc_u64_e32 v[46:47], s[10:11], v[10:11]
	v_lshlrev_b64_e32 v[10:11], 3, v[30:31]
	v_lshlrev_b64_e32 v[6:7], 3, v[6:7]
	v_add_nc_u64_e32 v[76:77], s[8:9], v[0:1]
	v_add_nc_u64_e32 v[0:1], s[10:11], v[0:1]
	;; [unrolled: 1-line block ×10, first 2 shown]
	s_mov_b64 s[8:9], 0xffffffffffffff01
	s_mov_b64 s[10:11], 0xffffffffffffff02
.LBB128_86:                             ; =>This Inner Loop Header: Depth=1
	scratch_load_b64 v[4:5], off, off offset:300 ; 8-byte Folded Reload
	v_cmp_ge_i64_e64 s13, s[24:25], s[4:5]
	s_mov_b32 s2, -1
                                        ; implicit-def: $vgpr68_vgpr69
	s_and_b32 vcc_lo, exec_lo, s13
	s_wait_loadcnt 0x0
	v_add_nc_u64_e32 v[70:71], s[24:25], v[4:5]
	s_cbranch_vccz .LBB128_124
; %bb.87:                               ;   in Loop: Header=BB128_86 Depth=1
	s_load_b32 s2, s[20:21], 0xc
	s_clause 0x1
	scratch_load_b32 v3, off, off offset:296
	scratch_load_b32 v4, off, off offset:308
	v_mov_b64_e32 v[6:7], 0
	v_mov_b64_e32 v[72:73], 0
	scratch_store_b64 off, v[6:7], off offset:232 ; 8-byte Folded Spill
	s_wait_kmcnt 0x0
	s_and_b32 s2, s2, 0xffff
	s_wait_loadcnt 0x0
	v_mad_u32_u24 v3, v3, s2, v4
	s_mov_b32 s2, exec_lo
	s_delay_alu instid0(VALU_DEP_1) | instskip(SKIP_1) | instid1(VALU_DEP_1)
	v_and_b32_e32 v4, 31, v3
	s_wait_xcnt 0x0
	v_cmpx_gt_u32_e32 16, v4
	s_cbranch_execz .LBB128_91
; %bb.88:                               ;   in Loop: Header=BB128_86 Depth=1
	v_mov_b32_e32 v5, v2
	v_mov_b64_e32 v[72:73], 0
	s_mov_b32 s13, exec_lo
	s_delay_alu instid0(VALU_DEP_2) | instskip(NEXT) | instid1(VALU_DEP_1)
	v_add_nc_u64_e32 v[4:5], v[70:71], v[4:5]
	v_add_nc_u64_e32 v[4:5], s[8:9], v[4:5]
	s_delay_alu instid0(VALU_DEP_1)
	v_cmpx_gt_i64_e64 s[4:5], v[4:5]
	s_cbranch_execz .LBB128_90
; %bb.89:                               ;   in Loop: Header=BB128_86 Depth=1
	v_lshl_add_u64 v[4:5], v[4:5], 3, s[14:15]
	global_load_b64 v[72:73], v[4:5], off
.LBB128_90:                             ;   in Loop: Header=BB128_86 Depth=1
	s_wait_xcnt 0x0
	s_or_b32 exec_lo, exec_lo, s13
.LBB128_91:                             ;   in Loop: Header=BB128_86 Depth=1
	s_delay_alu instid0(SALU_CYCLE_1)
	s_or_b32 exec_lo, exec_lo, s2
	v_add_nc_u64_e32 v[34:35], s[8:9], v[70:71]
	v_dual_mov_b32 v31, v2 :: v_dual_mov_b32 v32, v2
	v_dual_mov_b32 v33, v2 :: v_dual_mov_b32 v3, v2
	;; [unrolled: 1-line block ×15, first 2 shown]
	v_mov_b32_e32 v30, v2
	v_cmp_gt_i64_e32 vcc_lo, s[4:5], v[34:35]
	v_mov_b64_e32 v[34:35], v[32:33]
	s_delay_alu instid0(VALU_DEP_3)
	v_mov_b64_e32 v[32:33], v[30:31]
	v_mov_b64_e32 v[30:31], v[28:29]
	;; [unrolled: 1-line block ×15, first 2 shown]
	s_and_saveexec_b32 s2, vcc_lo
	s_cbranch_execz .LBB128_93
; %bb.92:                               ;   in Loop: Header=BB128_86 Depth=1
	v_add_nc_u64_e32 v[4:5], v[100:101], v[98:99]
	v_add_nc_u64_e32 v[6:7], v[102:103], v[98:99]
	v_dual_mov_b32 v8, v2 :: v_dual_mov_b32 v9, v2
	v_dual_mov_b32 v10, v2 :: v_dual_mov_b32 v11, v2
	;; [unrolled: 1-line block ×3, first 2 shown]
	global_load_b64 v[4:5], v[4:5], off
	global_load_b64 v[6:7], v[6:7], off
	v_dual_mov_b32 v14, v2 :: v_dual_mov_b32 v15, v2
	v_dual_mov_b32 v16, v2 :: v_dual_mov_b32 v17, v2
	;; [unrolled: 1-line block ×11, first 2 shown]
	s_wait_loadcnt 0x0
	scratch_store_b64 off, v[6:7], off offset:232 ; 8-byte Folded Spill
	s_wait_xcnt 0x0
	v_dual_mov_b32 v6, v2 :: v_dual_mov_b32 v7, v2
.LBB128_93:                             ;   in Loop: Header=BB128_86 Depth=1
	s_or_b32 exec_lo, exec_lo, s2
	v_add_nc_u64_e32 v[68:69], s[10:11], v[70:71]
	v_mov_b64_e32 v[78:79], 0
	s_delay_alu instid0(VALU_DEP_2)
	v_cmp_gt_i64_e32 vcc_lo, s[4:5], v[68:69]
	v_mov_b64_e32 v[68:69], 0
	s_clause 0x1
	scratch_store_b64 off, v[78:79], off offset:240
	scratch_store_b64 off, v[68:69], off offset:248
	s_wait_xcnt 0x0
	s_and_saveexec_b32 s2, vcc_lo
	s_cbranch_execz .LBB128_95
; %bb.94:                               ;   in Loop: Header=BB128_86 Depth=1
	v_add_nc_u64_e32 v[6:7], v[64:65], v[98:99]
	v_add_nc_u64_e32 v[68:69], v[66:67], v[98:99]
	global_load_b64 v[6:7], v[6:7], off
	global_load_b64 v[68:69], v[68:69], off
	s_wait_loadcnt 0x0
	scratch_store_b64 off, v[68:69], off offset:248 ; 8-byte Folded Spill
.LBB128_95:                             ;   in Loop: Header=BB128_86 Depth=1
	s_wait_xcnt 0x0
	s_or_b32 exec_lo, exec_lo, s2
	v_add_nc_u64_e32 v[78:79], s[26:27], v[70:71]
	s_mov_b32 s2, exec_lo
	s_delay_alu instid0(VALU_DEP_1)
	v_cmpx_gt_i64_e64 s[4:5], v[78:79]
	s_cbranch_execz .LBB128_97
; %bb.96:                               ;   in Loop: Header=BB128_86 Depth=1
	v_add_nc_u64_e32 v[8:9], v[60:61], v[98:99]
	v_add_nc_u64_e32 v[78:79], v[62:63], v[98:99]
	global_load_b64 v[8:9], v[8:9], off
	global_load_b64 v[68:69], v[78:79], off
	s_wait_loadcnt 0x0
	scratch_store_b64 off, v[68:69], off offset:240 ; 8-byte Folded Spill
.LBB128_97:                             ;   in Loop: Header=BB128_86 Depth=1
	s_wait_xcnt 0x0
	s_or_b32 exec_lo, exec_lo, s2
	v_add_nc_u64_e32 v[78:79], s[28:29], v[70:71]
	v_mov_b64_e32 v[104:105], 0
	s_delay_alu instid0(VALU_DEP_2)
	v_cmp_gt_i64_e32 vcc_lo, s[4:5], v[78:79]
	v_mov_b64_e32 v[78:79], 0
	scratch_store_b64 off, v[78:79], off offset:256 ; 8-byte Folded Spill
	s_wait_xcnt 0x0
	s_and_saveexec_b32 s2, vcc_lo
	s_cbranch_execz .LBB128_99
; %bb.98:                               ;   in Loop: Header=BB128_86 Depth=1
	v_add_nc_u64_e32 v[10:11], v[56:57], v[98:99]
	v_add_nc_u64_e32 v[78:79], v[58:59], v[98:99]
	global_load_b64 v[10:11], v[10:11], off
	global_load_b64 v[78:79], v[78:79], off
	s_wait_loadcnt 0x0
	scratch_store_b64 off, v[78:79], off offset:256 ; 8-byte Folded Spill
.LBB128_99:                             ;   in Loop: Header=BB128_86 Depth=1
	s_wait_xcnt 0x0
	s_or_b32 exec_lo, exec_lo, s2
	v_add_nc_u64_e32 v[78:79], s[30:31], v[70:71]
	s_mov_b32 s2, exec_lo
	s_delay_alu instid0(VALU_DEP_1)
	v_cmpx_gt_i64_e64 s[4:5], v[78:79]
	s_cbranch_execz .LBB128_101
; %bb.100:                              ;   in Loop: Header=BB128_86 Depth=1
	v_add_nc_u64_e32 v[12:13], v[52:53], v[98:99]
	v_add_nc_u64_e32 v[78:79], v[54:55], v[98:99]
	global_load_b64 v[12:13], v[12:13], off
	global_load_b64 v[104:105], v[78:79], off
.LBB128_101:                            ;   in Loop: Header=BB128_86 Depth=1
	s_wait_xcnt 0x0
	s_or_b32 exec_lo, exec_lo, s2
	v_add_nc_u64_e32 v[78:79], s[34:35], v[70:71]
	v_mov_b64_e32 v[80:81], 0
	s_delay_alu instid0(VALU_DEP_2)
	v_cmp_gt_i64_e32 vcc_lo, s[4:5], v[78:79]
	v_mov_b64_e32 v[78:79], 0
	s_clause 0x1
	scratch_store_b64 off, v[80:81], off offset:264
	scratch_store_b64 off, v[78:79], off offset:272
	s_wait_xcnt 0x0
	s_and_saveexec_b32 s2, vcc_lo
	s_cbranch_execz .LBB128_103
; %bb.102:                              ;   in Loop: Header=BB128_86 Depth=1
	v_add_nc_u64_e32 v[14:15], v[48:49], v[98:99]
	v_add_nc_u64_e32 v[78:79], v[50:51], v[98:99]
	global_load_b64 v[14:15], v[14:15], off
	global_load_b64 v[78:79], v[78:79], off
	s_wait_loadcnt 0x0
	scratch_store_b64 off, v[78:79], off offset:272 ; 8-byte Folded Spill
.LBB128_103:                            ;   in Loop: Header=BB128_86 Depth=1
	s_wait_xcnt 0x0
	s_or_b32 exec_lo, exec_lo, s2
	v_add_nc_u64_e32 v[78:79], s[36:37], v[70:71]
	s_mov_b32 s2, exec_lo
	s_delay_alu instid0(VALU_DEP_1)
	v_cmpx_gt_i64_e64 s[4:5], v[78:79]
	s_cbranch_execz .LBB128_105
; %bb.104:                              ;   in Loop: Header=BB128_86 Depth=1
	v_add_nc_u64_e32 v[16:17], v[44:45], v[98:99]
	v_add_nc_u64_e32 v[78:79], v[46:47], v[98:99]
	global_load_b64 v[16:17], v[16:17], off
	global_load_b64 v[78:79], v[78:79], off
	s_wait_loadcnt 0x0
	scratch_store_b64 off, v[78:79], off offset:264 ; 8-byte Folded Spill
.LBB128_105:                            ;   in Loop: Header=BB128_86 Depth=1
	s_wait_xcnt 0x0
	s_or_b32 exec_lo, exec_lo, s2
	v_add_nc_u64_e32 v[78:79], s[38:39], v[70:71]
	v_mov_b64_e32 v[80:81], 0
	s_delay_alu instid0(VALU_DEP_2)
	v_cmp_gt_i64_e32 vcc_lo, s[4:5], v[78:79]
	v_mov_b64_e32 v[78:79], 0
	s_clause 0x1
	scratch_store_b64 off, v[80:81], off offset:280
	scratch_store_b64 off, v[78:79], off offset:288
	s_wait_xcnt 0x0
	s_and_saveexec_b32 s2, vcc_lo
	s_cbranch_execz .LBB128_107
; %bb.106:                              ;   in Loop: Header=BB128_86 Depth=1
	v_add_nc_u64_e32 v[18:19], v[40:41], v[98:99]
	v_add_nc_u64_e32 v[78:79], v[42:43], v[98:99]
	global_load_b64 v[18:19], v[18:19], off
	global_load_b64 v[78:79], v[78:79], off
	s_wait_loadcnt 0x0
	scratch_store_b64 off, v[78:79], off offset:288 ; 8-byte Folded Spill
.LBB128_107:                            ;   in Loop: Header=BB128_86 Depth=1
	s_wait_xcnt 0x0
	s_or_b32 exec_lo, exec_lo, s2
	v_add_nc_u64_e32 v[80:81], s[40:41], v[70:71]
	s_mov_b32 s2, exec_lo
	s_delay_alu instid0(VALU_DEP_1)
	v_cmpx_gt_i64_e64 s[4:5], v[80:81]
	s_cbranch_execz .LBB128_109
; %bb.108:                              ;   in Loop: Header=BB128_86 Depth=1
	v_add_nc_u64_e32 v[20:21], v[36:37], v[98:99]
	v_add_nc_u64_e32 v[80:81], v[38:39], v[98:99]
	global_load_b64 v[20:21], v[20:21], off
	global_load_b64 v[78:79], v[80:81], off
	s_wait_loadcnt 0x0
	scratch_store_b64 off, v[78:79], off offset:280 ; 8-byte Folded Spill
.LBB128_109:                            ;   in Loop: Header=BB128_86 Depth=1
	s_wait_xcnt 0x0
	s_or_b32 exec_lo, exec_lo, s2
	v_add_nc_u64_e32 v[82:83], s[42:43], v[70:71]
	v_mov_b64_e32 v[80:81], 0
	s_delay_alu instid0(VALU_DEP_2)
	v_cmp_gt_i64_e32 vcc_lo, s[4:5], v[82:83]
	v_mov_b64_e32 v[82:83], 0
	s_and_saveexec_b32 s2, vcc_lo
	s_cbranch_execz .LBB128_111
; %bb.110:                              ;   in Loop: Header=BB128_86 Depth=1
	v_add_nc_u64_e32 v[22:23], v[76:77], v[98:99]
	v_add_nc_u64_e32 v[82:83], v[0:1], v[98:99]
	global_load_b64 v[22:23], v[22:23], off
	global_load_b64 v[82:83], v[82:83], off
.LBB128_111:                            ;   in Loop: Header=BB128_86 Depth=1
	s_wait_xcnt 0x0
	s_or_b32 exec_lo, exec_lo, s2
	v_add_nc_u64_e32 v[84:85], s[44:45], v[70:71]
	s_mov_b32 s2, exec_lo
	s_delay_alu instid0(VALU_DEP_1)
	v_cmpx_gt_i64_e64 s[4:5], v[84:85]
	s_cbranch_execz .LBB128_113
; %bb.112:                              ;   in Loop: Header=BB128_86 Depth=1
	v_add_nc_u64_e32 v[24:25], v[124:125], v[98:99]
	v_add_nc_u64_e32 v[80:81], v[126:127], v[98:99]
	global_load_b64 v[24:25], v[24:25], off
	global_load_b64 v[80:81], v[80:81], off
.LBB128_113:                            ;   in Loop: Header=BB128_86 Depth=1
	s_wait_xcnt 0x0
	s_or_b32 exec_lo, exec_lo, s2
	v_add_nc_u64_e32 v[86:87], s[46:47], v[70:71]
	v_mov_b64_e32 v[84:85], 0
	s_delay_alu instid0(VALU_DEP_2)
	v_cmp_gt_i64_e32 vcc_lo, s[4:5], v[86:87]
	v_mov_b64_e32 v[86:87], 0
	s_and_saveexec_b32 s2, vcc_lo
	s_cbranch_execz .LBB128_115
; %bb.114:                              ;   in Loop: Header=BB128_86 Depth=1
	v_add_nc_u64_e32 v[26:27], v[120:121], v[98:99]
	v_add_nc_u64_e32 v[86:87], v[122:123], v[98:99]
	global_load_b64 v[26:27], v[26:27], off
	global_load_b64 v[86:87], v[86:87], off
.LBB128_115:                            ;   in Loop: Header=BB128_86 Depth=1
	s_wait_xcnt 0x0
	s_or_b32 exec_lo, exec_lo, s2
	v_add_nc_u64_e32 v[88:89], s[48:49], v[70:71]
	s_mov_b32 s2, exec_lo
	s_delay_alu instid0(VALU_DEP_1)
	v_cmpx_gt_i64_e64 s[4:5], v[88:89]
	s_cbranch_execz .LBB128_117
; %bb.116:                              ;   in Loop: Header=BB128_86 Depth=1
	v_add_nc_u64_e32 v[28:29], v[116:117], v[98:99]
	v_add_nc_u64_e32 v[84:85], v[118:119], v[98:99]
	global_load_b64 v[28:29], v[28:29], off
	global_load_b64 v[84:85], v[84:85], off
.LBB128_117:                            ;   in Loop: Header=BB128_86 Depth=1
	;; [unrolled: 28-line block ×3, first 2 shown]
	s_wait_xcnt 0x0
	s_or_b32 exec_lo, exec_lo, s2
	v_add_nc_u64_e32 v[92:93], s[54:55], v[70:71]
	s_delay_alu instid0(VALU_DEP_1)
	v_cmp_gt_i64_e32 vcc_lo, s[4:5], v[92:93]
	v_mov_b64_e32 v[92:93], 0
	s_and_saveexec_b32 s2, vcc_lo
	s_cbranch_execz .LBB128_123
; %bb.122:                              ;   in Loop: Header=BB128_86 Depth=1
	v_add_nc_u64_e32 v[34:35], v[94:95], v[98:99]
	v_add_nc_u64_e32 v[92:93], v[106:107], v[98:99]
	global_load_b64 v[34:35], v[34:35], off
	global_load_b64 v[92:93], v[92:93], off
.LBB128_123:                            ;   in Loop: Header=BB128_86 Depth=1
	s_wait_xcnt 0x0
	s_or_b32 exec_lo, exec_lo, s2
	s_clause 0x1
	scratch_load_b64 v[68:69], off, off offset:232 th:TH_LOAD_LU
	scratch_load_b64 v[78:79], off, off offset:248 th:TH_LOAD_LU
	s_mov_b32 s2, 0
	s_wait_loadcnt 0x0
	v_mul_f64_e32 v[6:7], v[78:79], v[6:7]
	scratch_load_b64 v[78:79], off, off offset:240 th:TH_LOAD_LU ; 8-byte Folded Reload
	v_mul_f64_e32 v[4:5], v[68:69], v[4:5]
	ds_bpermute_b32 v68, v2, v72
	ds_bpermute_b32 v69, v2, v73
	s_wait_dscnt 0x0
	v_fma_f64 v[68:69], v[4:5], v[68:69], v[74:75]
	ds_bpermute_b32 v4, v2, v72 offset:4
	ds_bpermute_b32 v5, v2, v73 offset:4
	s_wait_dscnt 0x0
	v_fmac_f64_e32 v[68:69], v[6:7], v[4:5]
	scratch_load_b64 v[6:7], off, off offset:256 th:TH_LOAD_LU ; 8-byte Folded Reload
	ds_bpermute_b32 v4, v2, v72 offset:8
	ds_bpermute_b32 v5, v2, v73 offset:8
	s_wait_loadcnt 0x1
	v_mul_f64_e32 v[8:9], v[78:79], v[8:9]
	s_wait_dscnt 0x0
	s_delay_alu instid0(VALU_DEP_1)
	v_fmac_f64_e32 v[68:69], v[8:9], v[4:5]
	ds_bpermute_b32 v4, v2, v72 offset:12
	ds_bpermute_b32 v5, v2, v73 offset:12
	v_mul_f64_e32 v[8:9], v[104:105], v[12:13]
	s_wait_loadcnt 0x0
	v_mul_f64_e32 v[6:7], v[6:7], v[10:11]
	s_wait_dscnt 0x0
	s_delay_alu instid0(VALU_DEP_1)
	v_fmac_f64_e32 v[68:69], v[6:7], v[4:5]
	scratch_load_b64 v[6:7], off, off offset:272 th:TH_LOAD_LU ; 8-byte Folded Reload
	ds_bpermute_b32 v4, v2, v72 offset:16
	ds_bpermute_b32 v5, v2, v73 offset:16
	s_wait_dscnt 0x0
	v_fmac_f64_e32 v[68:69], v[8:9], v[4:5]
	scratch_load_b64 v[8:9], off, off offset:264 th:TH_LOAD_LU ; 8-byte Folded Reload
	ds_bpermute_b32 v4, v2, v72 offset:20
	ds_bpermute_b32 v5, v2, v73 offset:20
	s_wait_loadcnt 0x1
	v_mul_f64_e32 v[6:7], v[6:7], v[14:15]
	s_wait_loadcnt 0x0
	v_mul_f64_e32 v[8:9], v[8:9], v[16:17]
	s_wait_dscnt 0x0
	s_delay_alu instid0(VALU_DEP_2)
	v_fmac_f64_e32 v[68:69], v[6:7], v[4:5]
	scratch_load_b64 v[6:7], off, off offset:288 th:TH_LOAD_LU ; 8-byte Folded Reload
	ds_bpermute_b32 v4, v2, v72 offset:24
	ds_bpermute_b32 v5, v2, v73 offset:24
	s_wait_dscnt 0x0
	v_fmac_f64_e32 v[68:69], v[8:9], v[4:5]
	scratch_load_b64 v[8:9], off, off offset:280 th:TH_LOAD_LU ; 8-byte Folded Reload
	ds_bpermute_b32 v4, v2, v72 offset:28
	ds_bpermute_b32 v5, v2, v73 offset:28
	s_wait_loadcnt 0x1
	v_mul_f64_e32 v[6:7], v[6:7], v[18:19]
	s_wait_loadcnt 0x0
	v_mul_f64_e32 v[8:9], v[8:9], v[20:21]
	s_wait_dscnt 0x0
	s_delay_alu instid0(VALU_DEP_2)
	v_fmac_f64_e32 v[68:69], v[6:7], v[4:5]
	ds_bpermute_b32 v4, v2, v72 offset:32
	ds_bpermute_b32 v5, v2, v73 offset:32
	v_mul_f64_e32 v[6:7], v[82:83], v[22:23]
	s_wait_dscnt 0x0
	v_fmac_f64_e32 v[68:69], v[8:9], v[4:5]
	ds_bpermute_b32 v4, v2, v72 offset:36
	ds_bpermute_b32 v5, v2, v73 offset:36
	v_mul_f64_e32 v[8:9], v[80:81], v[24:25]
	s_wait_dscnt 0x0
	;; [unrolled: 5-line block ×6, first 2 shown]
	v_fmac_f64_e32 v[68:69], v[6:7], v[4:5]
	ds_bpermute_b32 v4, v2, v72 offset:56
	ds_bpermute_b32 v5, v2, v73 offset:56
	;; [unrolled: 1-line block ×4, first 2 shown]
	s_wait_dscnt 0x2
	v_fmac_f64_e32 v[68:69], v[8:9], v[4:5]
	v_mul_f64_e32 v[4:5], v[92:93], v[34:35]
	s_wait_dscnt 0x0
	s_delay_alu instid0(VALU_DEP_1)
	v_fmac_f64_e32 v[68:69], v[4:5], v[6:7]
.LBB128_124:                            ;   in Loop: Header=BB128_86 Depth=1
	s_and_b32 vcc_lo, exec_lo, s2
	s_cbranch_vccz .LBB128_130
; %bb.125:                              ;   in Loop: Header=BB128_86 Depth=1
	s_load_b32 s2, s[20:21], 0x0
	s_wait_kmcnt 0x0
	s_cmp_lt_u32 s12, s2
	s_cselect_b32 s2, 12, 18
	s_delay_alu instid0(SALU_CYCLE_1)
	s_add_nc_u64 s[56:57], s[20:21], s[2:3]
	s_load_u16 s2, s[56:57], 0x0
	s_clause 0x1
	scratch_load_b32 v3, off, off offset:296
	scratch_load_b32 v4, off, off offset:308
	s_wait_loadcnt 0x0
	s_wait_kmcnt 0x0
	v_mad_u32_u24 v3, v3, s2, v4
	v_mov_b64_e32 v[4:5], 0
	s_mov_b32 s2, exec_lo
	s_delay_alu instid0(VALU_DEP_2) | instskip(SKIP_1) | instid1(VALU_DEP_1)
	v_and_b32_e32 v6, 31, v3
	s_wait_xcnt 0x0
	v_cmpx_gt_u32_e32 16, v6
	s_cbranch_execz .LBB128_129
; %bb.126:                              ;   in Loop: Header=BB128_86 Depth=1
	v_mov_b32_e32 v7, v2
	s_mov_b32 s13, exec_lo
	s_delay_alu instid0(VALU_DEP_1) | instskip(NEXT) | instid1(VALU_DEP_1)
	v_add_nc_u64_e32 v[4:5], v[70:71], v[6:7]
	v_add_nc_u64_e32 v[6:7], s[8:9], v[4:5]
	v_mov_b64_e32 v[4:5], 0
	s_delay_alu instid0(VALU_DEP_2)
	v_cmpx_gt_i64_e64 s[4:5], v[6:7]
	s_cbranch_execz .LBB128_128
; %bb.127:                              ;   in Loop: Header=BB128_86 Depth=1
	v_lshl_add_u64 v[4:5], v[6:7], 3, s[14:15]
	global_load_b64 v[4:5], v[4:5], off
.LBB128_128:                            ;   in Loop: Header=BB128_86 Depth=1
	s_wait_xcnt 0x0
	s_or_b32 exec_lo, exec_lo, s13
.LBB128_129:                            ;   in Loop: Header=BB128_86 Depth=1
	s_delay_alu instid0(SALU_CYCLE_1)
	s_or_b32 exec_lo, exec_lo, s2
	v_add_nc_u64_e32 v[6:7], v[100:101], v[98:99]
	v_add_nc_u64_e32 v[8:9], v[102:103], v[98:99]
	global_load_b64 v[6:7], v[6:7], off
	global_load_b64 v[8:9], v[8:9], off
	s_clause 0x1
	scratch_load_b64 v[10:11], off, off
	scratch_load_b64 v[12:13], off, off offset:8
	s_wait_loadcnt 0x2
	s_wait_xcnt 0x3
	v_mul_f64_e32 v[6:7], v[6:7], v[8:9]
	s_wait_loadcnt 0x1
	v_add_nc_u64_e32 v[10:11], v[10:11], v[98:99]
	s_wait_loadcnt 0x0
	v_add_nc_u64_e32 v[12:13], v[12:13], v[98:99]
	global_load_b64 v[10:11], v[10:11], off
	global_load_b64 v[12:13], v[12:13], off
	s_clause 0x1
	scratch_load_b64 v[14:15], off, off offset:16
	scratch_load_b64 v[16:17], off, off offset:32
	s_wait_loadcnt 0x2
	s_wait_xcnt 0x3
	v_mul_f64_e32 v[10:11], v[10:11], v[12:13]
	s_wait_loadcnt 0x1
	v_add_nc_u64_e32 v[14:15], v[14:15], v[98:99]
	s_wait_loadcnt 0x0
	v_add_nc_u64_e32 v[16:17], v[16:17], v[98:99]
	s_wait_xcnt 0x2
	ds_bpermute_b32 v12, v2, v4
	ds_bpermute_b32 v13, v2, v5
	global_load_b64 v[14:15], v[14:15], off
	global_load_b64 v[16:17], v[16:17], off
	s_clause 0x1
	scratch_load_b64 v[18:19], off, off offset:24
	scratch_load_b64 v[8:9], off, off offset:40
	s_wait_dscnt 0x0
	v_fmac_f64_e32 v[74:75], v[6:7], v[12:13]
	ds_bpermute_b32 v6, v2, v4 offset:4
	ds_bpermute_b32 v7, v2, v5 offset:4
	s_wait_dscnt 0x0
	v_fmac_f64_e32 v[74:75], v[10:11], v[6:7]
	s_wait_loadcnt 0x2
	s_wait_xcnt 0x3
	v_mul_f64_e32 v[14:15], v[14:15], v[16:17]
	s_wait_loadcnt 0x1
	v_add_nc_u64_e32 v[18:19], v[18:19], v[98:99]
	s_wait_loadcnt 0x0
	v_add_nc_u64_e32 v[8:9], v[8:9], v[98:99]
	global_load_b64 v[18:19], v[18:19], off
	global_load_b64 v[8:9], v[8:9], off
	s_clause 0x1
	scratch_load_b64 v[12:13], off, off offset:48
	scratch_load_b64 v[6:7], off, off offset:56
	s_wait_loadcnt 0x2
	s_wait_xcnt 0x2
	v_mul_f64_e32 v[8:9], v[18:19], v[8:9]
	s_wait_loadcnt 0x1
	v_add_nc_u64_e32 v[12:13], v[12:13], v[98:99]
	s_wait_loadcnt 0x0
	v_add_nc_u64_e32 v[6:7], v[6:7], v[98:99]
	global_load_b64 v[10:11], v[12:13], off
	global_load_b64 v[6:7], v[6:7], off
	s_wait_xcnt 0x1
	ds_bpermute_b32 v12, v2, v4 offset:8
	ds_bpermute_b32 v13, v2, v5 offset:8
	scratch_load_b64 v[16:17], off, off offset:64 ; 8-byte Folded Reload
	s_wait_dscnt 0x0
	v_fmac_f64_e32 v[74:75], v[14:15], v[12:13]
	scratch_load_b64 v[12:13], off, off offset:72 ; 8-byte Folded Reload
	s_wait_loadcnt 0x2
	s_wait_xcnt 0x2
	v_mul_f64_e32 v[6:7], v[10:11], v[6:7]
	ds_bpermute_b32 v10, v2, v4 offset:12
	ds_bpermute_b32 v11, v2, v5 offset:12
	s_wait_loadcnt 0x1
	v_add_nc_u64_e32 v[16:17], v[16:17], v[98:99]
	s_wait_dscnt 0x0
	v_fmac_f64_e32 v[74:75], v[8:9], v[10:11]
	s_wait_loadcnt 0x0
	v_add_nc_u64_e32 v[12:13], v[12:13], v[98:99]
	global_load_b64 v[14:15], v[16:17], off
	global_load_b64 v[12:13], v[12:13], off
	s_clause 0x1
	scratch_load_b64 v[16:17], off, off offset:80
	scratch_load_b64 v[18:19], off, off offset:88
	s_wait_loadcnt 0x2
	s_wait_xcnt 0x2
	v_mul_f64_e32 v[12:13], v[14:15], v[12:13]
	s_wait_loadcnt 0x1
	v_add_nc_u64_e32 v[16:17], v[16:17], v[98:99]
	s_wait_loadcnt 0x0
	v_add_nc_u64_e32 v[18:19], v[18:19], v[98:99]
	ds_bpermute_b32 v14, v2, v4 offset:16
	global_load_b64 v[16:17], v[16:17], off
	global_load_b64 v[18:19], v[18:19], off
	s_clause 0x1
	scratch_load_b64 v[8:9], off, off offset:96
	scratch_load_b64 v[10:11], off, off offset:104
	ds_bpermute_b32 v15, v2, v5 offset:16
	s_wait_dscnt 0x0
	v_fmac_f64_e32 v[74:75], v[6:7], v[14:15]
	ds_bpermute_b32 v6, v2, v4 offset:20
	ds_bpermute_b32 v7, v2, v5 offset:20
	s_wait_dscnt 0x0
	v_fmac_f64_e32 v[74:75], v[12:13], v[6:7]
	s_wait_loadcnt 0x2
	s_wait_xcnt 0x3
	v_mul_f64_e32 v[16:17], v[16:17], v[18:19]
	s_wait_loadcnt 0x1
	v_add_nc_u64_e32 v[8:9], v[8:9], v[98:99]
	s_wait_loadcnt 0x0
	v_add_nc_u64_e32 v[10:11], v[10:11], v[98:99]
	global_load_b64 v[8:9], v[8:9], off
	global_load_b64 v[10:11], v[10:11], off
	s_clause 0x1
	scratch_load_b64 v[14:15], off, off offset:112
	scratch_load_b64 v[6:7], off, off offset:120
	s_wait_loadcnt 0x2
	s_wait_xcnt 0x3
	v_mul_f64_e32 v[8:9], v[8:9], v[10:11]
	s_wait_loadcnt 0x1
	v_add_nc_u64_e32 v[14:15], v[14:15], v[98:99]
	s_wait_loadcnt 0x0
	v_add_nc_u64_e32 v[6:7], v[6:7], v[98:99]
	global_load_b64 v[12:13], v[14:15], off
	global_load_b64 v[6:7], v[6:7], off
	s_clause 0x1
	scratch_load_b64 v[14:15], off, off offset:128
	scratch_load_b64 v[18:19], off, off offset:136
	ds_bpermute_b32 v10, v2, v4 offset:24
	ds_bpermute_b32 v11, v2, v5 offset:24
	s_wait_dscnt 0x0
	v_fmac_f64_e32 v[74:75], v[16:17], v[10:11]
	ds_bpermute_b32 v10, v2, v4 offset:28
	ds_bpermute_b32 v11, v2, v5 offset:28
	s_wait_dscnt 0x0
	v_fmac_f64_e32 v[74:75], v[8:9], v[10:11]
	s_wait_loadcnt 0x2
	s_wait_xcnt 0x2
	v_mul_f64_e32 v[6:7], v[12:13], v[6:7]
	s_wait_loadcnt 0x1
	v_add_nc_u64_e32 v[14:15], v[14:15], v[98:99]
	s_wait_loadcnt 0x0
	v_add_nc_u64_e32 v[18:19], v[18:19], v[98:99]
	global_load_b64 v[14:15], v[14:15], off
	global_load_b64 v[18:19], v[18:19], off
	s_clause 0x1
	scratch_load_b64 v[16:17], off, off offset:144
	scratch_load_b64 v[8:9], off, off offset:152
	ds_bpermute_b32 v12, v2, v4 offset:32
	ds_bpermute_b32 v13, v2, v5 offset:32
	s_wait_dscnt 0x0
	v_fmac_f64_e32 v[74:75], v[6:7], v[12:13]
	s_wait_loadcnt 0x2
	s_wait_xcnt 0x3
	v_mul_f64_e32 v[14:15], v[14:15], v[18:19]
	s_wait_loadcnt 0x1
	v_add_nc_u64_e32 v[16:17], v[16:17], v[98:99]
	s_wait_loadcnt 0x0
	v_add_nc_u64_e32 v[8:9], v[8:9], v[98:99]
	global_load_b64 v[10:11], v[16:17], off
	global_load_b64 v[8:9], v[8:9], off
	s_clause 0x1
	scratch_load_b64 v[16:17], off, off offset:160
	scratch_load_b64 v[6:7], off, off offset:168
	s_wait_loadcnt 0x2
	s_wait_xcnt 0x2
	v_mul_f64_e32 v[8:9], v[10:11], v[8:9]
	s_wait_loadcnt 0x1
	v_add_nc_u64_e32 v[16:17], v[16:17], v[98:99]
	s_wait_loadcnt 0x0
	v_add_nc_u64_e32 v[6:7], v[6:7], v[98:99]
	global_load_b64 v[12:13], v[16:17], off
	global_load_b64 v[6:7], v[6:7], off
	s_clause 0x1
	scratch_load_b64 v[16:17], off, off offset:176
	scratch_load_b64 v[18:19], off, off offset:184
	ds_bpermute_b32 v10, v2, v4 offset:36
	ds_bpermute_b32 v11, v2, v5 offset:36
	s_wait_dscnt 0x0
	v_fmac_f64_e32 v[74:75], v[14:15], v[10:11]
	s_wait_loadcnt 0x2
	s_wait_xcnt 0x2
	v_mul_f64_e32 v[6:7], v[12:13], v[6:7]
	s_wait_loadcnt 0x1
	v_add_nc_u64_e32 v[16:17], v[16:17], v[98:99]
	s_wait_loadcnt 0x0
	v_add_nc_u64_e32 v[18:19], v[18:19], v[98:99]
	global_load_b64 v[16:17], v[16:17], off
	global_load_b64 v[18:19], v[18:19], off
	s_clause 0x1
	scratch_load_b64 v[10:11], off, off offset:192
	scratch_load_b64 v[14:15], off, off offset:200
	ds_bpermute_b32 v12, v2, v4 offset:40
	ds_bpermute_b32 v13, v2, v5 offset:40
	s_wait_dscnt 0x0
	v_fmac_f64_e32 v[74:75], v[8:9], v[12:13]
	ds_bpermute_b32 v8, v2, v4 offset:44
	ds_bpermute_b32 v9, v2, v5 offset:44
	s_wait_dscnt 0x0
	v_fmac_f64_e32 v[74:75], v[6:7], v[8:9]
	s_wait_loadcnt 0x2
	s_wait_xcnt 0x3
	v_mul_f64_e32 v[16:17], v[16:17], v[18:19]
	s_wait_loadcnt 0x1
	v_add_nc_u64_e32 v[10:11], v[10:11], v[98:99]
	s_wait_loadcnt 0x0
	v_add_nc_u64_e32 v[14:15], v[14:15], v[98:99]
	global_load_b64 v[10:11], v[10:11], off
	global_load_b64 v[14:15], v[14:15], off
	s_clause 0x1
	scratch_load_b64 v[12:13], off, off offset:208
	scratch_load_b64 v[6:7], off, off offset:216
	s_wait_xcnt 0x6
	v_add_nc_u64_e32 v[18:19], v[96:97], v[98:99]
	s_wait_loadcnt 0x2
	s_wait_xcnt 0x3
	v_mul_f64_e32 v[10:11], v[10:11], v[14:15]
	s_wait_loadcnt 0x1
	v_add_nc_u64_e32 v[12:13], v[12:13], v[98:99]
	s_wait_loadcnt 0x0
	v_add_nc_u64_e32 v[6:7], v[6:7], v[98:99]
	global_load_b64 v[8:9], v[12:13], off
	global_load_b64 v[6:7], v[6:7], off
	scratch_load_b64 v[12:13], off, off offset:224 ; 8-byte Folded Reload
	ds_bpermute_b32 v14, v2, v4 offset:48
	ds_bpermute_b32 v15, v2, v5 offset:48
	s_wait_dscnt 0x0
	v_fmac_f64_e32 v[74:75], v[16:17], v[14:15]
	ds_bpermute_b32 v14, v2, v4 offset:52
	ds_bpermute_b32 v15, v2, v5 offset:52
	s_wait_dscnt 0x0
	v_fmac_f64_e32 v[74:75], v[10:11], v[14:15]
	s_wait_loadcnt 0x1
	s_wait_xcnt 0x1
	v_mul_f64_e32 v[6:7], v[8:9], v[6:7]
	s_wait_loadcnt 0x0
	v_add_nc_u64_e32 v[12:13], v[12:13], v[98:99]
	global_load_b64 v[12:13], v[12:13], off
	global_load_b64 v[18:19], v[18:19], off
	ds_bpermute_b32 v8, v2, v4 offset:56
	ds_bpermute_b32 v9, v2, v5 offset:56
	;; [unrolled: 1-line block ×4, first 2 shown]
	s_wait_dscnt 0x2
	v_fmac_f64_e32 v[74:75], v[6:7], v[8:9]
	s_wait_loadcnt 0x0
	v_mul_f64_e32 v[6:7], v[12:13], v[18:19]
	s_wait_dscnt 0x0
	s_delay_alu instid0(VALU_DEP_1) | instskip(NEXT) | instid1(VALU_DEP_1)
	v_fmac_f64_e32 v[74:75], v[6:7], v[4:5]
	v_mov_b64_e32 v[68:69], v[74:75]
.LBB128_130:                            ;   in Loop: Header=BB128_86 Depth=1
	scratch_load_b64 v[4:5], off, off       ; 8-byte Folded Reload
	s_add_nc_u64 s[16:17], s[16:17], s[18:19]
	v_add_nc_u64_e32 v[100:101], s[22:23], v[100:101]
	v_cmp_ge_i64_e64 s2, s[16:17], s[4:5]
	v_add_nc_u64_e32 v[102:103], s[22:23], v[102:103]
	v_add_nc_u64_e32 v[96:97], s[22:23], v[96:97]
	;; [unrolled: 1-line block ×32, first 2 shown]
	s_and_b32 vcc_lo, exec_lo, s2
	s_add_nc_u64 s[24:25], s[24:25], s[18:19]
	s_wait_loadcnt 0x0
	v_add_nc_u64_e32 v[4:5], s[22:23], v[4:5]
	s_clause 0x1
	scratch_store_b64 off, v[4:5], off
	scratch_load_b64 v[4:5], off, off offset:16
	s_wait_loadcnt 0x0
	v_add_nc_u64_e32 v[4:5], s[22:23], v[4:5]
	s_clause 0x1
	scratch_store_b64 off, v[4:5], off offset:16
	scratch_load_b64 v[4:5], off, off offset:24
	s_wait_loadcnt 0x0
	v_add_nc_u64_e32 v[4:5], s[22:23], v[4:5]
	s_clause 0x1
	scratch_store_b64 off, v[4:5], off offset:24
	;; [unrolled: 5-line block ×27, first 2 shown]
	scratch_load_b64 v[4:5], off, off offset:216
	s_wait_loadcnt 0x0
	v_add_nc_u64_e32 v[4:5], s[22:23], v[4:5]
	scratch_store_b64 off, v[4:5], off offset:216 ; 8-byte Folded Spill
	s_cbranch_vccnz .LBB128_132
; %bb.131:                              ;   in Loop: Header=BB128_86 Depth=1
	v_mov_b64_e32 v[74:75], v[68:69]
	s_branch .LBB128_86
.LBB128_132:
	scratch_load_b32 v0, off, off offset:312 ; 4-byte Folded Reload
.LBB128_133:
	s_wait_loadcnt 0x0
	v_and_b32_e32 v6, 0x3ff, v0
	v_bfe_u32 v0, v0, 10, 10
	v_mov_b64_e32 v[2:3], 0
	s_mov_b32 s2, exec_lo
	s_delay_alu instid0(VALU_DEP_2) | instskip(SKIP_1) | instid1(VALU_DEP_1)
	v_mad_u32_u24 v1, 0x41, v0, v6
	s_wait_xcnt 0x1
	v_lshl_add_u32 v4, v1, 3, 0
	v_sub_nc_u32_e32 v1, v1, v0
	ds_store_b64 v4, v[68:69]
	ds_store_b64 v4, v[2:3] offset:8320
	s_wait_storecnt_dscnt 0x0
	s_barrier_signal -1
	s_barrier_wait -1
	s_wait_xcnt 0x0
	v_cmpx_gt_u32_e32 0x800, v1
	s_cbranch_execz .LBB128_143
; %bb.134:
	s_load_b64 s[2:3], s[0:1], 0x30
	v_dual_lshrrev_b32 v0, 5, v1 :: v_dual_bitop2_b32 v2, 31, v6 bitop3:0x40
	s_delay_alu instid0(VALU_DEP_1)
	v_cmp_gt_u32_e32 vcc_lo, 16, v2
	v_mul_u32_u24_e32 v7, 0x41, v2
                                        ; implicit-def: $vgpr2_vgpr3
	s_wait_xcnt 0x0
	s_and_saveexec_b32 s0, vcc_lo
; %bb.135:
	s_delay_alu instid0(VALU_DEP_1) | instskip(NEXT) | instid1(VALU_DEP_1)
	v_dual_lshlrev_b32 v2, 3, v0 :: v_dual_lshlrev_b32 v3, 3, v7
	v_add3_u32 v2, 0, v2, v3
	ds_load_b64 v[2:3], v2
; %bb.136:
	s_or_b32 exec_lo, exec_lo, s0
	v_mbcnt_lo_u32_b32 v11, -1, 0
	s_mov_b32 s13, 0
	s_delay_alu instid0(SALU_CYCLE_1) | instskip(SKIP_4) | instid1(VALU_DEP_1)
	s_lshl_b64 s[4:5], s[12:13], 6
	s_wait_kmcnt 0x0
	s_cmp_eq_u64 s[2:3], 0
	v_xor_b32_e32 v4, 8, v11
	s_cselect_b32 s8, -1, 0
	v_cmp_gt_i32_e64 s0, 32, v4
	s_delay_alu instid0(VALU_DEP_1) | instskip(NEXT) | instid1(VALU_DEP_1)
	v_cndmask_b32_e64 v4, v11, v4, s0
	v_lshlrev_b32_e32 v8, 2, v4
	s_wait_dscnt 0x0
	ds_bpermute_b32 v4, v8, v2
	ds_bpermute_b32 v5, v8, v3
	s_wait_dscnt 0x0
	v_dual_add_f64 v[2:3], v[2:3], v[4:5] :: v_dual_bitop2_b32 v4, 4, v11 bitop3:0x14
	s_delay_alu instid0(VALU_DEP_1) | instskip(NEXT) | instid1(VALU_DEP_1)
	v_cmp_gt_i32_e64 s0, 32, v4
	v_cndmask_b32_e64 v4, v11, v4, s0
	s_delay_alu instid0(VALU_DEP_1) | instskip(SKIP_4) | instid1(VALU_DEP_1)
	v_lshlrev_b32_e32 v9, 2, v4
	ds_bpermute_b32 v4, v9, v2
	ds_bpermute_b32 v5, v9, v3
	s_wait_dscnt 0x0
	v_dual_add_f64 v[2:3], v[2:3], v[4:5] :: v_dual_bitop2_b32 v4, 2, v11 bitop3:0x14
	v_cmp_gt_i32_e64 s0, 32, v4
	s_delay_alu instid0(VALU_DEP_1) | instskip(NEXT) | instid1(VALU_DEP_1)
	v_cndmask_b32_e64 v4, v11, v4, s0
	v_lshlrev_b32_e32 v10, 2, v4
	ds_bpermute_b32 v4, v10, v2
	ds_bpermute_b32 v5, v10, v3
	s_wait_dscnt 0x0
	v_dual_add_f64 v[2:3], v[2:3], v[4:5] :: v_dual_bitop2_b32 v4, 1, v11 bitop3:0x14
	s_delay_alu instid0(VALU_DEP_1) | instskip(NEXT) | instid1(VALU_DEP_1)
	v_cmp_gt_i32_e64 s0, 32, v4
	v_cndmask_b32_e64 v4, v11, v4, s0
	v_cmp_ne_u32_e64 s0, 0, v6
	s_delay_alu instid0(VALU_DEP_2)
	v_lshlrev_b32_e32 v11, 2, v4
	ds_bpermute_b32 v4, v11, v2
	ds_bpermute_b32 v5, v11, v3
	s_wait_dscnt 0x0
	v_add_f64_e32 v[2:3], v[2:3], v[4:5]
	v_dual_mov_b32 v5, s5 :: v_dual_bitop2_b32 v4, s4, v0 bitop3:0x54
	s_delay_alu instid0(VALU_DEP_1) | instskip(SKIP_1) | instid1(SALU_CYCLE_1)
	v_cmp_le_i64_e64 s1, s[6:7], v[4:5]
	s_or_b32 s1, s0, s1
	s_nor_b32 s9, s8, s1
	s_delay_alu instid0(SALU_CYCLE_1)
	s_and_saveexec_b32 s1, s9
	s_cbranch_execz .LBB128_138
; %bb.137:
	v_lshl_add_u64 v[4:5], v[4:5], 3, s[2:3]
	global_store_b64 v[4:5], v[2:3], off
.LBB128_138:
	s_wait_xcnt 0x0
	s_or_b32 exec_lo, exec_lo, s1
	v_cmp_gt_u32_e64 s1, 0x400, v1
	s_and_b32 exec_lo, exec_lo, s1
	s_cbranch_execz .LBB128_143
; %bb.139:
	s_and_saveexec_b32 s1, vcc_lo
; %bb.140:
	v_dual_lshlrev_b32 v1, 3, v0 :: v_dual_lshlrev_b32 v2, 3, v7
	s_delay_alu instid0(VALU_DEP_1)
	v_add3_u32 v1, 0, v1, v2
	ds_load_b64 v[2:3], v1 offset:256
; %bb.141:
	s_or_b32 exec_lo, exec_lo, s1
	s_wait_dscnt 0x0
	ds_bpermute_b32 v4, v8, v2
	ds_bpermute_b32 v5, v8, v3
	v_dual_add_nc_u32 v1, 32, v0 :: v_dual_mov_b32 v7, s5
	s_delay_alu instid0(VALU_DEP_1) | instskip(NEXT) | instid1(VALU_DEP_1)
	v_or_b32_e32 v6, s4, v1
	v_cmp_le_i64_e32 vcc_lo, s[6:7], v[6:7]
	s_or_b32 s0, s0, vcc_lo
	s_wait_dscnt 0x0
	v_add_f64_e32 v[2:3], v[2:3], v[4:5]
	s_nor_b32 s0, s8, s0
	ds_bpermute_b32 v4, v9, v2
	ds_bpermute_b32 v5, v9, v3
	s_wait_dscnt 0x0
	v_add_f64_e32 v[2:3], v[2:3], v[4:5]
	ds_bpermute_b32 v4, v10, v2
	ds_bpermute_b32 v5, v10, v3
	s_wait_dscnt 0x0
	v_add_f64_e32 v[2:3], v[2:3], v[4:5]
	ds_bpermute_b32 v4, v11, v2
	ds_bpermute_b32 v5, v11, v3
	s_and_saveexec_b32 s1, s0
	s_delay_alu instid0(SALU_CYCLE_1)
	s_xor_b32 s1, exec_lo, s1
	s_cbranch_execz .LBB128_143
; %bb.142:
	s_wait_dscnt 0x0
	v_dual_add_f64 v[2:3], v[2:3], v[4:5] :: v_dual_mov_b32 v1, 0
	s_delay_alu instid0(VALU_DEP_1) | instskip(NEXT) | instid1(VALU_DEP_1)
	v_add_nc_u64_e32 v[0:1], s[4:5], v[0:1]
	v_lshl_add_u64 v[0:1], v[0:1], 3, s[2:3]
	global_store_b64 v[0:1], v[2:3], off offset:256
.LBB128_143:
	s_sendmsg sendmsg(MSG_DEALLOC_VGPRS)
	s_endpgm
	.section	.rodata,"a",@progbits
	.p2align	6, 0x0
	.amdhsa_kernel _ZN2at6native12_GLOBAL__N_135GammaBetaBackwardCUDAKernelTemplateIddLj64ELj16ELj256ELb0ELb0ELb1EEEvllPKT_S5_PKT0_S8_PS3_S9_
		.amdhsa_group_segment_fixed_size 0
		.amdhsa_private_segment_fixed_size 320
		.amdhsa_kernarg_size 320
		.amdhsa_user_sgpr_count 2
		.amdhsa_user_sgpr_dispatch_ptr 0
		.amdhsa_user_sgpr_queue_ptr 0
		.amdhsa_user_sgpr_kernarg_segment_ptr 1
		.amdhsa_user_sgpr_dispatch_id 0
		.amdhsa_user_sgpr_kernarg_preload_length 0
		.amdhsa_user_sgpr_kernarg_preload_offset 0
		.amdhsa_user_sgpr_private_segment_size 0
		.amdhsa_wavefront_size32 1
		.amdhsa_uses_dynamic_stack 0
		.amdhsa_enable_private_segment 1
		.amdhsa_system_sgpr_workgroup_id_x 1
		.amdhsa_system_sgpr_workgroup_id_y 1
		.amdhsa_system_sgpr_workgroup_id_z 0
		.amdhsa_system_sgpr_workgroup_info 0
		.amdhsa_system_vgpr_workitem_id 1
		.amdhsa_next_free_vgpr 128
		.amdhsa_next_free_sgpr 66
		.amdhsa_named_barrier_count 0
		.amdhsa_reserve_vcc 1
		.amdhsa_float_round_mode_32 0
		.amdhsa_float_round_mode_16_64 0
		.amdhsa_float_denorm_mode_32 3
		.amdhsa_float_denorm_mode_16_64 3
		.amdhsa_fp16_overflow 0
		.amdhsa_memory_ordered 1
		.amdhsa_forward_progress 1
		.amdhsa_inst_pref_size 106
		.amdhsa_round_robin_scheduling 0
		.amdhsa_exception_fp_ieee_invalid_op 0
		.amdhsa_exception_fp_denorm_src 0
		.amdhsa_exception_fp_ieee_div_zero 0
		.amdhsa_exception_fp_ieee_overflow 0
		.amdhsa_exception_fp_ieee_underflow 0
		.amdhsa_exception_fp_ieee_inexact 0
		.amdhsa_exception_int_div_zero 0
	.end_amdhsa_kernel
	.section	.text._ZN2at6native12_GLOBAL__N_135GammaBetaBackwardCUDAKernelTemplateIddLj64ELj16ELj256ELb0ELb0ELb1EEEvllPKT_S5_PKT0_S8_PS3_S9_,"axG",@progbits,_ZN2at6native12_GLOBAL__N_135GammaBetaBackwardCUDAKernelTemplateIddLj64ELj16ELj256ELb0ELb0ELb1EEEvllPKT_S5_PKT0_S8_PS3_S9_,comdat
.Lfunc_end128:
	.size	_ZN2at6native12_GLOBAL__N_135GammaBetaBackwardCUDAKernelTemplateIddLj64ELj16ELj256ELb0ELb0ELb1EEEvllPKT_S5_PKT0_S8_PS3_S9_, .Lfunc_end128-_ZN2at6native12_GLOBAL__N_135GammaBetaBackwardCUDAKernelTemplateIddLj64ELj16ELj256ELb0ELb0ELb1EEEvllPKT_S5_PKT0_S8_PS3_S9_
                                        ; -- End function
	.set _ZN2at6native12_GLOBAL__N_135GammaBetaBackwardCUDAKernelTemplateIddLj64ELj16ELj256ELb0ELb0ELb1EEEvllPKT_S5_PKT0_S8_PS3_S9_.num_vgpr, 128
	.set _ZN2at6native12_GLOBAL__N_135GammaBetaBackwardCUDAKernelTemplateIddLj64ELj16ELj256ELb0ELb0ELb1EEEvllPKT_S5_PKT0_S8_PS3_S9_.num_agpr, 0
	.set _ZN2at6native12_GLOBAL__N_135GammaBetaBackwardCUDAKernelTemplateIddLj64ELj16ELj256ELb0ELb0ELb1EEEvllPKT_S5_PKT0_S8_PS3_S9_.numbered_sgpr, 66
	.set _ZN2at6native12_GLOBAL__N_135GammaBetaBackwardCUDAKernelTemplateIddLj64ELj16ELj256ELb0ELb0ELb1EEEvllPKT_S5_PKT0_S8_PS3_S9_.num_named_barrier, 0
	.set _ZN2at6native12_GLOBAL__N_135GammaBetaBackwardCUDAKernelTemplateIddLj64ELj16ELj256ELb0ELb0ELb1EEEvllPKT_S5_PKT0_S8_PS3_S9_.private_seg_size, 320
	.set _ZN2at6native12_GLOBAL__N_135GammaBetaBackwardCUDAKernelTemplateIddLj64ELj16ELj256ELb0ELb0ELb1EEEvllPKT_S5_PKT0_S8_PS3_S9_.uses_vcc, 1
	.set _ZN2at6native12_GLOBAL__N_135GammaBetaBackwardCUDAKernelTemplateIddLj64ELj16ELj256ELb0ELb0ELb1EEEvllPKT_S5_PKT0_S8_PS3_S9_.uses_flat_scratch, 1
	.set _ZN2at6native12_GLOBAL__N_135GammaBetaBackwardCUDAKernelTemplateIddLj64ELj16ELj256ELb0ELb0ELb1EEEvllPKT_S5_PKT0_S8_PS3_S9_.has_dyn_sized_stack, 0
	.set _ZN2at6native12_GLOBAL__N_135GammaBetaBackwardCUDAKernelTemplateIddLj64ELj16ELj256ELb0ELb0ELb1EEEvllPKT_S5_PKT0_S8_PS3_S9_.has_recursion, 0
	.set _ZN2at6native12_GLOBAL__N_135GammaBetaBackwardCUDAKernelTemplateIddLj64ELj16ELj256ELb0ELb0ELb1EEEvllPKT_S5_PKT0_S8_PS3_S9_.has_indirect_call, 0
	.section	.AMDGPU.csdata,"",@progbits
; Kernel info:
; codeLenInByte = 13480
; TotalNumSgprs: 68
; NumVgprs: 128
; ScratchSize: 320
; MemoryBound: 0
; FloatMode: 240
; IeeeMode: 1
; LDSByteSize: 0 bytes/workgroup (compile time only)
; SGPRBlocks: 0
; VGPRBlocks: 7
; NumSGPRsForWavesPerEU: 68
; NumVGPRsForWavesPerEU: 128
; NamedBarCnt: 0
; Occupancy: 8
; WaveLimiterHint : 0
; COMPUTE_PGM_RSRC2:SCRATCH_EN: 1
; COMPUTE_PGM_RSRC2:USER_SGPR: 2
; COMPUTE_PGM_RSRC2:TRAP_HANDLER: 0
; COMPUTE_PGM_RSRC2:TGID_X_EN: 1
; COMPUTE_PGM_RSRC2:TGID_Y_EN: 1
; COMPUTE_PGM_RSRC2:TGID_Z_EN: 0
; COMPUTE_PGM_RSRC2:TIDIG_COMP_CNT: 1
	.section	.text._ZN2at6native12_GLOBAL__N_135GammaBetaBackwardCUDAKernelTemplateIddLj32ELj1ELj32ELb1ELb1ELb1EEEvllPKT_S5_PKT0_S8_PS3_S9_,"axG",@progbits,_ZN2at6native12_GLOBAL__N_135GammaBetaBackwardCUDAKernelTemplateIddLj32ELj1ELj32ELb1ELb1ELb1EEEvllPKT_S5_PKT0_S8_PS3_S9_,comdat
	.globl	_ZN2at6native12_GLOBAL__N_135GammaBetaBackwardCUDAKernelTemplateIddLj32ELj1ELj32ELb1ELb1ELb1EEEvllPKT_S5_PKT0_S8_PS3_S9_ ; -- Begin function _ZN2at6native12_GLOBAL__N_135GammaBetaBackwardCUDAKernelTemplateIddLj32ELj1ELj32ELb1ELb1ELb1EEEvllPKT_S5_PKT0_S8_PS3_S9_
	.p2align	8
	.type	_ZN2at6native12_GLOBAL__N_135GammaBetaBackwardCUDAKernelTemplateIddLj32ELj1ELj32ELb1ELb1ELb1EEEvllPKT_S5_PKT0_S8_PS3_S9_,@function
_ZN2at6native12_GLOBAL__N_135GammaBetaBackwardCUDAKernelTemplateIddLj32ELj1ELj32ELb1ELb1ELb1EEEvllPKT_S5_PKT0_S8_PS3_S9_: ; @_ZN2at6native12_GLOBAL__N_135GammaBetaBackwardCUDAKernelTemplateIddLj32ELj1ELj32ELb1ELb1ELb1EEEvllPKT_S5_PKT0_S8_PS3_S9_
; %bb.0:
	s_load_b128 s[4:7], s[0:1], 0x0
	s_bfe_u32 s2, ttmp6, 0x40010
	s_bfe_u32 s3, ttmp6, 0x40004
	s_add_co_i32 s2, s2, 1
	s_getreg_b32 s20, hwreg(HW_REG_IB_STS2, 6, 4)
	s_mul_i32 s2, ttmp7, s2
	v_mov_b64_e32 v[4:5], 0
	s_add_co_i32 s3, s3, s2
	s_cmp_eq_u32 s20, 0
	v_bfe_u32 v2, v0, 10, 10
	s_cselect_b32 s21, ttmp7, s3
	s_mov_b32 s3, 0
	s_lshl_b32 s2, s21, 5
	v_and_b32_e32 v14, 0x3ff, v0
	s_wait_kmcnt 0x0
	v_cmp_le_i64_e64 s8, s[4:5], s[2:3]
	s_and_b32 vcc_lo, exec_lo, s8
	s_cbranch_vccnz .LBB129_5
; %bb.1:
	v_dual_mov_b32 v1, 0 :: v_dual_lshlrev_b32 v0, 5, v2
	s_clause 0x3
	s_load_b32 s12, s[0:1], 0x4c
	s_load_b32 s13, s[0:1], 0x44
	s_load_b128 s[8:11], s[0:1], 0x10
	s_load_b64 s[14:15], s[0:1], 0x28
	s_bfe_u32 s17, ttmp6, 0x4000c
	s_and_b32 s16, ttmp6, 15
	s_add_co_i32 s17, s17, 1
	v_add_nc_u64_e32 v[4:5], s[2:3], v[0:1]
	s_mul_i32 s17, ttmp9, s17
	v_dual_mov_b32 v20, 28 :: v_dual_mov_b32 v7, v1
	s_add_co_i32 s16, s16, s17
	v_dual_mov_b32 v3, 4 :: v_dual_mov_b32 v15, 8
	s_delay_alu instid0(VALU_DEP_3)
	v_mul_u64_e32 v[8:9], s[6:7], v[4:5]
	v_dual_mov_b32 v16, 12 :: v_dual_mov_b32 v17, 16
	v_dual_mov_b32 v18, 20 :: v_dual_mov_b32 v19, 24
	;; [unrolled: 1-line block ×3, first 2 shown]
	s_wait_kmcnt 0x0
	s_and_b32 s12, s12, 0xffff
	s_cmp_eq_u32 s20, 0
	v_mad_u32_u24 v0, v2, s12, v14
	s_cselect_b32 s12, ttmp9, s16
	v_mov_b32_e32 v11, v1
	v_lshl_or_b32 v10, s12, 5, v14
	s_lshl_b32 s12, s13, 5
	v_and_b32_e32 v6, 31, v0
	s_mov_b32 s13, s3
	v_dual_mov_b32 v0, 32 :: v_dual_mov_b32 v21, 36
	v_lshlrev_b64_e32 v[10:11], 3, v[10:11]
	s_delay_alu instid0(VALU_DEP_3)
	v_add_nc_u64_e32 v[6:7], v[4:5], v[6:7]
	v_mov_b64_e32 v[4:5], 0
	v_dual_mov_b32 v24, 48 :: v_dual_mov_b32 v25, 52
	v_dual_mov_b32 v26, 56 :: v_dual_mov_b32 v27, 60
	;; [unrolled: 1-line block ×3, first 2 shown]
	v_mov_b32_e32 v30, 0x48
	v_mov_b32_e32 v31, 0x4c
	v_mov_b32_e32 v32, 0x50
	v_mov_b32_e32 v33, 0x54
	v_mov_b32_e32 v34, 0x58
	v_mov_b32_e32 v35, 0x5c
	v_mov_b32_e32 v36, 0x60
	v_mov_b32_e32 v37, 0x64
	v_mov_b32_e32 v38, 0x68
	v_mov_b32_e32 v39, 0x6c
	v_mov_b32_e32 v40, 0x70
	v_mov_b32_e32 v41, 0x74
	v_mov_b32_e32 v42, 0x78
	v_mov_b32_e32 v43, 0x7c
	v_lshl_add_u64 v[8:9], v[8:9], 3, v[10:11]
	v_lshl_add_u64 v[10:11], v[6:7], 3, s[14:15]
	s_mul_u64 s[16:17], s[6:7], s[12:13]
	s_lshl_b64 s[18:19], s[6:7], 3
	s_lshl_b64 s[14:15], s[16:17], 3
	;; [unrolled: 1-line block ×3, first 2 shown]
	s_branch .LBB129_3
.LBB129_2:                              ;   in Loop: Header=BB129_3 Depth=1
	s_wait_xcnt 0x0
	s_or_b32 exec_lo, exec_lo, s22
	v_add_nc_u64_e32 v[44:45], s[8:9], v[8:9]
	v_add_nc_u64_e32 v[46:47], s[10:11], v[8:9]
	s_wait_loadcnt 0x0
	ds_bpermute_b32 v58, v1, v12
	ds_bpermute_b32 v59, v1, v13
	s_add_nc_u64 s[2:3], s[2:3], s[12:13]
	v_add_nc_u64_e32 v[8:9], s[14:15], v[8:9]
	v_cmp_lt_i64_e64 s22, s[2:3], s[4:5]
	global_load_b64 v[48:49], v[44:45], off
	global_load_b64 v[50:51], v[46:47], off
	s_wait_xcnt 0x1
	v_add_nc_u64_e32 v[44:45], s[18:19], v[44:45]
	s_wait_xcnt 0x0
	v_add_nc_u64_e32 v[46:47], s[18:19], v[46:47]
	v_add_nc_u64_e32 v[10:11], s[16:17], v[10:11]
	;; [unrolled: 1-line block ×3, first 2 shown]
	global_load_b64 v[52:53], v[44:45], off
	global_load_b64 v[54:55], v[46:47], off
	s_wait_xcnt 0x1
	v_add_nc_u64_e32 v[44:45], s[18:19], v[44:45]
	s_wait_xcnt 0x0
	v_add_nc_u64_e32 v[46:47], s[18:19], v[46:47]
	s_and_b32 vcc_lo, exec_lo, s22
	s_wait_loadcnt 0x2
	v_mul_f64_e32 v[48:49], v[48:49], v[50:51]
	global_load_b64 v[50:51], v[44:45], off
	global_load_b64 v[56:57], v[46:47], off
	s_wait_xcnt 0x1
	v_add_nc_u64_e32 v[44:45], s[18:19], v[44:45]
	s_wait_xcnt 0x0
	v_add_nc_u64_e32 v[46:47], s[18:19], v[46:47]
	s_wait_loadcnt 0x2
	v_mul_f64_e32 v[52:53], v[52:53], v[54:55]
	ds_bpermute_b32 v54, v3, v12
	ds_bpermute_b32 v55, v3, v13
	s_wait_dscnt 0x2
	v_fmac_f64_e32 v[4:5], v[48:49], v[58:59]
	global_load_b64 v[48:49], v[44:45], off
	global_load_b64 v[58:59], v[46:47], off
	s_wait_xcnt 0x1
	v_add_nc_u64_e32 v[44:45], s[18:19], v[44:45]
	s_wait_xcnt 0x0
	v_add_nc_u64_e32 v[46:47], s[18:19], v[46:47]
	s_wait_dscnt 0x0
	v_fmac_f64_e32 v[4:5], v[52:53], v[54:55]
	global_load_b64 v[52:53], v[44:45], off
	global_load_b64 v[54:55], v[46:47], off
	s_wait_xcnt 0x1
	v_add_nc_u64_e32 v[44:45], s[18:19], v[44:45]
	s_wait_xcnt 0x0
	v_add_nc_u64_e32 v[46:47], s[18:19], v[46:47]
	s_wait_loadcnt 0x4
	v_mul_f64_e32 v[50:51], v[50:51], v[56:57]
	ds_bpermute_b32 v56, v15, v12
	ds_bpermute_b32 v57, v15, v13
	s_wait_loadcnt 0x2
	v_mul_f64_e32 v[48:49], v[48:49], v[58:59]
	s_wait_dscnt 0x0
	v_fmac_f64_e32 v[4:5], v[50:51], v[56:57]
	global_load_b64 v[50:51], v[44:45], off
	global_load_b64 v[56:57], v[46:47], off
	ds_bpermute_b32 v58, v16, v12
	ds_bpermute_b32 v59, v16, v13
	s_wait_xcnt 0x1
	v_add_nc_u64_e32 v[44:45], s[18:19], v[44:45]
	s_wait_xcnt 0x0
	v_add_nc_u64_e32 v[46:47], s[18:19], v[46:47]
	s_wait_loadcnt 0x2
	v_mul_f64_e32 v[52:53], v[52:53], v[54:55]
	s_wait_dscnt 0x0
	v_fmac_f64_e32 v[4:5], v[48:49], v[58:59]
	global_load_b64 v[48:49], v[44:45], off
	global_load_b64 v[58:59], v[46:47], off
	ds_bpermute_b32 v54, v17, v12
	ds_bpermute_b32 v55, v17, v13
	s_wait_xcnt 0x1
	v_add_nc_u64_e32 v[44:45], s[18:19], v[44:45]
	s_wait_xcnt 0x0
	v_add_nc_u64_e32 v[46:47], s[18:19], v[46:47]
	s_wait_dscnt 0x0
	v_fmac_f64_e32 v[4:5], v[52:53], v[54:55]
	global_load_b64 v[52:53], v[44:45], off
	global_load_b64 v[54:55], v[46:47], off
	s_wait_xcnt 0x1
	v_add_nc_u64_e32 v[44:45], s[18:19], v[44:45]
	s_wait_xcnt 0x0
	v_add_nc_u64_e32 v[46:47], s[18:19], v[46:47]
	s_wait_loadcnt 0x4
	v_mul_f64_e32 v[50:51], v[50:51], v[56:57]
	ds_bpermute_b32 v56, v18, v12
	ds_bpermute_b32 v57, v18, v13
	s_wait_loadcnt 0x2
	v_mul_f64_e32 v[48:49], v[48:49], v[58:59]
	s_wait_dscnt 0x0
	v_fmac_f64_e32 v[4:5], v[50:51], v[56:57]
	global_load_b64 v[50:51], v[44:45], off
	global_load_b64 v[56:57], v[46:47], off
	ds_bpermute_b32 v58, v19, v12
	ds_bpermute_b32 v59, v19, v13
	s_wait_xcnt 0x1
	v_add_nc_u64_e32 v[44:45], s[18:19], v[44:45]
	s_wait_xcnt 0x0
	v_add_nc_u64_e32 v[46:47], s[18:19], v[46:47]
	s_wait_loadcnt 0x2
	v_mul_f64_e32 v[52:53], v[52:53], v[54:55]
	s_wait_dscnt 0x0
	v_fmac_f64_e32 v[4:5], v[48:49], v[58:59]
	global_load_b64 v[48:49], v[44:45], off
	global_load_b64 v[58:59], v[46:47], off
	ds_bpermute_b32 v54, v20, v12
	ds_bpermute_b32 v55, v20, v13
	;; [unrolled: 36-line block ×8, first 2 shown]
	s_wait_xcnt 0x1
	v_add_nc_u64_e32 v[44:45], s[18:19], v[44:45]
	s_wait_xcnt 0x0
	v_add_nc_u64_e32 v[46:47], s[18:19], v[46:47]
	s_wait_dscnt 0x0
	v_fmac_f64_e32 v[4:5], v[52:53], v[54:55]
	global_load_b64 v[52:53], v[44:45], off
	global_load_b64 v[54:55], v[46:47], off
	s_wait_xcnt 0x1
	v_add_nc_u64_e32 v[44:45], s[18:19], v[44:45]
	s_wait_xcnt 0x0
	v_add_nc_u64_e32 v[46:47], s[18:19], v[46:47]
	s_wait_loadcnt 0x4
	v_mul_f64_e32 v[50:51], v[50:51], v[56:57]
	ds_bpermute_b32 v56, v38, v12
	ds_bpermute_b32 v57, v38, v13
	s_wait_loadcnt 0x2
	v_mul_f64_e32 v[48:49], v[48:49], v[58:59]
	s_wait_dscnt 0x0
	v_fmac_f64_e32 v[4:5], v[50:51], v[56:57]
	global_load_b64 v[50:51], v[44:45], off
	global_load_b64 v[56:57], v[46:47], off
	ds_bpermute_b32 v58, v39, v12
	ds_bpermute_b32 v59, v39, v13
	s_wait_xcnt 0x1
	v_add_nc_u64_e32 v[44:45], s[18:19], v[44:45]
	s_wait_xcnt 0x0
	v_add_nc_u64_e32 v[46:47], s[18:19], v[46:47]
	s_wait_dscnt 0x0
	v_fmac_f64_e32 v[4:5], v[48:49], v[58:59]
	global_load_b64 v[48:49], v[44:45], off
	global_load_b64 v[58:59], v[46:47], off
	s_wait_xcnt 0x1
	v_add_nc_u64_e32 v[44:45], s[18:19], v[44:45]
	s_wait_xcnt 0x0
	v_add_nc_u64_e32 v[46:47], s[18:19], v[46:47]
	global_load_b64 v[60:61], v[44:45], off
	global_load_b64 v[62:63], v[46:47], off
	s_wait_loadcnt 0x6
	s_wait_xcnt 0x1
	v_mul_f64_e32 v[44:45], v[52:53], v[54:55]
	s_wait_xcnt 0x0
	ds_bpermute_b32 v46, v40, v12
	ds_bpermute_b32 v47, v40, v13
	s_wait_dscnt 0x0
	v_fmac_f64_e32 v[4:5], v[44:45], v[46:47]
	ds_bpermute_b32 v44, v41, v12
	ds_bpermute_b32 v45, v41, v13
	s_wait_loadcnt 0x4
	v_mul_f64_e32 v[50:51], v[50:51], v[56:57]
	s_wait_loadcnt 0x2
	v_mul_f64_e32 v[46:47], v[48:49], v[58:59]
	s_wait_dscnt 0x0
	s_delay_alu instid0(VALU_DEP_2)
	v_fmac_f64_e32 v[4:5], v[50:51], v[44:45]
	ds_bpermute_b32 v44, v42, v12
	ds_bpermute_b32 v45, v42, v13
	;; [unrolled: 1-line block ×4, first 2 shown]
	s_wait_dscnt 0x2
	v_fmac_f64_e32 v[4:5], v[46:47], v[44:45]
	s_wait_loadcnt 0x0
	v_mul_f64_e32 v[44:45], v[60:61], v[62:63]
	s_wait_dscnt 0x0
	s_delay_alu instid0(VALU_DEP_1)
	v_fmac_f64_e32 v[4:5], v[44:45], v[12:13]
	s_cbranch_vccz .LBB129_5
.LBB129_3:                              ; =>This Inner Loop Header: Depth=1
	v_mov_b64_e32 v[12:13], 0
	s_mov_b32 s22, exec_lo
	v_cmpx_gt_i64_e64 s[4:5], v[6:7]
	s_cbranch_execz .LBB129_2
; %bb.4:                                ;   in Loop: Header=BB129_3 Depth=1
	global_load_b64 v[12:13], v[10:11], off
	s_branch .LBB129_2
.LBB129_5:
	s_load_b64 s[2:3], s[0:1], 0x30
	s_wait_kmcnt 0x0
	s_cmp_eq_u64 s[2:3], 0
	s_cbranch_scc1 .LBB129_7
; %bb.6:
	s_load_u16 s0, s[0:1], 0x4e
	v_mov_b32_e32 v3, 0
	s_and_b32 s4, ttmp6, 15
	s_wait_xcnt 0x0
	s_mov_b32 s1, 0
	s_wait_kmcnt 0x0
	v_mad_nc_u64_u32 v[0:1], s0, s21, v[2:3]
	s_bfe_u32 s0, ttmp6, 0x4000c
	v_lshlrev_b32_e32 v2, 3, v14
	s_add_co_i32 s0, s0, 1
	s_delay_alu instid0(SALU_CYCLE_1) | instskip(NEXT) | instid1(SALU_CYCLE_1)
	s_mul_i32 s0, ttmp9, s0
	s_add_co_i32 s4, s4, s0
	s_cmp_eq_u32 s20, 0
	s_cselect_b32 s0, ttmp9, s4
	s_delay_alu instid0(VALU_DEP_2) | instskip(SKIP_1) | instid1(VALU_DEP_1)
	v_mul_u64_e32 v[0:1], s[6:7], v[0:1]
	s_lshl_b64 s[0:1], s[0:1], 8
	v_lshl_add_u64 v[0:1], v[0:1], 3, s[2:3]
	s_delay_alu instid0(VALU_DEP_1) | instskip(NEXT) | instid1(VALU_DEP_1)
	v_add_nc_u64_e32 v[0:1], s[0:1], v[0:1]
	v_add_nc_u64_e32 v[0:1], v[0:1], v[2:3]
	global_store_b64 v[0:1], v[4:5], off
.LBB129_7:
	s_endpgm
	.section	.rodata,"a",@progbits
	.p2align	6, 0x0
	.amdhsa_kernel _ZN2at6native12_GLOBAL__N_135GammaBetaBackwardCUDAKernelTemplateIddLj32ELj1ELj32ELb1ELb1ELb1EEEvllPKT_S5_PKT0_S8_PS3_S9_
		.amdhsa_group_segment_fixed_size 0
		.amdhsa_private_segment_fixed_size 0
		.amdhsa_kernarg_size 320
		.amdhsa_user_sgpr_count 2
		.amdhsa_user_sgpr_dispatch_ptr 0
		.amdhsa_user_sgpr_queue_ptr 0
		.amdhsa_user_sgpr_kernarg_segment_ptr 1
		.amdhsa_user_sgpr_dispatch_id 0
		.amdhsa_user_sgpr_kernarg_preload_length 0
		.amdhsa_user_sgpr_kernarg_preload_offset 0
		.amdhsa_user_sgpr_private_segment_size 0
		.amdhsa_wavefront_size32 1
		.amdhsa_uses_dynamic_stack 0
		.amdhsa_enable_private_segment 0
		.amdhsa_system_sgpr_workgroup_id_x 1
		.amdhsa_system_sgpr_workgroup_id_y 1
		.amdhsa_system_sgpr_workgroup_id_z 0
		.amdhsa_system_sgpr_workgroup_info 0
		.amdhsa_system_vgpr_workitem_id 1
		.amdhsa_next_free_vgpr 64
		.amdhsa_next_free_sgpr 23
		.amdhsa_named_barrier_count 0
		.amdhsa_reserve_vcc 1
		.amdhsa_float_round_mode_32 0
		.amdhsa_float_round_mode_16_64 0
		.amdhsa_float_denorm_mode_32 3
		.amdhsa_float_denorm_mode_16_64 3
		.amdhsa_fp16_overflow 0
		.amdhsa_memory_ordered 1
		.amdhsa_forward_progress 1
		.amdhsa_inst_pref_size 24
		.amdhsa_round_robin_scheduling 0
		.amdhsa_exception_fp_ieee_invalid_op 0
		.amdhsa_exception_fp_denorm_src 0
		.amdhsa_exception_fp_ieee_div_zero 0
		.amdhsa_exception_fp_ieee_overflow 0
		.amdhsa_exception_fp_ieee_underflow 0
		.amdhsa_exception_fp_ieee_inexact 0
		.amdhsa_exception_int_div_zero 0
	.end_amdhsa_kernel
	.section	.text._ZN2at6native12_GLOBAL__N_135GammaBetaBackwardCUDAKernelTemplateIddLj32ELj1ELj32ELb1ELb1ELb1EEEvllPKT_S5_PKT0_S8_PS3_S9_,"axG",@progbits,_ZN2at6native12_GLOBAL__N_135GammaBetaBackwardCUDAKernelTemplateIddLj32ELj1ELj32ELb1ELb1ELb1EEEvllPKT_S5_PKT0_S8_PS3_S9_,comdat
.Lfunc_end129:
	.size	_ZN2at6native12_GLOBAL__N_135GammaBetaBackwardCUDAKernelTemplateIddLj32ELj1ELj32ELb1ELb1ELb1EEEvllPKT_S5_PKT0_S8_PS3_S9_, .Lfunc_end129-_ZN2at6native12_GLOBAL__N_135GammaBetaBackwardCUDAKernelTemplateIddLj32ELj1ELj32ELb1ELb1ELb1EEEvllPKT_S5_PKT0_S8_PS3_S9_
                                        ; -- End function
	.set _ZN2at6native12_GLOBAL__N_135GammaBetaBackwardCUDAKernelTemplateIddLj32ELj1ELj32ELb1ELb1ELb1EEEvllPKT_S5_PKT0_S8_PS3_S9_.num_vgpr, 64
	.set _ZN2at6native12_GLOBAL__N_135GammaBetaBackwardCUDAKernelTemplateIddLj32ELj1ELj32ELb1ELb1ELb1EEEvllPKT_S5_PKT0_S8_PS3_S9_.num_agpr, 0
	.set _ZN2at6native12_GLOBAL__N_135GammaBetaBackwardCUDAKernelTemplateIddLj32ELj1ELj32ELb1ELb1ELb1EEEvllPKT_S5_PKT0_S8_PS3_S9_.numbered_sgpr, 23
	.set _ZN2at6native12_GLOBAL__N_135GammaBetaBackwardCUDAKernelTemplateIddLj32ELj1ELj32ELb1ELb1ELb1EEEvllPKT_S5_PKT0_S8_PS3_S9_.num_named_barrier, 0
	.set _ZN2at6native12_GLOBAL__N_135GammaBetaBackwardCUDAKernelTemplateIddLj32ELj1ELj32ELb1ELb1ELb1EEEvllPKT_S5_PKT0_S8_PS3_S9_.private_seg_size, 0
	.set _ZN2at6native12_GLOBAL__N_135GammaBetaBackwardCUDAKernelTemplateIddLj32ELj1ELj32ELb1ELb1ELb1EEEvllPKT_S5_PKT0_S8_PS3_S9_.uses_vcc, 1
	.set _ZN2at6native12_GLOBAL__N_135GammaBetaBackwardCUDAKernelTemplateIddLj32ELj1ELj32ELb1ELb1ELb1EEEvllPKT_S5_PKT0_S8_PS3_S9_.uses_flat_scratch, 0
	.set _ZN2at6native12_GLOBAL__N_135GammaBetaBackwardCUDAKernelTemplateIddLj32ELj1ELj32ELb1ELb1ELb1EEEvllPKT_S5_PKT0_S8_PS3_S9_.has_dyn_sized_stack, 0
	.set _ZN2at6native12_GLOBAL__N_135GammaBetaBackwardCUDAKernelTemplateIddLj32ELj1ELj32ELb1ELb1ELb1EEEvllPKT_S5_PKT0_S8_PS3_S9_.has_recursion, 0
	.set _ZN2at6native12_GLOBAL__N_135GammaBetaBackwardCUDAKernelTemplateIddLj32ELj1ELj32ELb1ELb1ELb1EEEvllPKT_S5_PKT0_S8_PS3_S9_.has_indirect_call, 0
	.section	.AMDGPU.csdata,"",@progbits
; Kernel info:
; codeLenInByte = 3004
; TotalNumSgprs: 25
; NumVgprs: 64
; ScratchSize: 0
; MemoryBound: 0
; FloatMode: 240
; IeeeMode: 1
; LDSByteSize: 0 bytes/workgroup (compile time only)
; SGPRBlocks: 0
; VGPRBlocks: 3
; NumSGPRsForWavesPerEU: 25
; NumVGPRsForWavesPerEU: 64
; NamedBarCnt: 0
; Occupancy: 16
; WaveLimiterHint : 0
; COMPUTE_PGM_RSRC2:SCRATCH_EN: 0
; COMPUTE_PGM_RSRC2:USER_SGPR: 2
; COMPUTE_PGM_RSRC2:TRAP_HANDLER: 0
; COMPUTE_PGM_RSRC2:TGID_X_EN: 1
; COMPUTE_PGM_RSRC2:TGID_Y_EN: 1
; COMPUTE_PGM_RSRC2:TGID_Z_EN: 0
; COMPUTE_PGM_RSRC2:TIDIG_COMP_CNT: 1
	.section	.text._ZN2at6native12_GLOBAL__N_135GammaBetaBackwardCUDAKernelTemplateIddLj32ELj1ELj32ELb1ELb0ELb1EEEvllPKT_S5_PKT0_S8_PS3_S9_,"axG",@progbits,_ZN2at6native12_GLOBAL__N_135GammaBetaBackwardCUDAKernelTemplateIddLj32ELj1ELj32ELb1ELb0ELb1EEEvllPKT_S5_PKT0_S8_PS3_S9_,comdat
	.globl	_ZN2at6native12_GLOBAL__N_135GammaBetaBackwardCUDAKernelTemplateIddLj32ELj1ELj32ELb1ELb0ELb1EEEvllPKT_S5_PKT0_S8_PS3_S9_ ; -- Begin function _ZN2at6native12_GLOBAL__N_135GammaBetaBackwardCUDAKernelTemplateIddLj32ELj1ELj32ELb1ELb0ELb1EEEvllPKT_S5_PKT0_S8_PS3_S9_
	.p2align	8
	.type	_ZN2at6native12_GLOBAL__N_135GammaBetaBackwardCUDAKernelTemplateIddLj32ELj1ELj32ELb1ELb0ELb1EEEvllPKT_S5_PKT0_S8_PS3_S9_,@function
_ZN2at6native12_GLOBAL__N_135GammaBetaBackwardCUDAKernelTemplateIddLj32ELj1ELj32ELb1ELb0ELb1EEEvllPKT_S5_PKT0_S8_PS3_S9_: ; @_ZN2at6native12_GLOBAL__N_135GammaBetaBackwardCUDAKernelTemplateIddLj32ELj1ELj32ELb1ELb0ELb1EEEvllPKT_S5_PKT0_S8_PS3_S9_
; %bb.0:
	s_load_b256 s[4:11], s[0:1], 0x0
	s_bfe_u32 s3, ttmp6, 0x4000c
	s_bfe_u32 s12, ttmp6, 0x40010
	s_add_co_i32 s3, s3, 1
	s_add_co_i32 s12, s12, 1
	s_and_b32 s2, ttmp6, 15
	s_bfe_u32 s13, ttmp6, 0x40004
	s_mul_i32 s3, ttmp9, s3
	s_mul_i32 s12, ttmp7, s12
	s_getreg_b32 s14, hwreg(HW_REG_IB_STS2, 6, 4)
	s_add_co_i32 s2, s2, s3
	s_add_co_i32 s13, s13, s12
	s_cmp_eq_u32 s14, 0
	s_mov_b32 s17, 0
	s_cselect_b32 s12, ttmp9, s2
	s_cselect_b32 s30, ttmp7, s13
	s_lshl_b32 s13, s12, 5
	s_load_b64 s[14:15], s[0:1], 0x28
	s_or_b32 s16, s13, 31
	s_wait_kmcnt 0x0
	v_cmp_le_i64_e64 s2, s[6:7], s[16:17]
	s_lshl_b32 s16, s30, 5
	s_delay_alu instid0(SALU_CYCLE_1) | instskip(SKIP_2) | instid1(VALU_DEP_1)
	v_cmp_gt_i64_e64 s31, s[4:5], s[16:17]
	s_and_b32 vcc_lo, exec_lo, s2
	v_cndmask_b32_e64 v1, 0, 1, s31
	v_cmp_ne_u32_e64 s2, 1, v1
	s_cbranch_vccz .LBB130_141
; %bb.1:
	s_set_vgpr_msb 64                       ;  msbs: dst=1 src0=0 src1=0 src2=0
	v_mov_b64_e32 v[6:7] /*v[262:263]*/, 0
	s_and_b32 vcc_lo, exec_lo, s2
	s_set_vgpr_msb 0                        ;  msbs: dst=0 src0=0 src1=0 src2=0
	s_cbranch_vccnz .LBB130_142
; %bb.2:
	v_bfe_u32 v1, v0, 10, 10
	v_mov_b32_e32 v3, 0
	s_set_vgpr_msb 64                       ;  msbs: dst=1 src0=0 src1=0 src2=0
	v_and_b32_e32 v14 /*v270*/, 0x3ff, v0
	s_load_b32 s3, s[0:1], 0x44
	s_mov_b32 s19, 0
	s_set_vgpr_msb 0                        ;  msbs: dst=0 src0=0 src1=0 src2=0
	v_dual_mov_b32 v5, v3 :: v_dual_lshlrev_b32 v4, 5, v1
	s_set_vgpr_msb 4                        ;  msbs: dst=0 src0=0 src1=1 src2=0
	v_add_nc_u32_e32 v2, s13, v14 /*v270*/
	v_mov_b64_e32 v[136:137], 0
	s_mov_b32 s21, s19
	s_add_nc_u64 s[22:23], s[0:1], 64
	s_set_vgpr_msb 0                        ;  msbs: dst=0 src0=0 src1=0 src2=0
	v_add_nc_u64_e32 v[74:75], s[16:17], v[4:5]
	v_cmp_gt_i64_e64 s2, s[6:7], v[2:3]
	s_mov_b64 s[26:27], 31
	s_mov_b64 s[28:29], s[16:17]
	v_add_nc_u64_e32 v[8:9], 30, v[74:75]
	v_add_nc_u64_e32 v[10:11], 29, v[74:75]
	v_add_nc_u64_e32 v[18:19], 25, v[74:75]
	v_add_nc_u64_e32 v[26:27], 22, v[74:75]
	v_add_nc_u64_e32 v[28:29], 21, v[74:75]
	v_add_nc_u64_e32 v[30:31], 20, v[74:75]
	v_add_nc_u64_e32 v[32:33], 19, v[74:75]
	v_mul_u64_e32 v[22:23], s[6:7], v[8:9]
	v_mul_u64_e32 v[24:25], s[6:7], v[10:11]
	v_add_nc_u64_e32 v[8:9], 24, v[74:75]
	v_add_nc_u64_e32 v[10:11], 23, v[74:75]
	v_mul_u64_e32 v[18:19], s[6:7], v[18:19]
	v_mul_u64_e32 v[42:43], s[6:7], v[26:27]
	;; [unrolled: 1-line block ×4, first 2 shown]
	v_add_nc_u64_e32 v[40:41], 17, v[74:75]
	v_mul_u64_e32 v[36:37], s[6:7], v[8:9]
	v_mul_u64_e32 v[38:39], s[6:7], v[10:11]
	v_add_nc_u64_e32 v[8:9], 18, v[74:75]
	v_mul_u64_e32 v[56:57], s[6:7], v[32:33]
	v_add_nc_u64_e32 v[54:55], 16, v[74:75]
	v_add_nc_u64_e32 v[84:85], 10, v[74:75]
	v_mul_u64_e32 v[66:67], s[6:7], v[40:41]
	v_add_nc_u64_e32 v[64:65], 15, v[74:75]
	;; [unrolled: 3-line block ×3, first 2 shown]
	v_mul_u64_e32 v[68:69], s[6:7], v[54:55]
	v_mul_u64_e32 v[92:93], s[6:7], v[84:85]
	v_add_nc_u64_e32 v[84:85], 7, v[74:75]
	v_mul_u64_e32 v[76:77], s[6:7], v[64:65]
	v_add_nc_u64_e32 v[64:65], 13, v[74:75]
	v_mul_u64_e32 v[78:79], s[6:7], v[72:73]
	v_mul_u64_e32 v[88:89], s[6:7], v[80:81]
	;; [unrolled: 1-line block ×3, first 2 shown]
	v_add_nc_u64_e32 v[6:7], 31, v[74:75]
	v_mul_u64_e32 v[100:101], s[6:7], v[84:85]
	v_add_nc_u64_e32 v[84:85], 5, v[74:75]
	v_add_nc_u64_e32 v[12:13], 28, v[74:75]
	;; [unrolled: 1-line block ×4, first 2 shown]
	v_mul_u64_e32 v[82:83], s[6:7], v[64:65]
	v_add_nc_u64_e32 v[90:91], 8, v[74:75]
	v_lshlrev_b64_e32 v[44:45], 3, v[18:19]
	v_lshlrev_b64_e32 v[58:59], 3, v[42:43]
	;; [unrolled: 1-line block ×4, first 2 shown]
	v_add_nc_u64_e32 v[104:105], 3, v[74:75]
	v_lshlrev_b64_e32 v[48:49], 3, v[36:37]
	v_lshlrev_b64_e32 v[52:53], 3, v[38:39]
	v_add_nc_u64_e32 v[36:37], s[8:9], v[44:45]
	v_add_nc_u64_e32 v[38:39], s[10:11], v[44:45]
	;; [unrolled: 1-line block ×4, first 2 shown]
	v_lshlrev_b64_e32 v[80:81], 3, v[66:67]
	v_add_nc_u64_e32 v[40:41], s[8:9], v[48:49]
	v_add_nc_u64_e32 v[42:43], s[10:11], v[48:49]
	;; [unrolled: 1-line block ×6, first 2 shown]
	v_lshlrev_b64_e32 v[62:63], 3, v[56:57]
	v_add_nc_u64_e32 v[56:57], s[8:9], v[70:71]
	v_add_nc_u64_e32 v[58:59], s[10:11], v[70:71]
	;; [unrolled: 1-line block ×3, first 2 shown]
	v_lshlrev_b64_e32 v[72:73], 3, v[60:61]
	v_lshlrev_b64_e32 v[96:97], 3, v[68:69]
	v_add_nc_u64_e32 v[68:69], s[8:9], v[80:81]
	v_mul_u64_e32 v[110:111], s[6:7], v[84:85]
	v_add_nc_u64_e32 v[84:85], 2, v[74:75]
	v_mul_u64_e32 v[20:21], s[6:7], v[6:7]
	v_mul_u64_e32 v[86:87], s[6:7], v[70:71]
	v_add_nc_u64_e32 v[70:71], 9, v[74:75]
	v_add_nc_u64_e32 v[64:65], s[8:9], v[72:73]
	;; [unrolled: 1-line block ×4, first 2 shown]
	v_mul_u64_e32 v[12:13], s[6:7], v[12:13]
	v_mul_u64_e32 v[14:15], s[6:7], v[14:15]
	;; [unrolled: 1-line block ×4, first 2 shown]
	v_add_nc_u64_e32 v[70:71], s[10:11], v[80:81]
	v_add_nc_u64_e32 v[80:81], 4, v[74:75]
	v_mul_u64_e32 v[98:99], s[6:7], v[90:91]
	v_mul_u64_e32 v[102:103], s[6:7], v[72:73]
	;; [unrolled: 1-line block ×4, first 2 shown]
	v_add_nc_u64_e32 v[72:73], s[8:9], v[96:97]
	v_lshlrev_b64_e32 v[90:91], 3, v[76:77]
	v_mul_u64_e32 v[116:117], s[6:7], v[80:81]
	v_add_nc_u64_e32 v[74:75], s[10:11], v[96:97]
	v_lshlrev_b64_e32 v[96:97], 3, v[78:79]
	v_lshlrev_b64_e32 v[104:105], 3, v[82:83]
	v_add_nc_u64_e32 v[126:127], s[6:7], v[114:115]
	v_lshlrev_b64_e32 v[10:11], 3, v[114:115]
	v_lshlrev_b64_e32 v[22:23], 3, v[22:23]
	;; [unrolled: 1-line block ×3, first 2 shown]
	v_add_nc_u64_e32 v[76:77], s[8:9], v[90:91]
	v_add_nc_u64_e32 v[78:79], s[10:11], v[90:91]
	;; [unrolled: 1-line block ×4, first 2 shown]
	v_lshlrev_b64_e32 v[96:97], 3, v[88:89]
	v_add_nc_u64_e32 v[84:85], s[8:9], v[104:105]
	v_lshlrev_b64_e32 v[20:21], 3, v[20:21]
	v_lshlrev_b64_e32 v[90:91], 3, v[86:87]
	v_add_nc_u64_e32 v[86:87], s[10:11], v[104:105]
	v_lshlrev_b64_e32 v[104:105], 3, v[92:93]
	v_lshlrev_b64_e32 v[112:113], 3, v[100:101]
	;; [unrolled: 1-line block ×13, first 2 shown]
	v_add_nc_u64_e32 v[8:9], s[8:9], v[10:11]
	v_add_nc_u64_e32 v[10:11], s[10:11], v[10:11]
	v_lshlrev_b64_e32 v[128:129], 3, v[116:117]
	v_add_nc_u64_e32 v[12:13], s[8:9], v[20:21]
	v_add_nc_u64_e32 v[14:15], s[10:11], v[20:21]
	;; [unrolled: 1-line block ×38, first 2 shown]
	s_wait_kmcnt 0x0
	s_lshl_b32 s20, s3, 5
	s_delay_alu instid0(SALU_CYCLE_1) | instskip(NEXT) | instid1(SALU_CYCLE_1)
	s_mul_u64 s[24:25], s[6:7], s[20:21]
	s_lshl_b64 s[24:25], s[24:25], 3
.LBB130_3:                              ; =>This Inner Loop Header: Depth=1
	s_add_nc_u64 s[34:35], s[16:17], s[26:27]
	v_add_nc_u64_e32 v[138:139], s[16:17], v[4:5]
	v_cmp_ge_i64_e64 s3, s[34:35], s[4:5]
                                        ; implicit-def: $vgpr262_vgpr263
                                        ; implicit-def: $vgpr176_vgpr177
                                        ; implicit-def: $vgpr140
	s_and_b32 vcc_lo, exec_lo, s3
	s_mov_b32 s3, -1
	s_cbranch_vccz .LBB130_71
; %bb.4:                                ;   in Loop: Header=BB130_3 Depth=1
	s_load_b32 s3, s[22:23], 0xc
	v_mov_b64_e32 v[142:143], 0
	v_mov_b64_e32 v[140:141], 0
	s_wait_kmcnt 0x0
	s_and_b32 s3, s3, 0xffff
	s_set_vgpr_msb 16                       ;  msbs: dst=0 src0=0 src1=0 src2=1
	v_mad_u32_u24 v2, v1, s3, v14 /*v270*/
	s_mov_b32 s3, exec_lo
	s_delay_alu instid0(VALU_DEP_1) | instskip(NEXT) | instid1(VALU_DEP_1)
	v_and_b32_e32 v2, 31, v2
	v_add_nc_u64_e32 v[144:145], v[138:139], v[2:3]
	s_delay_alu instid0(VALU_DEP_1)
	v_cmpx_gt_i64_e64 s[4:5], v[144:145]
	s_set_vgpr_msb 0                        ;  msbs: dst=0 src0=0 src1=0 src2=0
	s_cbranch_execz .LBB130_6
; %bb.5:                                ;   in Loop: Header=BB130_3 Depth=1
	v_lshl_add_u64 v[140:141], v[144:145], 3, s[14:15]
	global_load_b64 v[140:141], v[140:141], off
.LBB130_6:                              ;   in Loop: Header=BB130_3 Depth=1
	s_wait_xcnt 0x0
	s_or_b32 exec_lo, exec_lo, s3
	v_cmp_gt_i64_e32 vcc_lo, s[4:5], v[138:139]
	v_mov_b64_e32 v[144:145], 0
	s_and_b32 s18, s2, vcc_lo
	s_delay_alu instid0(SALU_CYCLE_1)
	s_and_saveexec_b32 s3, s18
	s_cbranch_execz .LBB130_8
; %bb.7:                                ;   in Loop: Header=BB130_3 Depth=1
	v_add_nc_u64_e32 v[146:147], v[8:9], v[6:7]
	v_add_nc_u64_e32 v[148:149], v[10:11], v[6:7]
	global_load_b64 v[142:143], v[146:147], off
	global_load_b64 v[144:145], v[148:149], off
.LBB130_8:                              ;   in Loop: Header=BB130_3 Depth=1
	s_wait_xcnt 0x0
	s_or_b32 exec_lo, exec_lo, s3
	v_add_nc_u64_e32 v[146:147], 1, v[138:139]
	v_mov_b64_e32 v[148:149], 0
	v_mov_b64_e32 v[150:151], 0
	s_delay_alu instid0(VALU_DEP_3) | instskip(SKIP_2) | instid1(SALU_CYCLE_1)
	v_cmp_gt_i64_e32 vcc_lo, s[4:5], v[146:147]
	v_mov_b64_e32 v[146:147], 0
	s_and_b32 s18, s2, vcc_lo
	s_and_saveexec_b32 s3, s18
	s_cbranch_execz .LBB130_10
; %bb.9:                                ;   in Loop: Header=BB130_3 Depth=1
	v_add_nc_u64_e32 v[152:153], v[132:133], v[6:7]
	v_add_nc_u64_e32 v[154:155], v[134:135], v[6:7]
	global_load_b64 v[148:149], v[152:153], off
	global_load_b64 v[150:151], v[154:155], off
.LBB130_10:                             ;   in Loop: Header=BB130_3 Depth=1
	s_wait_xcnt 0x0
	s_or_b32 exec_lo, exec_lo, s3
	v_add_nc_u64_e32 v[152:153], 2, v[138:139]
	s_delay_alu instid0(VALU_DEP_1) | instskip(SKIP_2) | instid1(SALU_CYCLE_1)
	v_cmp_gt_i64_e32 vcc_lo, s[4:5], v[152:153]
	v_mov_b64_e32 v[152:153], 0
	s_and_b32 s18, s2, vcc_lo
	s_and_saveexec_b32 s3, s18
	s_cbranch_execz .LBB130_12
; %bb.11:                               ;   in Loop: Header=BB130_3 Depth=1
	v_add_nc_u64_e32 v[154:155], v[128:129], v[6:7]
	v_add_nc_u64_e32 v[156:157], v[130:131], v[6:7]
	global_load_b64 v[146:147], v[154:155], off
	global_load_b64 v[152:153], v[156:157], off
.LBB130_12:                             ;   in Loop: Header=BB130_3 Depth=1
	s_wait_xcnt 0x0
	s_or_b32 exec_lo, exec_lo, s3
	v_add_nc_u64_e32 v[154:155], 3, v[138:139]
	v_mov_b64_e32 v[156:157], 0
	v_mov_b64_e32 v[158:159], 0
	s_delay_alu instid0(VALU_DEP_3) | instskip(SKIP_2) | instid1(SALU_CYCLE_1)
	v_cmp_gt_i64_e32 vcc_lo, s[4:5], v[154:155]
	v_mov_b64_e32 v[154:155], 0
	s_and_b32 s18, s2, vcc_lo
	s_and_saveexec_b32 s3, s18
	s_cbranch_execz .LBB130_14
; %bb.13:                               ;   in Loop: Header=BB130_3 Depth=1
	v_add_nc_u64_e32 v[160:161], v[124:125], v[6:7]
	v_add_nc_u64_e32 v[162:163], v[126:127], v[6:7]
	global_load_b64 v[156:157], v[160:161], off
	global_load_b64 v[158:159], v[162:163], off
.LBB130_14:                             ;   in Loop: Header=BB130_3 Depth=1
	s_wait_xcnt 0x0
	s_or_b32 exec_lo, exec_lo, s3
	v_add_nc_u64_e32 v[160:161], 4, v[138:139]
	s_delay_alu instid0(VALU_DEP_1) | instskip(SKIP_2) | instid1(SALU_CYCLE_1)
	v_cmp_gt_i64_e32 vcc_lo, s[4:5], v[160:161]
	v_mov_b64_e32 v[160:161], 0
	s_and_b32 s18, s2, vcc_lo
	s_and_saveexec_b32 s3, s18
	s_cbranch_execz .LBB130_16
; %bb.15:                               ;   in Loop: Header=BB130_3 Depth=1
	v_add_nc_u64_e32 v[162:163], v[120:121], v[6:7]
	v_add_nc_u64_e32 v[164:165], v[122:123], v[6:7]
	global_load_b64 v[154:155], v[162:163], off
	global_load_b64 v[160:161], v[164:165], off
.LBB130_16:                             ;   in Loop: Header=BB130_3 Depth=1
	s_wait_xcnt 0x0
	s_or_b32 exec_lo, exec_lo, s3
	v_add_nc_u64_e32 v[162:163], 5, v[138:139]
	v_mov_b64_e32 v[164:165], 0
	v_mov_b64_e32 v[166:167], 0
	s_delay_alu instid0(VALU_DEP_3) | instskip(SKIP_2) | instid1(SALU_CYCLE_1)
	v_cmp_gt_i64_e32 vcc_lo, s[4:5], v[162:163]
	v_mov_b64_e32 v[162:163], 0
	s_and_b32 s18, s2, vcc_lo
	s_and_saveexec_b32 s3, s18
	s_cbranch_execz .LBB130_18
; %bb.17:                               ;   in Loop: Header=BB130_3 Depth=1
	v_add_nc_u64_e32 v[168:169], v[116:117], v[6:7]
	v_add_nc_u64_e32 v[170:171], v[118:119], v[6:7]
	global_load_b64 v[164:165], v[168:169], off
	global_load_b64 v[166:167], v[170:171], off
.LBB130_18:                             ;   in Loop: Header=BB130_3 Depth=1
	;; [unrolled: 32-line block ×3, first 2 shown]
	s_wait_xcnt 0x0
	s_or_b32 exec_lo, exec_lo, s3
	v_add_nc_u64_e32 v[176:177], 8, v[138:139]
	v_mov_b64_e32 v[178:179], 0
	s_delay_alu instid0(VALU_DEP_2) | instskip(SKIP_1) | instid1(SALU_CYCLE_1)
	v_cmp_gt_i64_e32 vcc_lo, s[4:5], v[176:177]
	s_and_b32 s18, s2, vcc_lo
	s_and_saveexec_b32 s3, s18
	s_cbranch_execz .LBB130_24
; %bb.23:                               ;   in Loop: Header=BB130_3 Depth=1
	v_add_nc_u64_e32 v[176:177], v[104:105], v[6:7]
	v_add_nc_u64_e32 v[180:181], v[106:107], v[6:7]
	global_load_b64 v[170:171], v[176:177], off
	global_load_b64 v[178:179], v[180:181], off
.LBB130_24:                             ;   in Loop: Header=BB130_3 Depth=1
	s_wait_xcnt 0x0
	s_or_b32 exec_lo, exec_lo, s3
	v_add_nc_u64_e32 v[176:177], 9, v[138:139]
	v_mov_b64_e32 v[180:181], 0
	v_mov_b64_e32 v[182:183], 0
	v_mov_b64_e32 v[184:185], 0
	s_delay_alu instid0(VALU_DEP_4) | instskip(SKIP_1) | instid1(SALU_CYCLE_1)
	v_cmp_gt_i64_e32 vcc_lo, s[4:5], v[176:177]
	s_and_b32 s18, s2, vcc_lo
	s_and_saveexec_b32 s3, s18
	s_cbranch_execz .LBB130_26
; %bb.25:                               ;   in Loop: Header=BB130_3 Depth=1
	v_add_nc_u64_e32 v[176:177], v[100:101], v[6:7]
	v_add_nc_u64_e32 v[186:187], v[102:103], v[6:7]
	global_load_b64 v[182:183], v[176:177], off
	global_load_b64 v[184:185], v[186:187], off
.LBB130_26:                             ;   in Loop: Header=BB130_3 Depth=1
	s_wait_xcnt 0x0
	s_or_b32 exec_lo, exec_lo, s3
	v_add_nc_u64_e32 v[176:177], 10, v[138:139]
	v_mov_b64_e32 v[186:187], 0
	s_delay_alu instid0(VALU_DEP_2) | instskip(SKIP_1) | instid1(SALU_CYCLE_1)
	v_cmp_gt_i64_e32 vcc_lo, s[4:5], v[176:177]
	s_and_b32 s18, s2, vcc_lo
	s_and_saveexec_b32 s3, s18
	s_cbranch_execz .LBB130_28
; %bb.27:                               ;   in Loop: Header=BB130_3 Depth=1
	v_add_nc_u64_e32 v[176:177], v[96:97], v[6:7]
	v_add_nc_u64_e32 v[188:189], v[98:99], v[6:7]
	global_load_b64 v[180:181], v[176:177], off
	global_load_b64 v[186:187], v[188:189], off
.LBB130_28:                             ;   in Loop: Header=BB130_3 Depth=1
	s_wait_xcnt 0x0
	s_or_b32 exec_lo, exec_lo, s3
	v_add_nc_u64_e32 v[176:177], 11, v[138:139]
	v_mov_b64_e32 v[188:189], 0
	v_mov_b64_e32 v[190:191], 0
	v_mov_b64_e32 v[192:193], 0
	s_delay_alu instid0(VALU_DEP_4) | instskip(SKIP_1) | instid1(SALU_CYCLE_1)
	v_cmp_gt_i64_e32 vcc_lo, s[4:5], v[176:177]
	s_and_b32 s18, s2, vcc_lo
	s_and_saveexec_b32 s3, s18
	s_cbranch_execz .LBB130_30
; %bb.29:                               ;   in Loop: Header=BB130_3 Depth=1
	v_add_nc_u64_e32 v[176:177], v[92:93], v[6:7]
	v_add_nc_u64_e32 v[194:195], v[94:95], v[6:7]
	global_load_b64 v[190:191], v[176:177], off
	global_load_b64 v[192:193], v[194:195], off
.LBB130_30:                             ;   in Loop: Header=BB130_3 Depth=1
	;; [unrolled: 32-line block ×9, first 2 shown]
	s_wait_xcnt 0x0
	s_or_b32 exec_lo, exec_lo, s3
	v_add_nc_u64_e32 v[176:177], 26, v[138:139]
	v_mov_b64_e32 v[250:251], 0
	s_delay_alu instid0(VALU_DEP_2) | instskip(SKIP_1) | instid1(SALU_CYCLE_1)
	v_cmp_gt_i64_e32 vcc_lo, s[4:5], v[176:177]
	s_and_b32 s18, s2, vcc_lo
	s_and_saveexec_b32 s3, s18
	s_cbranch_execz .LBB130_60
; %bb.59:                               ;   in Loop: Header=BB130_3 Depth=1
	v_add_nc_u64_e32 v[176:177], v[32:33], v[6:7]
	v_add_nc_u64_e32 v[252:253], v[34:35], v[6:7]
	global_load_b64 v[244:245], v[176:177], off
	global_load_b64 v[250:251], v[252:253], off
.LBB130_60:                             ;   in Loop: Header=BB130_3 Depth=1
	s_wait_xcnt 0x0
	s_or_b32 exec_lo, exec_lo, s3
	v_add_nc_u64_e32 v[176:177], 27, v[138:139]
	v_mov_b64_e32 v[252:253], 0
	v_mov_b64_e32 v[254:255], 0
	s_set_vgpr_msb 64                       ;  msbs: dst=1 src0=0 src1=0 src2=0
	v_mov_b64_e32 v[0:1] /*v[256:257]*/, 0
	s_delay_alu instid0(VALU_DEP_4) | instskip(SKIP_1) | instid1(SALU_CYCLE_1)
	v_cmp_gt_i64_e32 vcc_lo, s[4:5], v[176:177]
	s_and_b32 s18, s2, vcc_lo
	s_and_saveexec_b32 s3, s18
	s_set_vgpr_msb 0                        ;  msbs: dst=0 src0=0 src1=0 src2=0
	s_cbranch_execz .LBB130_62
; %bb.61:                               ;   in Loop: Header=BB130_3 Depth=1
	v_add_nc_u64_e32 v[176:177], v[28:29], v[6:7]
	s_set_vgpr_msb 64                       ;  msbs: dst=1 src0=0 src1=0 src2=0
	v_add_nc_u64_e32 v[2:3] /*v[258:259]*/, v[30:31], v[6:7]
	s_set_vgpr_msb 0                        ;  msbs: dst=0 src0=0 src1=0 src2=0
	global_load_b64 v[254:255], v[176:177], off
	s_set_vgpr_msb 0x41                     ;  msbs: dst=1 src0=1 src1=0 src2=0
	global_load_b64 v[0:1] /*v[256:257]*/, v[2:3] /*v[258:259]*/, off
.LBB130_62:                             ;   in Loop: Header=BB130_3 Depth=1
	s_wait_xcnt 0x0
	s_or_b32 exec_lo, exec_lo, s3
	s_set_vgpr_msb 0                        ;  msbs: dst=0 src0=0 src1=0 src2=0
	v_add_nc_u64_e32 v[176:177], 28, v[138:139]
	s_set_vgpr_msb 64                       ;  msbs: dst=1 src0=0 src1=0 src2=0
	v_mov_b64_e32 v[2:3] /*v[258:259]*/, 0
	s_delay_alu instid0(VALU_DEP_2) | instskip(SKIP_1) | instid1(SALU_CYCLE_1)
	v_cmp_gt_i64_e32 vcc_lo, s[4:5], v[176:177]
	s_and_b32 s18, s2, vcc_lo
	s_and_saveexec_b32 s3, s18
	s_set_vgpr_msb 0                        ;  msbs: dst=0 src0=0 src1=0 src2=0
	s_cbranch_execz .LBB130_64
; %bb.63:                               ;   in Loop: Header=BB130_3 Depth=1
	v_add_nc_u64_e32 v[176:177], v[24:25], v[6:7]
	s_set_vgpr_msb 64                       ;  msbs: dst=1 src0=0 src1=0 src2=0
	v_add_nc_u64_e32 v[4:5] /*v[260:261]*/, v[26:27], v[6:7]
	s_set_vgpr_msb 0                        ;  msbs: dst=0 src0=0 src1=0 src2=0
	global_load_b64 v[252:253], v[176:177], off
	s_set_vgpr_msb 0x41                     ;  msbs: dst=1 src0=1 src1=0 src2=0
	global_load_b64 v[2:3] /*v[258:259]*/, v[4:5] /*v[260:261]*/, off
.LBB130_64:                             ;   in Loop: Header=BB130_3 Depth=1
	s_wait_xcnt 0x0
	s_or_b32 exec_lo, exec_lo, s3
	s_set_vgpr_msb 0                        ;  msbs: dst=0 src0=0 src1=0 src2=0
	v_add_nc_u64_e32 v[176:177], 29, v[138:139]
	s_set_vgpr_msb 64                       ;  msbs: dst=1 src0=0 src1=0 src2=0
	v_mov_b64_e32 v[4:5] /*v[260:261]*/, 0
	v_mov_b64_e32 v[8:9] /*v[264:265]*/, 0
	;; [unrolled: 1-line block ×3, first 2 shown]
	s_delay_alu instid0(VALU_DEP_4) | instskip(SKIP_1) | instid1(SALU_CYCLE_1)
	v_cmp_gt_i64_e32 vcc_lo, s[4:5], v[176:177]
	s_and_b32 s18, s2, vcc_lo
	s_and_saveexec_b32 s3, s18
	s_set_vgpr_msb 0                        ;  msbs: dst=0 src0=0 src1=0 src2=0
	s_cbranch_execz .LBB130_66
; %bb.65:                               ;   in Loop: Header=BB130_3 Depth=1
	v_add_nc_u64_e32 v[176:177], v[20:21], v[6:7]
	s_set_vgpr_msb 64                       ;  msbs: dst=1 src0=0 src1=0 src2=0
	v_add_nc_u64_e32 v[6:7] /*v[262:263]*/, v[22:23], v[6:7]
	global_load_b64 v[8:9] /*v[264:265]*/, v[176:177], off
	s_set_vgpr_msb 0x41                     ;  msbs: dst=1 src0=1 src1=0 src2=0
	global_load_b64 v[10:11] /*v[266:267]*/, v[6:7] /*v[262:263]*/, off
.LBB130_66:                             ;   in Loop: Header=BB130_3 Depth=1
	s_wait_xcnt 0x0
	s_or_b32 exec_lo, exec_lo, s3
	s_set_vgpr_msb 0                        ;  msbs: dst=0 src0=0 src1=0 src2=0
	v_add_nc_u64_e32 v[176:177], 30, v[138:139]
	s_set_vgpr_msb 64                       ;  msbs: dst=1 src0=0 src1=0 src2=0
	v_mov_b64_e32 v[12:13] /*v[268:269]*/, 0
	s_delay_alu instid0(VALU_DEP_2) | instskip(SKIP_1) | instid1(SALU_CYCLE_1)
	v_cmp_gt_i64_e32 vcc_lo, s[4:5], v[176:177]
	s_and_b32 s18, s2, vcc_lo
	s_and_saveexec_b32 s3, s18
	s_set_vgpr_msb 0                        ;  msbs: dst=0 src0=0 src1=0 src2=0
	s_cbranch_execz .LBB130_68
; %bb.67:                               ;   in Loop: Header=BB130_3 Depth=1
	v_add_nc_u64_e32 v[176:177], v[16:17], v[6:7]
	s_set_vgpr_msb 64                       ;  msbs: dst=1 src0=0 src1=0 src2=0
	v_add_nc_u64_e32 v[6:7] /*v[262:263]*/, v[18:19], v[6:7]
	global_load_b64 v[4:5] /*v[260:261]*/, v[176:177], off
	s_set_vgpr_msb 0x41                     ;  msbs: dst=1 src0=1 src1=0 src2=0
	global_load_b64 v[12:13] /*v[268:269]*/, v[6:7] /*v[262:263]*/, off
.LBB130_68:                             ;   in Loop: Header=BB130_3 Depth=1
	s_wait_xcnt 0x0
	s_or_b32 exec_lo, exec_lo, s3
	s_set_vgpr_msb 0                        ;  msbs: dst=0 src0=0 src1=0 src2=0
	v_add_nc_u64_e32 v[176:177], 31, v[138:139]
	s_delay_alu instid0(VALU_DEP_1) | instskip(SKIP_2) | instid1(SALU_CYCLE_1)
	v_cmp_gt_i64_e32 vcc_lo, s[4:5], v[176:177]
	v_mov_b64_e32 v[176:177], 0
	s_and_b32 s18, s2, vcc_lo
	s_and_saveexec_b32 s3, s18
	s_cbranch_execz .LBB130_70
; %bb.69:                               ;   in Loop: Header=BB130_3 Depth=1
	v_add_nc_u64_e32 v[176:177], v[12:13], v[6:7]
	s_set_vgpr_msb 64                       ;  msbs: dst=1 src0=0 src1=0 src2=0
	v_add_nc_u64_e32 v[6:7] /*v[262:263]*/, v[14:15], v[6:7]
	global_load_b64 v[16:17] /*v[272:273]*/, v[176:177], off
	s_set_vgpr_msb 0x41                     ;  msbs: dst=1 src0=1 src1=0 src2=0
	global_load_b64 v[18:19] /*v[274:275]*/, v[6:7] /*v[262:263]*/, off
	s_wait_loadcnt 0x0
	s_set_vgpr_msb 5                        ;  msbs: dst=0 src0=1 src1=1 src2=0
	v_mul_f64_e32 v[176:177], v[16:17] /*v[272:273]*/, v[18:19] /*v[274:275]*/
.LBB130_70:                             ;   in Loop: Header=BB130_3 Depth=1
	s_or_b32 exec_lo, exec_lo, s3
	s_wait_loadcnt 0x0
	s_set_vgpr_msb 0                        ;  msbs: dst=0 src0=0 src1=0 src2=0
	v_mul_f64_e32 v[142:143], v[142:143], v[144:145]
	ds_bpermute_b32 v144, v3, v140
	ds_bpermute_b32 v145, v3, v141
	v_mul_f64_e32 v[148:149], v[148:149], v[150:151]
	s_mov_b32 s3, 0
	s_wait_dscnt 0x0
	s_set_vgpr_msb 64                       ;  msbs: dst=1 src0=0 src1=0 src2=0
	v_fma_f64 v[6:7] /*v[262:263]*/, v[142:143], v[144:145], v[136:137]
	s_set_vgpr_msb 0                        ;  msbs: dst=0 src0=0 src1=0 src2=0
	ds_bpermute_b32 v142, v3, v140 offset:4
	ds_bpermute_b32 v143, v3, v141 offset:4
	v_mul_f64_e32 v[144:145], v[146:147], v[152:153]
	v_mul_f64_e32 v[146:147], v[156:157], v[158:159]
	s_wait_dscnt 0x0
	s_set_vgpr_msb 64                       ;  msbs: dst=1 src0=0 src1=0 src2=0
	v_fmac_f64_e32 v[6:7] /*v[262:263]*/, v[148:149], v[142:143]
	s_set_vgpr_msb 0                        ;  msbs: dst=0 src0=0 src1=0 src2=0
	ds_bpermute_b32 v142, v3, v140 offset:8
	ds_bpermute_b32 v143, v3, v141 offset:8
	s_wait_dscnt 0x0
	s_set_vgpr_msb 64                       ;  msbs: dst=1 src0=0 src1=0 src2=0
	v_fmac_f64_e32 v[6:7] /*v[262:263]*/, v[144:145], v[142:143]
	s_set_vgpr_msb 0                        ;  msbs: dst=0 src0=0 src1=0 src2=0
	ds_bpermute_b32 v142, v3, v140 offset:12
	ds_bpermute_b32 v143, v3, v141 offset:12
	v_mul_f64_e32 v[144:145], v[154:155], v[160:161]
	s_wait_dscnt 0x0
	s_set_vgpr_msb 64                       ;  msbs: dst=1 src0=0 src1=0 src2=0
	v_fmac_f64_e32 v[6:7] /*v[262:263]*/, v[146:147], v[142:143]
	s_set_vgpr_msb 0                        ;  msbs: dst=0 src0=0 src1=0 src2=0
	ds_bpermute_b32 v142, v3, v140 offset:16
	ds_bpermute_b32 v143, v3, v141 offset:16
	v_mul_f64_e32 v[146:147], v[164:165], v[166:167]
	;; [unrolled: 7-line block ×23, first 2 shown]
	s_wait_dscnt 0x0
	s_set_vgpr_msb 64                       ;  msbs: dst=1 src0=0 src1=0 src2=0
	v_fmac_f64_e32 v[6:7] /*v[262:263]*/, v[146:147], v[142:143]
	s_set_vgpr_msb 0                        ;  msbs: dst=0 src0=0 src1=0 src2=0
	ds_bpermute_b32 v142, v3, v140 offset:104
	ds_bpermute_b32 v143, v3, v141 offset:104
	s_set_vgpr_msb 4                        ;  msbs: dst=0 src0=0 src1=1 src2=0
	v_mul_f64_e32 v[146:147], v[254:255], v[0:1] /*v[256:257]*/
	s_wait_dscnt 0x0
	s_set_vgpr_msb 64                       ;  msbs: dst=1 src0=0 src1=0 src2=0
	v_fmac_f64_e32 v[6:7] /*v[262:263]*/, v[144:145], v[142:143]
	s_set_vgpr_msb 0                        ;  msbs: dst=0 src0=0 src1=0 src2=0
	ds_bpermute_b32 v142, v3, v140 offset:108
	ds_bpermute_b32 v143, v3, v141 offset:108
	s_set_vgpr_msb 4                        ;  msbs: dst=0 src0=0 src1=1 src2=0
	v_mul_f64_e32 v[144:145], v[252:253], v[2:3] /*v[258:259]*/
	s_wait_dscnt 0x0
	s_set_vgpr_msb 64                       ;  msbs: dst=1 src0=0 src1=0 src2=0
	v_fmac_f64_e32 v[6:7] /*v[262:263]*/, v[146:147], v[142:143]
	s_set_vgpr_msb 0                        ;  msbs: dst=0 src0=0 src1=0 src2=0
	ds_bpermute_b32 v142, v3, v140 offset:112
	ds_bpermute_b32 v143, v3, v141 offset:112
	s_set_vgpr_msb 5                        ;  msbs: dst=0 src0=1 src1=1 src2=0
	v_mul_f64_e32 v[146:147], v[8:9] /*v[264:265]*/, v[10:11] /*v[266:267]*/
	s_wait_dscnt 0x0
	s_set_vgpr_msb 64                       ;  msbs: dst=1 src0=0 src1=0 src2=0
	v_fmac_f64_e32 v[6:7] /*v[262:263]*/, v[144:145], v[142:143]
	s_set_vgpr_msb 0                        ;  msbs: dst=0 src0=0 src1=0 src2=0
	ds_bpermute_b32 v142, v3, v140 offset:116
	ds_bpermute_b32 v143, v3, v141 offset:116
	;; [unrolled: 1-line block ×6, first 2 shown]
	s_wait_dscnt 0x4
	s_set_vgpr_msb 64                       ;  msbs: dst=1 src0=0 src1=0 src2=0
	v_fmac_f64_e32 v[6:7] /*v[262:263]*/, v[146:147], v[142:143]
	s_set_vgpr_msb 5                        ;  msbs: dst=0 src0=1 src1=1 src2=0
	v_mul_f64_e32 v[142:143], v[4:5] /*v[260:261]*/, v[12:13] /*v[268:269]*/
	s_wait_dscnt 0x2
	s_set_vgpr_msb 64                       ;  msbs: dst=1 src0=0 src1=0 src2=0
	s_delay_alu instid0(VALU_DEP_1)
	v_fmac_f64_e32 v[6:7] /*v[262:263]*/, v[142:143], v[144:145]
.LBB130_71:                             ;   in Loop: Header=BB130_3 Depth=1
	s_and_b32 vcc_lo, exec_lo, s3
	s_set_vgpr_msb 0                        ;  msbs: dst=0 src0=0 src1=0 src2=0
	s_cbranch_vccz .LBB130_137
; %bb.72:                               ;   in Loop: Header=BB130_3 Depth=1
	s_load_b32 s3, s[22:23], 0x0
	s_wait_dscnt 0x0
	v_mov_b64_e32 v[140:141], 0
	s_wait_kmcnt 0x0
	s_cmp_lt_u32 s12, s3
	s_cselect_b32 s18, 12, 18
	s_delay_alu instid0(SALU_CYCLE_1)
	s_add_nc_u64 s[34:35], s[22:23], s[18:19]
	s_load_u16 s3, s[34:35], 0x0
	s_wait_kmcnt 0x0
	s_set_vgpr_msb 16                       ;  msbs: dst=0 src0=0 src1=0 src2=1
	v_mad_u32_u24 v2, v1, s3, v14 /*v270*/
	s_mov_b32 s3, exec_lo
	s_delay_alu instid0(VALU_DEP_1) | instskip(NEXT) | instid1(VALU_DEP_1)
	v_and_b32_e32 v2, 31, v2
	v_add_nc_u64_e32 v[142:143], v[138:139], v[2:3]
	v_mov_b64_e32 v[138:139], 0
	s_delay_alu instid0(VALU_DEP_2)
	v_cmpx_gt_i64_e64 s[4:5], v[142:143]
	s_set_vgpr_msb 0                        ;  msbs: dst=0 src0=0 src1=0 src2=0
	s_cbranch_execz .LBB130_74
; %bb.73:                               ;   in Loop: Header=BB130_3 Depth=1
	v_lshl_add_u64 v[138:139], v[142:143], 3, s[14:15]
	global_load_b64 v[138:139], v[138:139], off
.LBB130_74:                             ;   in Loop: Header=BB130_3 Depth=1
	s_wait_xcnt 0x0
	s_or_b32 exec_lo, exec_lo, s3
	v_mov_b64_e32 v[142:143], 0
	s_and_saveexec_b32 s3, s2
	s_cbranch_execz .LBB130_76
; %bb.75:                               ;   in Loop: Header=BB130_3 Depth=1
	v_add_nc_u64_e32 v[144:145], v[8:9], v[6:7]
	v_add_nc_u64_e32 v[146:147], v[10:11], v[6:7]
	global_load_b64 v[140:141], v[144:145], off
	global_load_b64 v[142:143], v[146:147], off
.LBB130_76:                             ;   in Loop: Header=BB130_3 Depth=1
	s_wait_xcnt 0x0
	s_or_b32 exec_lo, exec_lo, s3
	v_mov_b64_e32 v[144:145], 0
	v_mov_b64_e32 v[146:147], 0
	v_mov_b64_e32 v[148:149], 0
	s_and_saveexec_b32 s3, s2
	s_cbranch_execz .LBB130_78
; %bb.77:                               ;   in Loop: Header=BB130_3 Depth=1
	v_add_nc_u64_e32 v[150:151], v[132:133], v[6:7]
	v_add_nc_u64_e32 v[152:153], v[134:135], v[6:7]
	global_load_b64 v[146:147], v[150:151], off
	global_load_b64 v[148:149], v[152:153], off
.LBB130_78:                             ;   in Loop: Header=BB130_3 Depth=1
	s_wait_xcnt 0x0
	s_or_b32 exec_lo, exec_lo, s3
	v_mov_b64_e32 v[152:153], 0
	s_and_saveexec_b32 s3, s2
	s_cbranch_execz .LBB130_80
; %bb.79:                               ;   in Loop: Header=BB130_3 Depth=1
	v_add_nc_u64_e32 v[150:151], v[128:129], v[6:7]
	v_add_nc_u64_e32 v[154:155], v[130:131], v[6:7]
	global_load_b64 v[144:145], v[150:151], off
	global_load_b64 v[152:153], v[154:155], off
.LBB130_80:                             ;   in Loop: Header=BB130_3 Depth=1
	s_wait_xcnt 0x0
	s_or_b32 exec_lo, exec_lo, s3
	v_mov_b64_e32 v[150:151], 0
	v_mov_b64_e32 v[154:155], 0
	v_mov_b64_e32 v[156:157], 0
	s_and_saveexec_b32 s3, s2
	s_cbranch_execz .LBB130_82
; %bb.81:                               ;   in Loop: Header=BB130_3 Depth=1
	v_add_nc_u64_e32 v[158:159], v[124:125], v[6:7]
	v_add_nc_u64_e32 v[160:161], v[126:127], v[6:7]
	global_load_b64 v[154:155], v[158:159], off
	global_load_b64 v[156:157], v[160:161], off
.LBB130_82:                             ;   in Loop: Header=BB130_3 Depth=1
	;; [unrolled: 24-line block ×6, first 2 shown]
	s_wait_xcnt 0x0
	s_or_b32 exec_lo, exec_lo, s3
	v_mov_b64_e32 v[194:195], 0
	s_and_saveexec_b32 s3, s2
	s_cbranch_execz .LBB130_100
; %bb.99:                               ;   in Loop: Header=BB130_3 Depth=1
	v_add_nc_u64_e32 v[176:177], v[88:89], v[6:7]
	v_add_nc_u64_e32 v[192:193], v[90:91], v[6:7]
	global_load_b64 v[184:185], v[176:177], off
	global_load_b64 v[194:195], v[192:193], off
.LBB130_100:                            ;   in Loop: Header=BB130_3 Depth=1
	s_wait_xcnt 0x0
	s_or_b32 exec_lo, exec_lo, s3
	v_mov_b64_e32 v[192:193], 0
	v_mov_b64_e32 v[196:197], 0
	v_mov_b64_e32 v[198:199], 0
	s_and_saveexec_b32 s3, s2
	s_cbranch_execz .LBB130_102
; %bb.101:                              ;   in Loop: Header=BB130_3 Depth=1
	v_add_nc_u64_e32 v[176:177], v[84:85], v[6:7]
	v_add_nc_u64_e32 v[200:201], v[86:87], v[6:7]
	global_load_b64 v[196:197], v[176:177], off
	global_load_b64 v[198:199], v[200:201], off
.LBB130_102:                            ;   in Loop: Header=BB130_3 Depth=1
	s_wait_xcnt 0x0
	s_or_b32 exec_lo, exec_lo, s3
	v_mov_b64_e32 v[202:203], 0
	s_and_saveexec_b32 s3, s2
	s_cbranch_execz .LBB130_104
; %bb.103:                              ;   in Loop: Header=BB130_3 Depth=1
	v_add_nc_u64_e32 v[176:177], v[80:81], v[6:7]
	v_add_nc_u64_e32 v[200:201], v[82:83], v[6:7]
	global_load_b64 v[192:193], v[176:177], off
	global_load_b64 v[202:203], v[200:201], off
.LBB130_104:                            ;   in Loop: Header=BB130_3 Depth=1
	s_wait_xcnt 0x0
	s_or_b32 exec_lo, exec_lo, s3
	v_mov_b64_e32 v[200:201], 0
	v_mov_b64_e32 v[204:205], 0
	v_mov_b64_e32 v[206:207], 0
	s_and_saveexec_b32 s3, s2
	s_cbranch_execz .LBB130_106
; %bb.105:                              ;   in Loop: Header=BB130_3 Depth=1
	v_add_nc_u64_e32 v[176:177], v[76:77], v[6:7]
	v_add_nc_u64_e32 v[208:209], v[78:79], v[6:7]
	global_load_b64 v[204:205], v[176:177], off
	global_load_b64 v[206:207], v[208:209], off
.LBB130_106:                            ;   in Loop: Header=BB130_3 Depth=1
	s_wait_xcnt 0x0
	s_or_b32 exec_lo, exec_lo, s3
	v_mov_b64_e32 v[210:211], 0
	s_and_saveexec_b32 s3, s2
	s_cbranch_execz .LBB130_108
; %bb.107:                              ;   in Loop: Header=BB130_3 Depth=1
	v_add_nc_u64_e32 v[176:177], v[72:73], v[6:7]
	v_add_nc_u64_e32 v[208:209], v[74:75], v[6:7]
	global_load_b64 v[200:201], v[176:177], off
	global_load_b64 v[210:211], v[208:209], off
.LBB130_108:                            ;   in Loop: Header=BB130_3 Depth=1
	;; [unrolled: 24-line block ×7, first 2 shown]
	s_wait_xcnt 0x0
	s_or_b32 exec_lo, exec_lo, s3
	v_mov_b64_e32 v[248:249], 0
	v_mov_b64_e32 v[252:253], 0
	;; [unrolled: 1-line block ×3, first 2 shown]
	s_and_saveexec_b32 s3, s2
	s_cbranch_execz .LBB130_130
; %bb.129:                              ;   in Loop: Header=BB130_3 Depth=1
	v_add_nc_u64_e32 v[176:177], v[28:29], v[6:7]
	s_set_vgpr_msb 64                       ;  msbs: dst=1 src0=0 src1=0 src2=0
	v_add_nc_u64_e32 v[0:1] /*v[256:257]*/, v[30:31], v[6:7]
	s_set_vgpr_msb 0                        ;  msbs: dst=0 src0=0 src1=0 src2=0
	global_load_b64 v[252:253], v[176:177], off
	s_set_vgpr_msb 1                        ;  msbs: dst=0 src0=1 src1=0 src2=0
	global_load_b64 v[254:255], v[0:1] /*v[256:257]*/, off
.LBB130_130:                            ;   in Loop: Header=BB130_3 Depth=1
	s_wait_xcnt 0x0
	s_or_b32 exec_lo, exec_lo, s3
	s_set_vgpr_msb 64                       ;  msbs: dst=1 src0=0 src1=0 src2=0
	v_mov_b64_e32 v[2:3] /*v[258:259]*/, 0
	s_and_saveexec_b32 s3, s2
	s_set_vgpr_msb 0                        ;  msbs: dst=0 src0=0 src1=0 src2=0
	s_cbranch_execz .LBB130_132
; %bb.131:                              ;   in Loop: Header=BB130_3 Depth=1
	v_add_nc_u64_e32 v[176:177], v[24:25], v[6:7]
	s_set_vgpr_msb 64                       ;  msbs: dst=1 src0=0 src1=0 src2=0
	v_add_nc_u64_e32 v[0:1] /*v[256:257]*/, v[26:27], v[6:7]
	s_set_vgpr_msb 0                        ;  msbs: dst=0 src0=0 src1=0 src2=0
	global_load_b64 v[248:249], v[176:177], off
	s_set_vgpr_msb 0x41                     ;  msbs: dst=1 src0=1 src1=0 src2=0
	global_load_b64 v[2:3] /*v[258:259]*/, v[0:1] /*v[256:257]*/, off
.LBB130_132:                            ;   in Loop: Header=BB130_3 Depth=1
	s_wait_xcnt 0x0
	s_or_b32 exec_lo, exec_lo, s3
	s_set_vgpr_msb 64                       ;  msbs: dst=1 src0=0 src1=0 src2=0
	v_mov_b64_e32 v[0:1] /*v[256:257]*/, 0
	v_mov_b64_e32 v[4:5] /*v[260:261]*/, 0
	;; [unrolled: 1-line block ×3, first 2 shown]
	s_and_saveexec_b32 s3, s2
	s_set_vgpr_msb 0                        ;  msbs: dst=0 src0=0 src1=0 src2=0
	s_cbranch_execnz .LBB130_139
; %bb.133:                              ;   in Loop: Header=BB130_3 Depth=1
	s_or_b32 exec_lo, exec_lo, s3
	s_set_vgpr_msb 64                       ;  msbs: dst=1 src0=0 src1=0 src2=0
	v_mov_b64_e32 v[8:9] /*v[264:265]*/, 0
	s_and_saveexec_b32 s3, s2
	s_set_vgpr_msb 0                        ;  msbs: dst=0 src0=0 src1=0 src2=0
	s_cbranch_execnz .LBB130_140
.LBB130_134:                            ;   in Loop: Header=BB130_3 Depth=1
	s_or_b32 exec_lo, exec_lo, s3
	v_mov_b64_e32 v[176:177], 0
	s_and_saveexec_b32 s3, s2
	s_cbranch_execz .LBB130_136
.LBB130_135:                            ;   in Loop: Header=BB130_3 Depth=1
	v_add_nc_u64_e32 v[176:177], v[12:13], v[6:7]
	s_set_vgpr_msb 64                       ;  msbs: dst=1 src0=0 src1=0 src2=0
	v_add_nc_u64_e32 v[10:11] /*v[266:267]*/, v[14:15], v[6:7]
	global_load_b64 v[12:13] /*v[268:269]*/, v[176:177], off
	s_set_vgpr_msb 0x41                     ;  msbs: dst=1 src0=1 src1=0 src2=0
	global_load_b64 v[16:17] /*v[272:273]*/, v[10:11] /*v[266:267]*/, off
	s_wait_loadcnt 0x0
	s_set_vgpr_msb 5                        ;  msbs: dst=0 src0=1 src1=1 src2=0
	v_mul_f64_e32 v[176:177], v[12:13] /*v[268:269]*/, v[16:17] /*v[272:273]*/
.LBB130_136:                            ;   in Loop: Header=BB130_3 Depth=1
	s_or_b32 exec_lo, exec_lo, s3
	s_wait_loadcnt 0x0
	s_set_vgpr_msb 0                        ;  msbs: dst=0 src0=0 src1=0 src2=0
	v_mul_f64_e32 v[140:141], v[140:141], v[142:143]
	ds_bpermute_b32 v142, v3, v138
	ds_bpermute_b32 v143, v3, v139
	v_mul_f64_e32 v[146:147], v[146:147], v[148:149]
	s_wait_dscnt 0x0
	v_fmac_f64_e32 v[136:137], v[140:141], v[142:143]
	ds_bpermute_b32 v140, v3, v138 offset:4
	ds_bpermute_b32 v141, v3, v139 offset:4
	v_mul_f64_e32 v[142:143], v[144:145], v[152:153]
	v_mul_f64_e32 v[144:145], v[154:155], v[156:157]
	s_wait_dscnt 0x0
	v_fmac_f64_e32 v[136:137], v[146:147], v[140:141]
	ds_bpermute_b32 v140, v3, v138 offset:8
	ds_bpermute_b32 v141, v3, v139 offset:8
	s_wait_dscnt 0x0
	v_fmac_f64_e32 v[136:137], v[142:143], v[140:141]
	ds_bpermute_b32 v140, v3, v138 offset:12
	ds_bpermute_b32 v141, v3, v139 offset:12
	v_mul_f64_e32 v[142:143], v[150:151], v[160:161]
	s_wait_dscnt 0x0
	v_fmac_f64_e32 v[136:137], v[144:145], v[140:141]
	ds_bpermute_b32 v140, v3, v138 offset:16
	ds_bpermute_b32 v141, v3, v139 offset:16
	v_mul_f64_e32 v[144:145], v[162:163], v[164:165]
	;; [unrolled: 5-line block ×24, first 2 shown]
	s_wait_dscnt 0x0
	v_fmac_f64_e32 v[136:137], v[142:143], v[140:141]
	ds_bpermute_b32 v140, v3, v138 offset:108
	ds_bpermute_b32 v141, v3, v139 offset:108
	s_set_vgpr_msb 4                        ;  msbs: dst=0 src0=0 src1=1 src2=0
	v_mul_f64_e32 v[142:143], v[248:249], v[2:3] /*v[258:259]*/
	s_wait_dscnt 0x0
	s_set_vgpr_msb 0                        ;  msbs: dst=0 src0=0 src1=0 src2=0
	v_fmac_f64_e32 v[136:137], v[144:145], v[140:141]
	ds_bpermute_b32 v140, v3, v138 offset:112
	ds_bpermute_b32 v141, v3, v139 offset:112
	s_set_vgpr_msb 5                        ;  msbs: dst=0 src0=1 src1=1 src2=0
	v_mul_f64_e32 v[144:145], v[4:5] /*v[260:261]*/, v[6:7] /*v[262:263]*/
	s_wait_dscnt 0x0
	s_set_vgpr_msb 0                        ;  msbs: dst=0 src0=0 src1=0 src2=0
	v_fmac_f64_e32 v[136:137], v[142:143], v[140:141]
	ds_bpermute_b32 v140, v3, v138 offset:116
	ds_bpermute_b32 v141, v3, v139 offset:116
	;; [unrolled: 1-line block ×4, first 2 shown]
	s_wait_dscnt 0x2
	v_fmac_f64_e32 v[136:137], v[144:145], v[140:141]
	s_set_vgpr_msb 5                        ;  msbs: dst=0 src0=1 src1=1 src2=0
	v_mul_f64_e32 v[140:141], v[0:1] /*v[256:257]*/, v[8:9] /*v[264:265]*/
	s_wait_dscnt 0x0
	s_set_vgpr_msb 0                        ;  msbs: dst=0 src0=0 src1=0 src2=0
	s_delay_alu instid0(VALU_DEP_1)
	v_fmac_f64_e32 v[136:137], v[140:141], v[142:143]
	ds_bpermute_b32 v140, v3, v138 offset:124
	ds_bpermute_b32 v141, v3, v139 offset:124
	s_set_vgpr_msb 64                       ;  msbs: dst=1 src0=0 src1=0 src2=0
	v_mov_b64_e32 v[6:7] /*v[262:263]*/, v[136:137]
.LBB130_137:                            ;   in Loop: Header=BB130_3 Depth=1
	s_wait_dscnt 0x0
	s_set_vgpr_msb 64                       ;  msbs: dst=1 src0=0 src1=0 src2=0
	s_delay_alu instid0(VALU_DEP_1)
	v_fmac_f64_e32 v[6:7] /*v[262:263]*/, v[176:177], v[140:141]
	s_add_nc_u64 s[28:29], s[28:29], s[20:21]
	s_set_vgpr_msb 0                        ;  msbs: dst=0 src0=0 src1=0 src2=0
	v_add_nc_u64_e32 v[8:9], s[24:25], v[8:9]
	v_cmp_lt_i64_e64 s3, s[28:29], s[4:5]
	v_add_nc_u64_e32 v[10:11], s[24:25], v[10:11]
	v_add_nc_u64_e32 v[12:13], s[24:25], v[12:13]
	;; [unrolled: 1-line block ×64, first 2 shown]
	s_and_b32 vcc_lo, exec_lo, s3
	s_add_nc_u64 s[26:27], s[26:27], s[20:21]
	s_cbranch_vccz .LBB130_142
; %bb.138:                              ;   in Loop: Header=BB130_3 Depth=1
	s_set_vgpr_msb 1                        ;  msbs: dst=0 src0=1 src1=0 src2=0
	v_mov_b64_e32 v[136:137], v[6:7] /*v[262:263]*/
	s_set_vgpr_msb 0                        ;  msbs: dst=0 src0=0 src1=0 src2=0
	s_branch .LBB130_3
.LBB130_139:                            ;   in Loop: Header=BB130_3 Depth=1
	v_add_nc_u64_e32 v[176:177], v[20:21], v[6:7]
	s_set_vgpr_msb 64                       ;  msbs: dst=1 src0=0 src1=0 src2=0
	v_add_nc_u64_e32 v[8:9] /*v[264:265]*/, v[22:23], v[6:7]
	global_load_b64 v[4:5] /*v[260:261]*/, v[176:177], off
	s_set_vgpr_msb 0x41                     ;  msbs: dst=1 src0=1 src1=0 src2=0
	global_load_b64 v[6:7] /*v[262:263]*/, v[8:9] /*v[264:265]*/, off
	s_wait_xcnt 0x0
	s_or_b32 exec_lo, exec_lo, s3
	v_mov_b64_e32 v[8:9] /*v[264:265]*/, 0
	s_and_saveexec_b32 s3, s2
	s_set_vgpr_msb 0                        ;  msbs: dst=0 src0=0 src1=0 src2=0
	s_cbranch_execz .LBB130_134
.LBB130_140:                            ;   in Loop: Header=BB130_3 Depth=1
	v_add_nc_u64_e32 v[176:177], v[16:17], v[6:7]
	s_set_vgpr_msb 64                       ;  msbs: dst=1 src0=0 src1=0 src2=0
	v_add_nc_u64_e32 v[10:11] /*v[266:267]*/, v[18:19], v[6:7]
	global_load_b64 v[0:1] /*v[256:257]*/, v[176:177], off
	s_set_vgpr_msb 0x41                     ;  msbs: dst=1 src0=1 src1=0 src2=0
	global_load_b64 v[8:9] /*v[264:265]*/, v[10:11] /*v[266:267]*/, off
	s_wait_xcnt 0x0
	s_or_b32 exec_lo, exec_lo, s3
	s_set_vgpr_msb 0                        ;  msbs: dst=0 src0=0 src1=0 src2=0
	v_mov_b64_e32 v[176:177], 0
	s_and_saveexec_b32 s3, s2
	s_cbranch_execnz .LBB130_135
	s_branch .LBB130_136
.LBB130_141:
                                        ; implicit-def: $vgpr262_vgpr263
	s_load_b64 s[2:3], s[0:1], 0x30
	s_branch .LBB130_143
.LBB130_142:
	s_load_b64 s[2:3], s[0:1], 0x30
	s_cbranch_execnz .LBB130_219
.LBB130_143:
	s_set_vgpr_msb 64                       ;  msbs: dst=1 src0=0 src1=0 src2=0
	v_mov_b64_e32 v[6:7] /*v[262:263]*/, 0
	s_and_not1_b32 vcc_lo, exec_lo, s31
	s_set_vgpr_msb 0                        ;  msbs: dst=0 src0=0 src1=0 src2=0
	s_cbranch_vccnz .LBB130_219
; %bb.144:
	v_and_b32_e32 v1, 0x3ff, v0
	v_mov_b32_e32 v3, 0
	s_set_vgpr_msb 64                       ;  msbs: dst=1 src0=0 src1=0 src2=0
	v_bfe_u32 v136 /*v392*/, v0, 10, 10
	s_mov_b32 s19, 0
	v_mov_b64_e32 v[4:5] /*v[260:261]*/, 0
	s_set_vgpr_msb 0                        ;  msbs: dst=0 src0=0 src1=0 src2=0
	v_add_nc_u32_e32 v2, s13, v1
	s_load_b32 s13, s[0:1], 0x44
	s_mov_b32 s21, s19
	s_mov_b64 s[22:23], 31
	s_mov_b64 s[24:25], s[16:17]
	v_lshlrev_b64_e32 v[4:5], 3, v[2:3]
	s_set_vgpr_msb 4                        ;  msbs: dst=0 src0=0 src1=1 src2=0
	v_lshlrev_b32_e32 v2, 8, v136 /*v392*/
	s_delay_alu instid0(VALU_DEP_1) | instskip(SKIP_1) | instid1(VALU_DEP_1)
	v_lshl_add_u64 v[124:125], s[16:17], 3, v[2:3]
	s_set_vgpr_msb 0                        ;  msbs: dst=0 src0=0 src1=0 src2=0
	v_add_nc_u64_e32 v[22:23], 8, v[124:125]
	v_add_nc_u64_e32 v[26:27], 24, v[124:125]
	;; [unrolled: 1-line block ×7, first 2 shown]
	v_mad_nc_u64_u32 v[6:7], s6, v22, s[8:9]
	v_mul_lo_u32 v2, s6, v23
	v_mul_lo_u32 v30, s7, v22
	v_mad_nc_u64_u32 v[10:11], s6, v26, s[8:9]
	v_mul_lo_u32 v44, s6, v27
	v_mul_lo_u32 v45, s7, v26
	v_mad_nc_u64_u32 v[22:23], s6, v22, s[10:11]
	v_mad_nc_u64_u32 v[26:27], s6, v26, s[10:11]
	v_add_nc_u64_e32 v[32:33], 40, v[124:125]
	v_add_nc_u64_e32 v[34:35], 48, v[124:125]
	;; [unrolled: 1-line block ×3, first 2 shown]
	v_mad_nc_u64_u32 v[18:19], s6, v36, s[8:9]
	v_mul_lo_u32 v56, s6, v37
	v_mul_lo_u32 v57, s7, v36
	v_add3_u32 v7, v30, v7, v2
	v_mad_nc_u64_u32 v[36:37], s6, v36, s[10:11]
	v_add3_u32 v11, v45, v11, v44
	v_add3_u32 v23, v30, v23, v2
	v_mad_nc_u64_u32 v[30:31], s6, v42, s[8:9]
	v_mul_lo_u32 v2, s6, v43
	v_add3_u32 v27, v45, v27, v44
	v_mul_lo_u32 v60, s7, v42
	v_mad_nc_u64_u32 v[42:43], s6, v42, s[10:11]
	v_mad_nc_u64_u32 v[44:45], s6, v48, s[8:9]
	v_mul_lo_u32 v61, s6, v49
	v_mul_lo_u32 v62, s7, v48
	v_mad_nc_u64_u32 v[48:49], s6, v48, s[10:11]
	v_mad_nc_u64_u32 v[8:9], s6, v24, s[8:9]
	v_mul_lo_u32 v40, s6, v25
	v_mul_lo_u32 v41, s7, v24
	v_mad_nc_u64_u32 v[12:13], s6, v28, s[8:9]
	v_mul_lo_u32 v50, s6, v29
	v_mul_lo_u32 v51, s7, v28
	v_mad_nc_u64_u32 v[24:25], s6, v24, s[10:11]
	v_mad_nc_u64_u32 v[28:29], s6, v28, s[10:11]
	v_add_nc_u64_e32 v[64:65], 0x78, v[124:125]
	v_mad_nc_u64_u32 v[14:15], s6, v32, s[8:9]
	v_mul_lo_u32 v52, s6, v33
	v_mul_lo_u32 v53, s7, v32
	v_mad_nc_u64_u32 v[16:17], s6, v34, s[8:9]
	v_mul_lo_u32 v54, s6, v35
	v_mul_lo_u32 v55, s7, v34
	;; [unrolled: 3-line block ×3, first 2 shown]
	v_mad_nc_u64_u32 v[32:33], s6, v32, s[10:11]
	v_mad_nc_u64_u32 v[34:35], s6, v34, s[10:11]
	v_add_nc_u64_e32 v[46:47], 0x50, v[124:125]
	v_mad_nc_u64_u32 v[38:39], s6, v38, s[10:11]
	v_add3_u32 v19, v57, v19, v56
	v_add3_u32 v37, v57, v37, v56
	;; [unrolled: 1-line block ×5, first 2 shown]
	v_add_nc_u64_e32 v[56:57], 0x68, v[124:125]
	v_add3_u32 v49, v62, v49, v61
	v_add_nc_u64_e32 v[60:61], 0x70, v[124:125]
	v_mul_lo_u32 v76, s6, v65
	v_mul_lo_u32 v77, s7, v64
	v_mad_nc_u64_u32 v[62:63], s6, v64, s[8:9]
	v_mad_nc_u64_u32 v[64:65], s6, v64, s[10:11]
	v_add3_u32 v9, v41, v9, v40
	v_add3_u32 v13, v51, v13, v50
	;; [unrolled: 1-line block ×4, first 2 shown]
	v_mad_nc_u64_u32 v[40:41], s6, v46, s[8:9]
	v_mul_lo_u32 v50, s6, v47
	v_mul_lo_u32 v51, s7, v46
	v_mad_nc_u64_u32 v[46:47], s6, v46, s[10:11]
	v_add3_u32 v15, v53, v15, v52
	v_add3_u32 v17, v55, v17, v54
	;; [unrolled: 1-line block ×6, first 2 shown]
	v_add_nc_u64_e32 v[52:53], 0x60, v[124:125]
	v_mul_lo_u32 v71, s6, v57
	v_mul_lo_u32 v72, s7, v56
	v_mad_nc_u64_u32 v[54:55], s6, v56, s[8:9]
	v_mad_nc_u64_u32 v[56:57], s6, v56, s[10:11]
	v_mul_lo_u32 v74, s6, v61
	v_mul_lo_u32 v75, s7, v60
	v_add_nc_u64_e32 v[68:69], 0x80, v[124:125]
	v_mad_nc_u64_u32 v[58:59], s6, v60, s[8:9]
	v_mad_nc_u64_u32 v[60:61], s6, v60, s[10:11]
	v_add3_u32 v63, v77, v63, v76
	v_add3_u32 v65, v77, v65, v76
	v_add_nc_u64_e32 v[76:77], 0x90, v[124:125]
	v_add_nc_u64_e32 v[84:85], 0xa0, v[124:125]
	v_add3_u32 v41, v51, v41, v50
	v_add3_u32 v47, v51, v47, v50
	v_mad_nc_u64_u32 v[50:51], s6, v52, s[8:9]
	v_mul_lo_u32 v2, s6, v53
	v_mul_lo_u32 v70, s7, v52
	v_mad_nc_u64_u32 v[52:53], s6, v52, s[10:11]
	v_mul_lo_u32 v78, s6, v69
	v_mul_lo_u32 v79, s7, v68
	v_mad_nc_u64_u32 v[66:67], s6, v68, s[8:9]
	v_mad_nc_u64_u32 v[68:69], s6, v68, s[10:11]
	v_add3_u32 v55, v72, v55, v71
	v_add3_u32 v57, v72, v57, v71
	v_add3_u32 v59, v75, v59, v74
	v_add_nc_u64_e32 v[72:73], 0x88, v[124:125]
	v_add3_u32 v61, v75, v61, v74
	v_add_nc_u64_e32 v[80:81], 0x98, v[124:125]
	v_mul_lo_u32 v91, s6, v77
	v_mul_lo_u32 v92, s7, v76
	v_mad_nc_u64_u32 v[74:75], s6, v76, s[8:9]
	v_mad_nc_u64_u32 v[76:77], s6, v76, s[10:11]
	v_mul_lo_u32 v96, s6, v85
	v_mul_lo_u32 v97, s7, v84
	v_mad_nc_u64_u32 v[82:83], s6, v84, s[8:9]
	v_mad_nc_u64_u32 v[84:85], s6, v84, s[10:11]
	v_add3_u32 v51, v70, v51, v2
	v_add3_u32 v53, v70, v53, v2
	;; [unrolled: 1-line block ×4, first 2 shown]
	v_mul_lo_u32 v2, s6, v73
	v_mul_lo_u32 v90, s7, v72
	v_mad_nc_u64_u32 v[70:71], s6, v72, s[8:9]
	v_mad_nc_u64_u32 v[72:73], s6, v72, s[10:11]
	v_mul_lo_u32 v94, s6, v81
	v_mul_lo_u32 v95, s7, v80
	v_mad_nc_u64_u32 v[78:79], s6, v80, s[8:9]
	v_mad_nc_u64_u32 v[80:81], s6, v80, s[10:11]
	v_add3_u32 v75, v92, v75, v91
	v_add3_u32 v77, v92, v77, v91
	v_add_nc_u64_e32 v[92:93], 0xb0, v[124:125]
	v_add3_u32 v83, v97, v83, v96
	v_add3_u32 v85, v97, v85, v96
	v_add_nc_u64_e32 v[96:97], 0xb8, v[124:125]
	;; [unrolled: 3-line block ×3, first 2 shown]
	v_add3_u32 v79, v95, v79, v94
	v_add3_u32 v81, v95, v81, v94
	v_mul_lo_u32 v2, s6, v93
	v_mul_lo_u32 v110, s7, v92
	v_mad_nc_u64_u32 v[90:91], s6, v92, s[8:9]
	v_mad_nc_u64_u32 v[92:93], s6, v92, s[10:11]
	v_mul_lo_u32 v111, s6, v97
	v_mul_lo_u32 v112, s7, v96
	v_mad_nc_u64_u32 v[94:95], s6, v96, s[8:9]
	v_mad_nc_u64_u32 v[96:97], s6, v96, s[10:11]
	v_add_nc_u64_e32 v[104:105], 0xc8, v[124:125]
	v_mul_lo_u32 v118, s6, v109
	v_mul_lo_u32 v119, s7, v108
	v_mad_nc_u64_u32 v[106:107], s6, v108, s[8:9]
	v_mad_nc_u64_u32 v[108:109], s6, v108, s[10:11]
	v_add3_u32 v91, v110, v91, v2
	v_add3_u32 v93, v110, v93, v2
	s_set_vgpr_msb 4                        ;  msbs: dst=0 src0=0 src1=1 src2=0
	v_lshlrev_b32_e32 v110, 5, v136 /*v392*/
	s_set_vgpr_msb 0                        ;  msbs: dst=0 src0=0 src1=0 src2=0
	v_add_nc_u64_e32 v[88:89], 0xa8, v[124:125]
	v_add3_u32 v95, v112, v95, v111
	v_add3_u32 v97, v112, v97, v111
	v_mov_b32_e32 v111, v3
	v_mul_lo_u32 v116, s6, v105
	v_mul_lo_u32 v117, s7, v104
	v_mad_nc_u64_u32 v[102:103], s6, v104, s[8:9]
	v_mad_nc_u64_u32 v[104:105], s6, v104, s[10:11]
	v_add_nc_u64_e32 v[196:197], s[16:17], v[110:111]
	v_mul_lo_u32 v98, s6, v89
	v_mul_lo_u32 v99, s7, v88
	v_mad_nc_u64_u32 v[86:87], s6, v88, s[8:9]
	v_mad_nc_u64_u32 v[88:89], s6, v88, s[10:11]
	v_add3_u32 v107, v119, v107, v118
	v_add3_u32 v109, v119, v109, v118
	v_add_nc_u64_e32 v[130:131], 30, v[196:197]
	v_add_nc_u64_e32 v[128:129], 31, v[196:197]
	;; [unrolled: 1-line block ×6, first 2 shown]
	v_add3_u32 v103, v117, v103, v116
	v_mul_u64_e32 v[136:137], s[6:7], v[130:131]
	v_add_nc_u64_e32 v[130:131], 29, v[196:197]
	v_mul_u64_e32 v[132:133], s[6:7], v[128:129]
	v_add3_u32 v105, v117, v105, v116
	v_mul_lo_u32 v143, s6, v119
	v_mul_lo_u32 v144, s7, v118
	v_mad_nc_u64_u32 v[116:117], s6, v118, s[8:9]
	v_mad_nc_u64_u32 v[118:119], s6, v118, s[10:11]
	v_mul_u64_e32 v[140:141], s[6:7], v[130:131]
	v_mul_lo_u32 v145, s6, v123
	v_mul_lo_u32 v146, s7, v122
	v_mad_nc_u64_u32 v[120:121], s6, v122, s[8:9]
	v_mad_nc_u64_u32 v[122:123], s6, v122, s[10:11]
	v_mul_u64_e32 v[138:139], s[6:7], v[138:139]
	v_add3_u32 v87, v99, v87, v98
	v_add3_u32 v89, v99, v89, v98
	v_mul_lo_u32 v113, s6, v101
	v_mul_lo_u32 v114, s7, v100
	v_mad_nc_u64_u32 v[98:99], s6, v100, s[8:9]
	v_mad_nc_u64_u32 v[100:101], s6, v100, s[10:11]
	v_add_nc_u64_e32 v[126:127], 0xf0, v[124:125]
	v_add3_u32 v117, v144, v117, v143
	v_add3_u32 v119, v144, v119, v143
	;; [unrolled: 1-line block ×4, first 2 shown]
	v_add_nc_u64_e32 v[144:145], 25, v[196:197]
	v_add_nc_u64_e32 v[134:135], 0xf8, v[124:125]
	v_mul_lo_u32 v147, s6, v127
	v_mul_lo_u32 v148, s7, v126
	v_add3_u32 v99, v114, v99, v113
	v_add3_u32 v101, v114, v101, v113
	v_add_nc_u64_e32 v[114:115], 0xd8, v[124:125]
	v_mad_nc_u64_u32 v[124:125], s6, v126, s[8:9]
	v_mad_nc_u64_u32 v[126:127], s6, v126, s[10:11]
	v_mul_u64_e32 v[156:157], s[6:7], v[144:145]
	v_add_nc_u64_e32 v[144:145], 22, v[196:197]
	v_mul_u64_e32 v[236:237], s[6:7], v[196:197]
	v_lshlrev_b64_e32 v[152:153], 3, v[136:137]
	v_add_nc_u64_e32 v[136:137], 24, v[196:197]
	v_mul_lo_u32 v2, s6, v115
	v_lshlrev_b64_e32 v[160:161], 3, v[140:141]
	v_mul_lo_u32 v142, s7, v114
	v_mul_u64_e32 v[166:167], s[6:7], v[144:145]
	v_add3_u32 v125, v148, v125, v147
	v_add3_u32 v127, v148, v127, v147
	v_lshlrev_b64_e32 v[146:147], 3, v[132:133]
	v_add_nc_u64_e32 v[144:145], 19, v[196:197]
	v_mul_u64_e32 v[158:159], s[6:7], v[136:137]
	v_lshlrev_b64_e32 v[164:165], 3, v[138:139]
	v_mad_nc_u64_u32 v[112:113], s6, v114, s[8:9]
	v_mad_nc_u64_u32 v[114:115], s6, v114, s[10:11]
	v_mul_lo_u32 v135, s6, v135
	v_add_nc_u64_e32 v[136:137], s[8:9], v[146:147]
	v_add_nc_u64_e32 v[138:139], s[10:11], v[146:147]
	v_mul_u64_e32 v[176:177], s[6:7], v[144:145]
	v_add_nc_u64_e32 v[144:145], s[8:9], v[160:161]
	v_add_nc_u64_e32 v[146:147], s[10:11], v[160:161]
	;; [unrolled: 1-line block ×3, first 2 shown]
	v_mul_lo_u32 v149, s7, v134
	v_mad_nc_u64_u32 v[128:129], s6, v134, s[8:9]
	v_mad_nc_u64_u32 v[130:131], s6, v134, s[10:11]
	v_add_nc_u64_e32 v[204:205], 11, v[196:197]
	v_add3_u32 v113, v142, v113, v2
	v_add3_u32 v115, v142, v115, v2
	v_mul_u64_e32 v[200:201], s[6:7], v[160:161]
	v_add_nc_u64_e32 v[142:143], 26, v[196:197]
	v_add_nc_u64_e32 v[186:187], 14, v[196:197]
	;; [unrolled: 1-line block ×3, first 2 shown]
	v_mul_u64_e32 v[210:211], s[6:7], v[204:205]
	v_add_nc_u64_e32 v[204:205], 9, v[196:197]
	v_add3_u32 v129, v149, v129, v135
	v_add3_u32 v131, v149, v131, v135
	v_add_nc_u64_e32 v[134:135], 27, v[196:197]
	v_lshlrev_b64_e32 v[148:149], 3, v[236:237]
	v_mul_u64_e32 v[154:155], s[6:7], v[142:143]
	v_add_nc_u64_e32 v[142:143], 23, v[196:197]
	v_add_nc_u64_e32 v[140:141], 20, v[196:197]
	;; [unrolled: 1-line block ×3, first 2 shown]
	v_mul_u64_e32 v[202:203], s[6:7], v[186:187]
	v_mul_u64_e32 v[150:151], s[6:7], v[134:135]
	v_add_nc_u64_e32 v[132:133], s[8:9], v[148:149]
	v_add_nc_u64_e32 v[134:135], s[10:11], v[148:149]
	;; [unrolled: 1-line block ×5, first 2 shown]
	v_mul_u64_e32 v[218:219], s[6:7], v[204:205]
	v_mul_u64_e32 v[220:221], s[6:7], v[212:213]
	v_add_nc_u64_e32 v[204:205], 6, v[196:197]
	v_add_nc_u64_e32 v[212:213], 5, v[196:197]
	v_mul_u64_e32 v[162:163], s[6:7], v[142:143]
	v_mul_u64_e32 v[168:169], s[6:7], v[148:149]
	v_add_nc_u64_e32 v[148:149], 18, v[196:197]
	v_mul_u64_e32 v[172:173], s[6:7], v[140:141]
	v_add_nc_u64_e32 v[170:171], 17, v[196:197]
	v_add_nc_u64_e32 v[140:141], s[8:9], v[152:153]
	v_add_nc_u64_e32 v[142:143], s[10:11], v[152:153]
	v_add_nc_u64_e32 v[152:153], 16, v[196:197]
	v_mul_u64_e32 v[206:207], s[6:7], v[192:193]
	v_add_nc_u64_e32 v[192:193], 10, v[196:197]
	v_mul_u64_e32 v[208:209], s[6:7], v[186:187]
	v_mul_u64_e32 v[222:223], s[6:7], v[214:215]
	v_add_nc_u64_e32 v[214:215], 4, v[196:197]
	v_mul_u64_e32 v[228:229], s[6:7], v[204:205]
	v_lshlrev_b64_e32 v[204:205], 3, v[200:201]
	v_mul_u64_e32 v[238:239], s[6:7], v[212:213]
	v_add_nc_u64_e32 v[200:201], 3, v[196:197]
	v_add_nc_u64_e32 v[212:213], 2, v[196:197]
	v_mul_u64_e32 v[178:179], s[6:7], v[148:149]
	v_mul_u64_e32 v[180:181], s[6:7], v[170:171]
	v_mul_u64_e32 v[198:199], s[6:7], v[152:153]
	v_mul_u64_e32 v[216:217], s[6:7], v[192:193]
	v_mul_u64_e32 v[240:241], s[6:7], v[214:215]
	v_mul_u64_e32 v[242:243], s[6:7], v[200:201]
	v_mul_u64_e32 v[244:245], s[6:7], v[212:213]
	v_lshlrev_b64_e32 v[170:171], 3, v[150:151]
	v_add_nc_u64_e32 v[148:149], s[8:9], v[164:165]
	v_add_nc_u64_e32 v[150:151], s[10:11], v[164:165]
	v_lshlrev_b64_e32 v[164:165], 3, v[154:155]
	v_lshlrev_b64_e32 v[174:175], 3, v[156:157]
	;; [unrolled: 1-line block ×4, first 2 shown]
	v_add_nc_u64_e32 v[152:153], s[8:9], v[170:171]
	v_add_nc_u64_e32 v[154:155], s[10:11], v[170:171]
	v_lshlrev_b64_e32 v[170:171], 3, v[158:159]
	v_lshlrev_b64_e32 v[182:183], 3, v[162:163]
	v_add_nc_u64_e32 v[252:253], s[6:7], v[236:237]
	v_add_nc_u64_e32 v[156:157], s[8:9], v[164:165]
	v_add_nc_u64_e32 v[158:159], s[10:11], v[164:165]
	v_add_nc_u64_e32 v[160:161], s[8:9], v[174:175]
	v_lshlrev_b64_e32 v[224:225], 3, v[206:207]
	v_add_nc_u64_e32 v[162:163], s[10:11], v[174:175]
	v_lshlrev_b64_e32 v[226:227], 3, v[208:209]
	v_lshlrev_b64_e32 v[174:175], 3, v[166:167]
	v_add_nc_u64_e32 v[164:165], s[8:9], v[170:171]
	v_add_nc_u64_e32 v[166:167], s[10:11], v[170:171]
	v_lshlrev_b64_e32 v[184:185], 3, v[168:169]
	v_add_nc_u64_e32 v[168:169], s[8:9], v[182:183]
	v_add_nc_u64_e32 v[170:171], s[10:11], v[182:183]
	v_lshlrev_b64_e32 v[182:183], 3, v[172:173]
	v_lshlrev_b64_e32 v[188:189], 3, v[176:177]
	v_lshlrev_b64_e32 v[190:191], 3, v[178:179]
	v_lshlrev_b64_e32 v[194:195], 3, v[180:181]
	v_lshlrev_b64_e32 v[198:199], 3, v[198:199]
	v_add_nc_u64_e32 v[200:201], s[8:9], v[204:205]
	v_add_nc_u64_e32 v[202:203], s[10:11], v[204:205]
	;; [unrolled: 1-line block ×6, first 2 shown]
	v_lshlrev_b64_e32 v[224:225], 3, v[216:217]
	v_add_nc_u64_e32 v[212:213], s[8:9], v[226:227]
	v_add_nc_u64_e32 v[214:215], s[10:11], v[226:227]
	v_lshlrev_b64_e32 v[226:227], 3, v[218:219]
	v_add_nc_u64_e32 v[216:217], s[8:9], v[230:231]
	v_add_nc_u64_e32 v[218:219], s[10:11], v[230:231]
	v_lshlrev_b64_e32 v[230:231], 3, v[220:221]
	v_lshlrev_b64_e32 v[234:235], 3, v[222:223]
	;; [unrolled: 1-line block ×6, first 2 shown]
	s_set_vgpr_msb 64                       ;  msbs: dst=1 src0=0 src1=0 src2=0
	v_lshlrev_b64_e32 v[0:1] /*v[256:257]*/, 3, v[244:245]
	v_lshlrev_b64_e32 v[2:3] /*v[258:259]*/, 3, v[252:253]
	s_set_vgpr_msb 0                        ;  msbs: dst=0 src0=0 src1=0 src2=0
	v_add_nc_u64_e32 v[172:173], s[8:9], v[174:175]
	v_add_nc_u64_e32 v[174:175], s[10:11], v[174:175]
	;; [unrolled: 1-line block ×30, first 2 shown]
	s_set_vgpr_msb 4                        ;  msbs: dst=0 src0=0 src1=1 src2=0
	v_add_nc_u64_e32 v[252:253], s[8:9], v[0:1] /*v[256:257]*/
	v_add_nc_u64_e32 v[254:255], s[10:11], v[0:1] /*v[256:257]*/
	s_set_vgpr_msb 0x44                     ;  msbs: dst=1 src0=0 src1=1 src2=0
	v_add_nc_u64_e32 v[0:1] /*v[256:257]*/, s[8:9], v[2:3] /*v[258:259]*/
	v_add_nc_u64_e32 v[2:3] /*v[258:259]*/, s[10:11], v[2:3] /*v[258:259]*/
	s_wait_kmcnt 0x0
	s_lshl_b32 s20, s13, 5
	s_add_nc_u64 s[8:9], s[0:1], 64
	s_mul_u64 s[10:11], s[6:7], s[20:21]
	s_delay_alu instid0(SALU_CYCLE_1)
	s_lshl_b64 s[10:11], s[10:11], 3
.LBB130_145:                            ; =>This Inner Loop Header: Depth=1
	s_add_nc_u64 s[26:27], s[16:17], s[22:23]
	s_set_vgpr_msb 64                       ;  msbs: dst=1 src0=0 src1=0 src2=0
	v_add_nc_u64_e32 v[8:9] /*v[264:265]*/, s[16:17], v[110:111]
	v_cmp_ge_i64_e64 s13, s[26:27], s[4:5]
                                        ; implicit-def: $vgpr262_vgpr263
	s_and_b32 vcc_lo, exec_lo, s13
	s_mov_b32 s13, -1
	s_set_vgpr_msb 0                        ;  msbs: dst=0 src0=0 src1=0 src2=0
	s_cbranch_vccz .LBB130_213
; %bb.146:                              ;   in Loop: Header=BB130_145 Depth=1
	s_load_b32 s13, s[8:9], 0xc
	s_set_vgpr_msb 64                       ;  msbs: dst=1 src0=0 src1=0 src2=0
	v_mov_b64_e32 v[6:7] /*v[262:263]*/, 0
	v_mov_b64_e32 v[10:11] /*v[266:267]*/, 0
	s_wait_kmcnt 0x0
	s_and_b32 s13, s13, 0xffff
	s_set_vgpr_msb 1                        ;  msbs: dst=0 src0=1 src1=0 src2=0
	v_mad_u32_u24 v2, v136 /*v392*/, s13, v1
	s_mov_b32 s13, exec_lo
	s_delay_alu instid0(VALU_DEP_1) | instskip(SKIP_1) | instid1(VALU_DEP_1)
	v_and_b32_e32 v2, 31, v2
	s_set_vgpr_msb 0x41                     ;  msbs: dst=1 src0=1 src1=0 src2=0
	v_add_nc_u64_e32 v[12:13] /*v[268:269]*/, v[8:9] /*v[264:265]*/, v[2:3]
	s_set_vgpr_msb 4                        ;  msbs: dst=0 src0=0 src1=1 src2=0
	s_delay_alu instid0(VALU_DEP_1)
	v_cmpx_gt_i64_e64 s[4:5], v[12:13] /*v[268:269]*/
	s_set_vgpr_msb 0                        ;  msbs: dst=0 src0=0 src1=0 src2=0
	s_cbranch_execz .LBB130_148
; %bb.147:                              ;   in Loop: Header=BB130_145 Depth=1
	s_set_vgpr_msb 0x41                     ;  msbs: dst=1 src0=1 src1=0 src2=0
	v_lshl_add_u64 v[10:11] /*v[266:267]*/, v[12:13] /*v[268:269]*/, 3, s[14:15]
	global_load_b64 v[10:11] /*v[266:267]*/, v[10:11] /*v[266:267]*/, off
.LBB130_148:                            ;   in Loop: Header=BB130_145 Depth=1
	s_wait_xcnt 0x0
	s_or_b32 exec_lo, exec_lo, s13
	s_set_vgpr_msb 64                       ;  msbs: dst=1 src0=0 src1=0 src2=0
	v_mov_b64_e32 v[12:13] /*v[268:269]*/, 0
	s_mov_b32 s13, exec_lo
	s_set_vgpr_msb 4                        ;  msbs: dst=0 src0=0 src1=1 src2=0
	v_cmpx_gt_i64_e64 s[4:5], v[8:9] /*v[264:265]*/
	s_set_vgpr_msb 0                        ;  msbs: dst=0 src0=0 src1=0 src2=0
	s_cbranch_execz .LBB130_150
; %bb.149:                              ;   in Loop: Header=BB130_145 Depth=1
	s_set_vgpr_msb 64                       ;  msbs: dst=1 src0=0 src1=0 src2=0
	v_add_nc_u64_e32 v[14:15] /*v[270:271]*/, v[132:133], v[4:5]
	v_add_nc_u64_e32 v[16:17] /*v[272:273]*/, v[134:135], v[4:5]
	s_set_vgpr_msb 0x41                     ;  msbs: dst=1 src0=1 src1=0 src2=0
	global_load_b64 v[6:7] /*v[262:263]*/, v[14:15] /*v[270:271]*/, off
	global_load_b64 v[12:13] /*v[268:269]*/, v[16:17] /*v[272:273]*/, off
.LBB130_150:                            ;   in Loop: Header=BB130_145 Depth=1
	s_wait_xcnt 0x0
	s_or_b32 exec_lo, exec_lo, s13
	s_set_vgpr_msb 0x44                     ;  msbs: dst=1 src0=0 src1=1 src2=0
	v_add_nc_u64_e32 v[18:19] /*v[274:275]*/, 1, v[8:9] /*v[264:265]*/
	v_mov_b64_e32 v[14:15] /*v[270:271]*/, 0
	v_mov_b64_e32 v[16:17] /*v[272:273]*/, 0
	s_delay_alu instid0(VALU_DEP_3)
	v_cmp_gt_i64_e32 vcc_lo, s[4:5], v[18:19] /*v[274:275]*/
	v_mov_b64_e32 v[18:19] /*v[274:275]*/, 0
	s_and_saveexec_b32 s13, vcc_lo
	s_set_vgpr_msb 0                        ;  msbs: dst=0 src0=0 src1=0 src2=0
	s_cbranch_execz .LBB130_152
; %bb.151:                              ;   in Loop: Header=BB130_145 Depth=1
	s_set_vgpr_msb 0x41                     ;  msbs: dst=1 src0=1 src1=0 src2=0
	v_add_nc_u64_e32 v[20:21] /*v[276:277]*/, v[0:1] /*v[256:257]*/, v[4:5]
	v_add_nc_u64_e32 v[22:23] /*v[278:279]*/, v[2:3] /*v[258:259]*/, v[4:5]
	global_load_b64 v[16:17] /*v[272:273]*/, v[20:21] /*v[276:277]*/, off
	global_load_b64 v[18:19] /*v[274:275]*/, v[22:23] /*v[278:279]*/, off
.LBB130_152:                            ;   in Loop: Header=BB130_145 Depth=1
	s_wait_xcnt 0x0
	s_or_b32 exec_lo, exec_lo, s13
	s_set_vgpr_msb 0x44                     ;  msbs: dst=1 src0=0 src1=1 src2=0
	v_add_nc_u64_e32 v[20:21] /*v[276:277]*/, 2, v[8:9] /*v[264:265]*/
	s_delay_alu instid0(VALU_DEP_1)
	v_cmp_gt_i64_e32 vcc_lo, s[4:5], v[20:21] /*v[276:277]*/
	v_mov_b64_e32 v[20:21] /*v[276:277]*/, 0
	s_and_saveexec_b32 s13, vcc_lo
	s_set_vgpr_msb 0                        ;  msbs: dst=0 src0=0 src1=0 src2=0
	s_cbranch_execz .LBB130_154
; %bb.153:                              ;   in Loop: Header=BB130_145 Depth=1
	s_set_vgpr_msb 64                       ;  msbs: dst=1 src0=0 src1=0 src2=0
	v_add_nc_u64_e32 v[22:23] /*v[278:279]*/, v[252:253], v[4:5]
	v_add_nc_u64_e32 v[24:25] /*v[280:281]*/, v[254:255], v[4:5]
	s_set_vgpr_msb 0x41                     ;  msbs: dst=1 src0=1 src1=0 src2=0
	global_load_b64 v[14:15] /*v[270:271]*/, v[22:23] /*v[278:279]*/, off
	global_load_b64 v[20:21] /*v[276:277]*/, v[24:25] /*v[280:281]*/, off
.LBB130_154:                            ;   in Loop: Header=BB130_145 Depth=1
	s_wait_xcnt 0x0
	s_or_b32 exec_lo, exec_lo, s13
	s_set_vgpr_msb 0x44                     ;  msbs: dst=1 src0=0 src1=1 src2=0
	v_add_nc_u64_e32 v[26:27] /*v[282:283]*/, 3, v[8:9] /*v[264:265]*/
	v_mov_b64_e32 v[22:23] /*v[278:279]*/, 0
	v_mov_b64_e32 v[24:25] /*v[280:281]*/, 0
	s_delay_alu instid0(VALU_DEP_3)
	v_cmp_gt_i64_e32 vcc_lo, s[4:5], v[26:27] /*v[282:283]*/
	v_mov_b64_e32 v[26:27] /*v[282:283]*/, 0
	s_and_saveexec_b32 s13, vcc_lo
	s_set_vgpr_msb 0                        ;  msbs: dst=0 src0=0 src1=0 src2=0
	s_cbranch_execz .LBB130_156
; %bb.155:                              ;   in Loop: Header=BB130_145 Depth=1
	s_set_vgpr_msb 64                       ;  msbs: dst=1 src0=0 src1=0 src2=0
	v_add_nc_u64_e32 v[28:29] /*v[284:285]*/, v[248:249], v[4:5]
	v_add_nc_u64_e32 v[30:31] /*v[286:287]*/, v[250:251], v[4:5]
	s_set_vgpr_msb 0x41                     ;  msbs: dst=1 src0=1 src1=0 src2=0
	global_load_b64 v[24:25] /*v[280:281]*/, v[28:29] /*v[284:285]*/, off
	global_load_b64 v[26:27] /*v[282:283]*/, v[30:31] /*v[286:287]*/, off
.LBB130_156:                            ;   in Loop: Header=BB130_145 Depth=1
	s_wait_xcnt 0x0
	s_or_b32 exec_lo, exec_lo, s13
	s_set_vgpr_msb 0x44                     ;  msbs: dst=1 src0=0 src1=1 src2=0
	v_add_nc_u64_e32 v[28:29] /*v[284:285]*/, 4, v[8:9] /*v[264:265]*/
	s_delay_alu instid0(VALU_DEP_1)
	v_cmp_gt_i64_e32 vcc_lo, s[4:5], v[28:29] /*v[284:285]*/
	v_mov_b64_e32 v[28:29] /*v[284:285]*/, 0
	s_and_saveexec_b32 s13, vcc_lo
	s_set_vgpr_msb 0                        ;  msbs: dst=0 src0=0 src1=0 src2=0
	s_cbranch_execz .LBB130_158
; %bb.157:                              ;   in Loop: Header=BB130_145 Depth=1
	s_set_vgpr_msb 64                       ;  msbs: dst=1 src0=0 src1=0 src2=0
	v_add_nc_u64_e32 v[30:31] /*v[286:287]*/, v[244:245], v[4:5]
	v_add_nc_u64_e32 v[32:33] /*v[288:289]*/, v[246:247], v[4:5]
	s_set_vgpr_msb 0x41                     ;  msbs: dst=1 src0=1 src1=0 src2=0
	global_load_b64 v[22:23] /*v[278:279]*/, v[30:31] /*v[286:287]*/, off
	global_load_b64 v[28:29] /*v[284:285]*/, v[32:33] /*v[288:289]*/, off
.LBB130_158:                            ;   in Loop: Header=BB130_145 Depth=1
	s_wait_xcnt 0x0
	s_or_b32 exec_lo, exec_lo, s13
	s_set_vgpr_msb 0x44                     ;  msbs: dst=1 src0=0 src1=1 src2=0
	v_add_nc_u64_e32 v[34:35] /*v[290:291]*/, 5, v[8:9] /*v[264:265]*/
	v_mov_b64_e32 v[30:31] /*v[286:287]*/, 0
	v_mov_b64_e32 v[32:33] /*v[288:289]*/, 0
	s_delay_alu instid0(VALU_DEP_3)
	v_cmp_gt_i64_e32 vcc_lo, s[4:5], v[34:35] /*v[290:291]*/
	v_mov_b64_e32 v[34:35] /*v[290:291]*/, 0
	s_and_saveexec_b32 s13, vcc_lo
	s_set_vgpr_msb 0                        ;  msbs: dst=0 src0=0 src1=0 src2=0
	s_cbranch_execz .LBB130_160
; %bb.159:                              ;   in Loop: Header=BB130_145 Depth=1
	s_set_vgpr_msb 64                       ;  msbs: dst=1 src0=0 src1=0 src2=0
	v_add_nc_u64_e32 v[36:37] /*v[292:293]*/, v[240:241], v[4:5]
	v_add_nc_u64_e32 v[38:39] /*v[294:295]*/, v[242:243], v[4:5]
	s_set_vgpr_msb 0x41                     ;  msbs: dst=1 src0=1 src1=0 src2=0
	global_load_b64 v[32:33] /*v[288:289]*/, v[36:37] /*v[292:293]*/, off
	global_load_b64 v[34:35] /*v[290:291]*/, v[38:39] /*v[294:295]*/, off
.LBB130_160:                            ;   in Loop: Header=BB130_145 Depth=1
	;; [unrolled: 38-line block ×14, first 2 shown]
	s_wait_xcnt 0x0
	s_or_b32 exec_lo, exec_lo, s13
	s_set_vgpr_msb 0x44                     ;  msbs: dst=1 src0=0 src1=1 src2=0
	v_add_nc_u64_e32 v[132:133] /*v[388:389]*/, 30, v[8:9] /*v[264:265]*/
	s_delay_alu instid0(VALU_DEP_1)
	v_cmp_gt_i64_e32 vcc_lo, s[4:5], v[132:133] /*v[388:389]*/
	v_mov_b64_e32 v[132:133] /*v[388:389]*/, 0
	s_and_saveexec_b32 s13, vcc_lo
	s_set_vgpr_msb 0                        ;  msbs: dst=0 src0=0 src1=0 src2=0
	s_cbranch_execz .LBB130_210
; %bb.209:                              ;   in Loop: Header=BB130_145 Depth=1
	s_set_vgpr_msb 64                       ;  msbs: dst=1 src0=0 src1=0 src2=0
	v_add_nc_u64_e32 v[134:135] /*v[390:391]*/, v[140:141], v[4:5]
	v_add_nc_u64_e32 v[138:139] /*v[394:395]*/, v[142:143], v[4:5]
	s_set_vgpr_msb 0x41                     ;  msbs: dst=1 src0=1 src1=0 src2=0
	global_load_b64 v[126:127] /*v[382:383]*/, v[134:135] /*v[390:391]*/, off
	global_load_b64 v[132:133] /*v[388:389]*/, v[138:139] /*v[394:395]*/, off
.LBB130_210:                            ;   in Loop: Header=BB130_145 Depth=1
	s_wait_xcnt 0x0
	s_or_b32 exec_lo, exec_lo, s13
	s_set_vgpr_msb 0x44                     ;  msbs: dst=1 src0=0 src1=1 src2=0
	v_add_nc_u64_e32 v[134:135] /*v[390:391]*/, 31, v[8:9] /*v[264:265]*/
	s_delay_alu instid0(VALU_DEP_1)
	v_cmp_gt_i64_e32 vcc_lo, s[4:5], v[134:135] /*v[390:391]*/
	v_mov_b64_e32 v[134:135] /*v[390:391]*/, 0
	s_and_saveexec_b32 s13, vcc_lo
	s_set_vgpr_msb 0                        ;  msbs: dst=0 src0=0 src1=0 src2=0
	s_cbranch_execz .LBB130_212
; %bb.211:                              ;   in Loop: Header=BB130_145 Depth=1
	s_set_vgpr_msb 64                       ;  msbs: dst=1 src0=0 src1=0 src2=0
	v_add_nc_u64_e32 v[134:135] /*v[390:391]*/, v[136:137], v[4:5]
	v_add_nc_u64_e32 v[138:139] /*v[394:395]*/, v[138:139], v[4:5]
	s_set_vgpr_msb 0x45                     ;  msbs: dst=1 src0=1 src1=1 src2=0
	global_load_b64 v[140:141] /*v[396:397]*/, v[134:135] /*v[390:391]*/, off
	global_load_b64 v[142:143] /*v[398:399]*/, v[138:139] /*v[394:395]*/, off
	s_wait_loadcnt 0x0
	v_mul_f64_e32 v[134:135] /*v[390:391]*/, v[140:141] /*v[396:397]*/, v[142:143] /*v[398:399]*/
.LBB130_212:                            ;   in Loop: Header=BB130_145 Depth=1
	s_or_b32 exec_lo, exec_lo, s13
	s_wait_loadcnt 0x0
	s_set_vgpr_msb 0x45                     ;  msbs: dst=1 src0=1 src1=1 src2=0
	v_mul_f64_e32 v[6:7] /*v[262:263]*/, v[6:7] /*v[262:263]*/, v[12:13] /*v[268:269]*/
	s_set_vgpr_msb 0x44                     ;  msbs: dst=1 src0=0 src1=1 src2=0
	ds_bpermute_b32 v12 /*v268*/, v3, v10 /*v266*/
	ds_bpermute_b32 v13 /*v269*/, v3, v11 /*v267*/
	s_set_vgpr_msb 0x55                     ;  msbs: dst=1 src0=1 src1=1 src2=1
	v_mul_f64_e32 v[16:17] /*v[272:273]*/, v[16:17] /*v[272:273]*/, v[18:19] /*v[274:275]*/
	v_mul_f64_e32 v[14:15] /*v[270:271]*/, v[14:15] /*v[270:271]*/, v[20:21] /*v[276:277]*/
	s_mov_b32 s13, 0
	s_wait_dscnt 0x0
	v_fma_f64 v[6:7] /*v[262:263]*/, v[6:7] /*v[262:263]*/, v[12:13] /*v[268:269]*/, v[4:5] /*v[260:261]*/
	s_set_vgpr_msb 0x44                     ;  msbs: dst=1 src0=0 src1=1 src2=0
	ds_bpermute_b32 v12 /*v268*/, v3, v10 /*v266*/ offset:4
	ds_bpermute_b32 v13 /*v269*/, v3, v11 /*v267*/ offset:4
	s_wait_dscnt 0x0
	s_set_vgpr_msb 0x45                     ;  msbs: dst=1 src0=1 src1=1 src2=0
	v_fmac_f64_e32 v[6:7] /*v[262:263]*/, v[16:17] /*v[272:273]*/, v[12:13] /*v[268:269]*/
	s_set_vgpr_msb 0x44                     ;  msbs: dst=1 src0=0 src1=1 src2=0
	ds_bpermute_b32 v12 /*v268*/, v3, v10 /*v266*/ offset:8
	ds_bpermute_b32 v13 /*v269*/, v3, v11 /*v267*/ offset:8
	s_set_vgpr_msb 0x45                     ;  msbs: dst=1 src0=1 src1=1 src2=0
	v_mul_f64_e32 v[16:17] /*v[272:273]*/, v[24:25] /*v[280:281]*/, v[26:27] /*v[282:283]*/
	s_wait_dscnt 0x0
	v_fmac_f64_e32 v[6:7] /*v[262:263]*/, v[14:15] /*v[270:271]*/, v[12:13] /*v[268:269]*/
	s_set_vgpr_msb 0x44                     ;  msbs: dst=1 src0=0 src1=1 src2=0
	ds_bpermute_b32 v12 /*v268*/, v3, v10 /*v266*/ offset:12
	ds_bpermute_b32 v13 /*v269*/, v3, v11 /*v267*/ offset:12
	s_set_vgpr_msb 0x45                     ;  msbs: dst=1 src0=1 src1=1 src2=0
	v_mul_f64_e32 v[14:15] /*v[270:271]*/, v[22:23] /*v[278:279]*/, v[28:29] /*v[284:285]*/
	s_wait_dscnt 0x0
	;; [unrolled: 7-line block ×27, first 2 shown]
	v_fmac_f64_e32 v[6:7] /*v[262:263]*/, v[14:15] /*v[270:271]*/, v[12:13] /*v[268:269]*/
	s_set_vgpr_msb 0x44                     ;  msbs: dst=1 src0=0 src1=1 src2=0
	ds_bpermute_b32 v12 /*v268*/, v3, v10 /*v266*/ offset:116
	ds_bpermute_b32 v13 /*v269*/, v3, v11 /*v267*/ offset:116
	;; [unrolled: 1-line block ×6, first 2 shown]
	s_wait_dscnt 0x4
	s_set_vgpr_msb 0x45                     ;  msbs: dst=1 src0=1 src1=1 src2=0
	v_fmac_f64_e32 v[6:7] /*v[262:263]*/, v[16:17] /*v[272:273]*/, v[12:13] /*v[268:269]*/
	v_mul_f64_e32 v[12:13] /*v[268:269]*/, v[126:127] /*v[382:383]*/, v[132:133] /*v[388:389]*/
	s_wait_dscnt 0x2
	s_delay_alu instid0(VALU_DEP_1) | instskip(SKIP_1) | instid1(VALU_DEP_1)
	v_fmac_f64_e32 v[6:7] /*v[262:263]*/, v[12:13] /*v[268:269]*/, v[14:15] /*v[270:271]*/
	s_wait_dscnt 0x0
	v_fmac_f64_e32 v[6:7] /*v[262:263]*/, v[134:135] /*v[390:391]*/, v[10:11] /*v[266:267]*/
.LBB130_213:                            ;   in Loop: Header=BB130_145 Depth=1
	s_and_b32 vcc_lo, exec_lo, s13
	s_set_vgpr_msb 0                        ;  msbs: dst=0 src0=0 src1=0 src2=0
	s_cbranch_vccz .LBB130_217
; %bb.214:                              ;   in Loop: Header=BB130_145 Depth=1
	s_load_b32 s13, s[8:9], 0x0
	s_set_vgpr_msb 64                       ;  msbs: dst=1 src0=0 src1=0 src2=0
	v_mov_b64_e32 v[6:7] /*v[262:263]*/, 0
	s_wait_kmcnt 0x0
	s_cmp_lt_u32 s12, s13
	s_cselect_b32 s18, 12, 18
	s_delay_alu instid0(SALU_CYCLE_1)
	s_add_nc_u64 s[26:27], s[8:9], s[18:19]
	s_load_u16 s13, s[26:27], 0x0
	s_wait_kmcnt 0x0
	s_set_vgpr_msb 1                        ;  msbs: dst=0 src0=1 src1=0 src2=0
	v_mad_u32_u24 v2, v136 /*v392*/, s13, v1
	s_mov_b32 s13, exec_lo
	s_delay_alu instid0(VALU_DEP_1) | instskip(SKIP_1) | instid1(VALU_DEP_1)
	v_and_b32_e32 v2, 31, v2
	s_set_vgpr_msb 0x41                     ;  msbs: dst=1 src0=1 src1=0 src2=0
	v_add_nc_u64_e32 v[8:9] /*v[264:265]*/, v[8:9] /*v[264:265]*/, v[2:3]
	s_set_vgpr_msb 4                        ;  msbs: dst=0 src0=0 src1=1 src2=0
	s_delay_alu instid0(VALU_DEP_1)
	v_cmpx_gt_i64_e64 s[4:5], v[8:9] /*v[264:265]*/
	s_set_vgpr_msb 0                        ;  msbs: dst=0 src0=0 src1=0 src2=0
	s_cbranch_execz .LBB130_216
; %bb.215:                              ;   in Loop: Header=BB130_145 Depth=1
	s_set_vgpr_msb 0x41                     ;  msbs: dst=1 src0=1 src1=0 src2=0
	v_lshl_add_u64 v[6:7] /*v[262:263]*/, v[8:9] /*v[264:265]*/, 3, s[14:15]
	global_load_b64 v[6:7] /*v[262:263]*/, v[6:7] /*v[262:263]*/, off
.LBB130_216:                            ;   in Loop: Header=BB130_145 Depth=1
	s_wait_xcnt 0x0
	s_or_b32 exec_lo, exec_lo, s13
	s_set_vgpr_msb 64                       ;  msbs: dst=1 src0=0 src1=0 src2=0
	v_add_nc_u64_e32 v[8:9] /*v[264:265]*/, v[132:133], v[4:5]
	v_add_nc_u64_e32 v[10:11] /*v[266:267]*/, v[134:135], v[4:5]
	s_set_vgpr_msb 0x41                     ;  msbs: dst=1 src0=1 src1=0 src2=0
	global_load_b64 v[12:13] /*v[268:269]*/, v[8:9] /*v[264:265]*/, off
	global_load_b64 v[14:15] /*v[270:271]*/, v[10:11] /*v[266:267]*/, off
	s_wait_xcnt 0x1
	s_set_vgpr_msb 64                       ;  msbs: dst=1 src0=0 src1=0 src2=0
	v_add_nc_u64_e32 v[8:9] /*v[264:265]*/, v[6:7], v[4:5]
	s_wait_xcnt 0x0
	v_add_nc_u64_e32 v[10:11] /*v[266:267]*/, v[22:23], v[4:5]
	s_set_vgpr_msb 0x41                     ;  msbs: dst=1 src0=1 src1=0 src2=0
	global_load_b64 v[16:17] /*v[272:273]*/, v[8:9] /*v[264:265]*/, off
	global_load_b64 v[18:19] /*v[274:275]*/, v[10:11] /*v[266:267]*/, off
	s_wait_xcnt 0x1
	s_set_vgpr_msb 64                       ;  msbs: dst=1 src0=0 src1=0 src2=0
	v_add_nc_u64_e32 v[8:9] /*v[264:265]*/, v[8:9], v[4:5]
	s_wait_xcnt 0x0
	;; [unrolled: 8-line block ×10, first 2 shown]
	v_add_nc_u64_e32 v[10:11] /*v[266:267]*/, v[46:47], v[4:5]
	s_set_vgpr_msb 0x41                     ;  msbs: dst=1 src0=1 src1=0 src2=0
	global_load_b64 v[52:53] /*v[308:309]*/, v[8:9] /*v[264:265]*/, off
	global_load_b64 v[54:55] /*v[310:311]*/, v[10:11] /*v[266:267]*/, off
	s_wait_loadcnt 0x16
	s_wait_xcnt 0x0
	s_set_vgpr_msb 0x44                     ;  msbs: dst=1 src0=0 src1=1 src2=0
	ds_bpermute_b32 v10 /*v266*/, v3, v6 /*v262*/
	ds_bpermute_b32 v11 /*v267*/, v3, v7 /*v263*/
	s_wait_loadcnt 0x14
	s_set_vgpr_msb 0x45                     ;  msbs: dst=1 src0=1 src1=1 src2=0
	v_mul_f64_e32 v[8:9] /*v[264:265]*/, v[12:13] /*v[268:269]*/, v[14:15] /*v[270:271]*/
	s_set_vgpr_msb 64                       ;  msbs: dst=1 src0=0 src1=0 src2=0
	v_add_nc_u64_e32 v[12:13] /*v[268:269]*/, v[44:45], v[4:5]
	v_add_nc_u64_e32 v[14:15] /*v[270:271]*/, v[48:49], v[4:5]
	s_set_vgpr_msb 0x45                     ;  msbs: dst=1 src0=1 src1=1 src2=0
	global_load_b64 v[56:57] /*v[312:313]*/, v[12:13] /*v[268:269]*/, off
	global_load_b64 v[58:59] /*v[314:315]*/, v[14:15] /*v[270:271]*/, off
	s_wait_loadcnt 0x14
	s_wait_xcnt 0x1
	v_mul_f64_e32 v[12:13] /*v[268:269]*/, v[16:17] /*v[272:273]*/, v[18:19] /*v[274:275]*/
	s_wait_xcnt 0x0
	s_set_vgpr_msb 64                       ;  msbs: dst=1 src0=0 src1=0 src2=0
	v_add_nc_u64_e32 v[14:15] /*v[270:271]*/, v[52:53], v[4:5]
	s_wait_dscnt 0x0
	s_set_vgpr_msb 0x45                     ;  msbs: dst=1 src0=1 src1=1 src2=0
	v_fmac_f64_e32 v[4:5] /*v[260:261]*/, v[8:9] /*v[264:265]*/, v[10:11] /*v[266:267]*/
	s_set_vgpr_msb 0x44                     ;  msbs: dst=1 src0=0 src1=1 src2=0
	ds_bpermute_b32 v8 /*v264*/, v3, v6 /*v262*/ offset:4
	ds_bpermute_b32 v9 /*v265*/, v3, v7 /*v263*/ offset:4
	s_set_vgpr_msb 64                       ;  msbs: dst=1 src0=0 src1=0 src2=0
	v_add_nc_u64_e32 v[10:11] /*v[266:267]*/, v[50:51], v[4:5]
	s_set_vgpr_msb 0x45                     ;  msbs: dst=1 src0=1 src1=1 src2=0
	global_load_b64 v[16:17] /*v[272:273]*/, v[10:11] /*v[266:267]*/, off
	global_load_b64 v[18:19] /*v[274:275]*/, v[14:15] /*v[270:271]*/, off
	s_wait_loadcnt 0x14
	s_wait_xcnt 0x1
	v_mul_f64_e32 v[10:11] /*v[266:267]*/, v[20:21] /*v[276:277]*/, v[22:23] /*v[278:279]*/
	s_wait_xcnt 0x0
	s_set_vgpr_msb 64                       ;  msbs: dst=1 src0=0 src1=0 src2=0
	v_add_nc_u64_e32 v[14:15] /*v[270:271]*/, v[56:57], v[4:5]
	s_wait_dscnt 0x0
	s_set_vgpr_msb 0x45                     ;  msbs: dst=1 src0=1 src1=1 src2=0
	v_fmac_f64_e32 v[4:5] /*v[260:261]*/, v[12:13] /*v[268:269]*/, v[8:9] /*v[264:265]*/
	s_set_vgpr_msb 0x44                     ;  msbs: dst=1 src0=0 src1=1 src2=0
	ds_bpermute_b32 v8 /*v264*/, v3, v6 /*v262*/ offset:8
	ds_bpermute_b32 v9 /*v265*/, v3, v7 /*v263*/ offset:8
	s_set_vgpr_msb 64                       ;  msbs: dst=1 src0=0 src1=0 src2=0
	;; [unrolled: 17-line block ×20, first 2 shown]
	v_add_nc_u64_e32 v[12:13] /*v[268:269]*/, v[128:129], v[4:5]
	s_set_vgpr_msb 0x45                     ;  msbs: dst=1 src0=1 src1=1 src2=0
	global_load_b64 v[12:13] /*v[268:269]*/, v[12:13] /*v[268:269]*/, off
	s_wait_loadcnt 0x13
	v_mul_f64_e32 v[48:49] /*v[304:305]*/, v[52:53] /*v[308:309]*/, v[54:55] /*v[310:311]*/
	s_wait_dscnt 0x0
	v_fmac_f64_e32 v[4:5] /*v[260:261]*/, v[10:11] /*v[266:267]*/, v[8:9] /*v[264:265]*/
	global_load_b64 v[8:9] /*v[264:265]*/, v[14:15] /*v[270:271]*/, off
	s_set_vgpr_msb 0x44                     ;  msbs: dst=1 src0=0 src1=1 src2=0
	ds_bpermute_b32 v10 /*v266*/, v3, v6 /*v262*/ offset:84
	ds_bpermute_b32 v11 /*v267*/, v3, v7 /*v263*/ offset:84
	s_wait_loadcnt 0x12
	s_wait_xcnt 0x0
	s_set_vgpr_msb 0x45                     ;  msbs: dst=1 src0=1 src1=1 src2=0
	v_mul_f64_e32 v[14:15] /*v[270:271]*/, v[56:57] /*v[312:313]*/, v[58:59] /*v[314:315]*/
	s_wait_dscnt 0x0
	v_fmac_f64_e32 v[4:5] /*v[260:261]*/, v[48:49] /*v[304:305]*/, v[10:11] /*v[266:267]*/
	s_set_vgpr_msb 0x44                     ;  msbs: dst=1 src0=0 src1=1 src2=0
	ds_bpermute_b32 v10 /*v266*/, v3, v6 /*v262*/ offset:88
	ds_bpermute_b32 v11 /*v267*/, v3, v7 /*v263*/ offset:88
	s_wait_loadcnt 0x10
	s_set_vgpr_msb 0x45                     ;  msbs: dst=1 src0=1 src1=1 src2=0
	v_mul_f64_e32 v[16:17] /*v[272:273]*/, v[16:17] /*v[272:273]*/, v[18:19] /*v[274:275]*/
	s_wait_dscnt 0x0
	v_fmac_f64_e32 v[4:5] /*v[260:261]*/, v[14:15] /*v[270:271]*/, v[10:11] /*v[266:267]*/
	s_set_vgpr_msb 0x44                     ;  msbs: dst=1 src0=0 src1=1 src2=0
	ds_bpermute_b32 v10 /*v266*/, v3, v6 /*v262*/ offset:92
	ds_bpermute_b32 v11 /*v267*/, v3, v7 /*v263*/ offset:92
	s_wait_loadcnt 0xe
	s_set_vgpr_msb 0x45                     ;  msbs: dst=1 src0=1 src1=1 src2=0
	v_mul_f64_e32 v[14:15] /*v[270:271]*/, v[20:21] /*v[276:277]*/, v[22:23] /*v[278:279]*/
	s_wait_dscnt 0x0
	v_fmac_f64_e32 v[4:5] /*v[260:261]*/, v[16:17] /*v[272:273]*/, v[10:11] /*v[266:267]*/
	s_set_vgpr_msb 0x44                     ;  msbs: dst=1 src0=0 src1=1 src2=0
	ds_bpermute_b32 v10 /*v266*/, v3, v6 /*v262*/ offset:96
	ds_bpermute_b32 v11 /*v267*/, v3, v7 /*v263*/ offset:96
	s_wait_loadcnt 0xc
	s_set_vgpr_msb 0x45                     ;  msbs: dst=1 src0=1 src1=1 src2=0
	v_mul_f64_e32 v[16:17] /*v[272:273]*/, v[24:25] /*v[280:281]*/, v[26:27] /*v[282:283]*/
	s_wait_dscnt 0x0
	v_fmac_f64_e32 v[4:5] /*v[260:261]*/, v[14:15] /*v[270:271]*/, v[10:11] /*v[266:267]*/
	s_set_vgpr_msb 0x44                     ;  msbs: dst=1 src0=0 src1=1 src2=0
	ds_bpermute_b32 v10 /*v266*/, v3, v6 /*v262*/ offset:100
	ds_bpermute_b32 v11 /*v267*/, v3, v7 /*v263*/ offset:100
	s_wait_loadcnt 0xa
	s_set_vgpr_msb 0x45                     ;  msbs: dst=1 src0=1 src1=1 src2=0
	v_mul_f64_e32 v[14:15] /*v[270:271]*/, v[28:29] /*v[284:285]*/, v[30:31] /*v[286:287]*/
	s_wait_dscnt 0x0
	v_fmac_f64_e32 v[4:5] /*v[260:261]*/, v[16:17] /*v[272:273]*/, v[10:11] /*v[266:267]*/
	s_set_vgpr_msb 0x44                     ;  msbs: dst=1 src0=0 src1=1 src2=0
	ds_bpermute_b32 v10 /*v266*/, v3, v6 /*v262*/ offset:104
	ds_bpermute_b32 v11 /*v267*/, v3, v7 /*v263*/ offset:104
	s_wait_loadcnt 0x8
	s_set_vgpr_msb 0x45                     ;  msbs: dst=1 src0=1 src1=1 src2=0
	v_mul_f64_e32 v[16:17] /*v[272:273]*/, v[32:33] /*v[288:289]*/, v[34:35] /*v[290:291]*/
	s_wait_dscnt 0x0
	v_fmac_f64_e32 v[4:5] /*v[260:261]*/, v[14:15] /*v[270:271]*/, v[10:11] /*v[266:267]*/
	s_set_vgpr_msb 0x44                     ;  msbs: dst=1 src0=0 src1=1 src2=0
	ds_bpermute_b32 v10 /*v266*/, v3, v6 /*v262*/ offset:108
	ds_bpermute_b32 v11 /*v267*/, v3, v7 /*v263*/ offset:108
	s_wait_loadcnt 0x6
	s_set_vgpr_msb 0x45                     ;  msbs: dst=1 src0=1 src1=1 src2=0
	v_mul_f64_e32 v[14:15] /*v[270:271]*/, v[36:37] /*v[292:293]*/, v[38:39] /*v[294:295]*/
	s_wait_dscnt 0x0
	v_fmac_f64_e32 v[4:5] /*v[260:261]*/, v[16:17] /*v[272:273]*/, v[10:11] /*v[266:267]*/
	s_set_vgpr_msb 0x44                     ;  msbs: dst=1 src0=0 src1=1 src2=0
	ds_bpermute_b32 v10 /*v266*/, v3, v6 /*v262*/ offset:112
	ds_bpermute_b32 v11 /*v267*/, v3, v7 /*v263*/ offset:112
	s_wait_loadcnt 0x4
	s_set_vgpr_msb 0x45                     ;  msbs: dst=1 src0=1 src1=1 src2=0
	v_mul_f64_e32 v[16:17] /*v[272:273]*/, v[40:41] /*v[296:297]*/, v[42:43] /*v[298:299]*/
	s_wait_dscnt 0x0
	v_fmac_f64_e32 v[4:5] /*v[260:261]*/, v[14:15] /*v[270:271]*/, v[10:11] /*v[266:267]*/
	s_set_vgpr_msb 0x44                     ;  msbs: dst=1 src0=0 src1=1 src2=0
	ds_bpermute_b32 v10 /*v266*/, v3, v6 /*v262*/ offset:116
	ds_bpermute_b32 v11 /*v267*/, v3, v7 /*v263*/ offset:116
	s_wait_loadcnt 0x2
	s_set_vgpr_msb 0x45                     ;  msbs: dst=1 src0=1 src1=1 src2=0
	v_mul_f64_e32 v[14:15] /*v[270:271]*/, v[44:45] /*v[300:301]*/, v[46:47] /*v[302:303]*/
	s_wait_dscnt 0x0
	v_fmac_f64_e32 v[4:5] /*v[260:261]*/, v[16:17] /*v[272:273]*/, v[10:11] /*v[266:267]*/
	s_set_vgpr_msb 0x44                     ;  msbs: dst=1 src0=0 src1=1 src2=0
	ds_bpermute_b32 v10 /*v266*/, v3, v6 /*v262*/ offset:120
	ds_bpermute_b32 v11 /*v267*/, v3, v7 /*v263*/ offset:120
	;; [unrolled: 1-line block ×4, first 2 shown]
	s_wait_dscnt 0x2
	s_set_vgpr_msb 0x45                     ;  msbs: dst=1 src0=1 src1=1 src2=0
	v_fmac_f64_e32 v[4:5] /*v[260:261]*/, v[14:15] /*v[270:271]*/, v[10:11] /*v[266:267]*/
	s_wait_loadcnt 0x0
	v_mul_f64_e32 v[8:9] /*v[264:265]*/, v[12:13] /*v[268:269]*/, v[8:9] /*v[264:265]*/
	s_wait_dscnt 0x0
	s_delay_alu instid0(VALU_DEP_1) | instskip(NEXT) | instid1(VALU_DEP_1)
	v_fmac_f64_e32 v[4:5] /*v[260:261]*/, v[8:9] /*v[264:265]*/, v[6:7] /*v[262:263]*/
	v_mov_b64_e32 v[6:7] /*v[262:263]*/, v[4:5] /*v[260:261]*/
.LBB130_217:                            ;   in Loop: Header=BB130_145 Depth=1
	s_add_nc_u64 s[24:25], s[24:25], s[20:21]
	s_set_vgpr_msb 0                        ;  msbs: dst=0 src0=0 src1=0 src2=0
	v_add_nc_u64_e32 v[132:133], s[10:11], v[132:133]
	v_cmp_ge_i64_e64 s13, s[24:25], s[4:5]
	v_add_nc_u64_e32 v[134:135], s[10:11], v[134:135]
	v_add_nc_u64_e32 v[6:7], s[10:11], v[6:7]
	;; [unrolled: 1-line block ×124, first 2 shown]
	s_set_vgpr_msb 0x44                     ;  msbs: dst=1 src0=0 src1=1 src2=0
	v_add_nc_u64_e32 v[0:1] /*v[256:257]*/, s[10:11], v[0:1] /*v[256:257]*/
	v_add_nc_u64_e32 v[2:3] /*v[258:259]*/, s[10:11], v[2:3] /*v[258:259]*/
	s_and_b32 vcc_lo, exec_lo, s13
	s_add_nc_u64 s[22:23], s[22:23], s[20:21]
	s_set_vgpr_msb 0                        ;  msbs: dst=0 src0=0 src1=0 src2=0
	s_cbranch_vccnz .LBB130_219
; %bb.218:                              ;   in Loop: Header=BB130_145 Depth=1
	s_set_vgpr_msb 0x41                     ;  msbs: dst=1 src0=1 src1=0 src2=0
	v_mov_b64_e32 v[4:5] /*v[260:261]*/, v[6:7] /*v[262:263]*/
	s_set_vgpr_msb 0                        ;  msbs: dst=0 src0=0 src1=0 src2=0
	s_branch .LBB130_145
.LBB130_219:
	s_mov_b32 s13, 0
	s_delay_alu instid0(SALU_CYCLE_1)
	s_lshl_b64 s[4:5], s[12:13], 5
	s_wait_kmcnt 0x0
	s_cmp_lg_u64 s[2:3], 0
	v_and_or_b32 v2, 0x3ff, v0, s4
	v_mov_b32_e32 v3, s5
	s_cselect_b32 s4, -1, 0
	s_delay_alu instid0(VALU_DEP_1) | instskip(SKIP_1) | instid1(SALU_CYCLE_1)
	v_cmp_gt_i64_e32 vcc_lo, s[6:7], v[2:3]
	s_and_b32 s4, vcc_lo, s4
	s_and_saveexec_b32 s5, s4
	s_cbranch_execz .LBB130_221
; %bb.220:
	s_load_u16 s0, s[0:1], 0x4e
	v_bfe_u32 v0, v0, 10, 10
	v_mov_b32_e32 v1, 0
	s_wait_kmcnt 0x0
	s_delay_alu instid0(VALU_DEP_1) | instskip(NEXT) | instid1(VALU_DEP_1)
	v_mad_nc_u64_u32 v[0:1], s0, s30, v[0:1]
	v_mul_u64_e32 v[0:1], s[6:7], v[0:1]
	s_delay_alu instid0(VALU_DEP_1) | instskip(NEXT) | instid1(VALU_DEP_1)
	v_lshl_add_u64 v[0:1], v[0:1], 3, s[2:3]
	v_lshl_add_u64 v[0:1], v[2:3], 3, v[0:1]
	s_set_vgpr_msb 4                        ;  msbs: dst=0 src0=0 src1=1 src2=0
	global_store_b64 v[0:1], v[6:7] /*v[262:263]*/, off
.LBB130_221:
	s_sendmsg sendmsg(MSG_DEALLOC_VGPRS)
	s_endpgm
	.section	.rodata,"a",@progbits
	.p2align	6, 0x0
	.amdhsa_kernel _ZN2at6native12_GLOBAL__N_135GammaBetaBackwardCUDAKernelTemplateIddLj32ELj1ELj32ELb1ELb0ELb1EEEvllPKT_S5_PKT0_S8_PS3_S9_
		.amdhsa_group_segment_fixed_size 0
		.amdhsa_private_segment_fixed_size 0
		.amdhsa_kernarg_size 320
		.amdhsa_user_sgpr_count 2
		.amdhsa_user_sgpr_dispatch_ptr 0
		.amdhsa_user_sgpr_queue_ptr 0
		.amdhsa_user_sgpr_kernarg_segment_ptr 1
		.amdhsa_user_sgpr_dispatch_id 0
		.amdhsa_user_sgpr_kernarg_preload_length 0
		.amdhsa_user_sgpr_kernarg_preload_offset 0
		.amdhsa_user_sgpr_private_segment_size 0
		.amdhsa_wavefront_size32 1
		.amdhsa_uses_dynamic_stack 0
		.amdhsa_enable_private_segment 0
		.amdhsa_system_sgpr_workgroup_id_x 1
		.amdhsa_system_sgpr_workgroup_id_y 1
		.amdhsa_system_sgpr_workgroup_id_z 0
		.amdhsa_system_sgpr_workgroup_info 0
		.amdhsa_system_vgpr_workitem_id 1
		.amdhsa_next_free_vgpr 400
		.amdhsa_next_free_sgpr 36
		.amdhsa_named_barrier_count 0
		.amdhsa_reserve_vcc 1
		.amdhsa_float_round_mode_32 0
		.amdhsa_float_round_mode_16_64 0
		.amdhsa_float_denorm_mode_32 3
		.amdhsa_float_denorm_mode_16_64 3
		.amdhsa_fp16_overflow 0
		.amdhsa_memory_ordered 1
		.amdhsa_forward_progress 1
		.amdhsa_inst_pref_size 142
		.amdhsa_round_robin_scheduling 0
		.amdhsa_exception_fp_ieee_invalid_op 0
		.amdhsa_exception_fp_denorm_src 0
		.amdhsa_exception_fp_ieee_div_zero 0
		.amdhsa_exception_fp_ieee_overflow 0
		.amdhsa_exception_fp_ieee_underflow 0
		.amdhsa_exception_fp_ieee_inexact 0
		.amdhsa_exception_int_div_zero 0
	.end_amdhsa_kernel
	.section	.text._ZN2at6native12_GLOBAL__N_135GammaBetaBackwardCUDAKernelTemplateIddLj32ELj1ELj32ELb1ELb0ELb1EEEvllPKT_S5_PKT0_S8_PS3_S9_,"axG",@progbits,_ZN2at6native12_GLOBAL__N_135GammaBetaBackwardCUDAKernelTemplateIddLj32ELj1ELj32ELb1ELb0ELb1EEEvllPKT_S5_PKT0_S8_PS3_S9_,comdat
.Lfunc_end130:
	.size	_ZN2at6native12_GLOBAL__N_135GammaBetaBackwardCUDAKernelTemplateIddLj32ELj1ELj32ELb1ELb0ELb1EEEvllPKT_S5_PKT0_S8_PS3_S9_, .Lfunc_end130-_ZN2at6native12_GLOBAL__N_135GammaBetaBackwardCUDAKernelTemplateIddLj32ELj1ELj32ELb1ELb0ELb1EEEvllPKT_S5_PKT0_S8_PS3_S9_
                                        ; -- End function
	.set _ZN2at6native12_GLOBAL__N_135GammaBetaBackwardCUDAKernelTemplateIddLj32ELj1ELj32ELb1ELb0ELb1EEEvllPKT_S5_PKT0_S8_PS3_S9_.num_vgpr, 400
	.set _ZN2at6native12_GLOBAL__N_135GammaBetaBackwardCUDAKernelTemplateIddLj32ELj1ELj32ELb1ELb0ELb1EEEvllPKT_S5_PKT0_S8_PS3_S9_.num_agpr, 0
	.set _ZN2at6native12_GLOBAL__N_135GammaBetaBackwardCUDAKernelTemplateIddLj32ELj1ELj32ELb1ELb0ELb1EEEvllPKT_S5_PKT0_S8_PS3_S9_.numbered_sgpr, 36
	.set _ZN2at6native12_GLOBAL__N_135GammaBetaBackwardCUDAKernelTemplateIddLj32ELj1ELj32ELb1ELb0ELb1EEEvllPKT_S5_PKT0_S8_PS3_S9_.num_named_barrier, 0
	.set _ZN2at6native12_GLOBAL__N_135GammaBetaBackwardCUDAKernelTemplateIddLj32ELj1ELj32ELb1ELb0ELb1EEEvllPKT_S5_PKT0_S8_PS3_S9_.private_seg_size, 0
	.set _ZN2at6native12_GLOBAL__N_135GammaBetaBackwardCUDAKernelTemplateIddLj32ELj1ELj32ELb1ELb0ELb1EEEvllPKT_S5_PKT0_S8_PS3_S9_.uses_vcc, 1
	.set _ZN2at6native12_GLOBAL__N_135GammaBetaBackwardCUDAKernelTemplateIddLj32ELj1ELj32ELb1ELb0ELb1EEEvllPKT_S5_PKT0_S8_PS3_S9_.uses_flat_scratch, 0
	.set _ZN2at6native12_GLOBAL__N_135GammaBetaBackwardCUDAKernelTemplateIddLj32ELj1ELj32ELb1ELb0ELb1EEEvllPKT_S5_PKT0_S8_PS3_S9_.has_dyn_sized_stack, 0
	.set _ZN2at6native12_GLOBAL__N_135GammaBetaBackwardCUDAKernelTemplateIddLj32ELj1ELj32ELb1ELb0ELb1EEEvllPKT_S5_PKT0_S8_PS3_S9_.has_recursion, 0
	.set _ZN2at6native12_GLOBAL__N_135GammaBetaBackwardCUDAKernelTemplateIddLj32ELj1ELj32ELb1ELb0ELb1EEEvllPKT_S5_PKT0_S8_PS3_S9_.has_indirect_call, 0
	.section	.AMDGPU.csdata,"",@progbits
; Kernel info:
; codeLenInByte = 18160
; TotalNumSgprs: 38
; NumVgprs: 400
; ScratchSize: 0
; MemoryBound: 1
; FloatMode: 240
; IeeeMode: 1
; LDSByteSize: 0 bytes/workgroup (compile time only)
; SGPRBlocks: 0
; VGPRBlocks: 24
; NumSGPRsForWavesPerEU: 38
; NumVGPRsForWavesPerEU: 400
; NamedBarCnt: 0
; Occupancy: 2
; WaveLimiterHint : 0
; COMPUTE_PGM_RSRC2:SCRATCH_EN: 0
; COMPUTE_PGM_RSRC2:USER_SGPR: 2
; COMPUTE_PGM_RSRC2:TRAP_HANDLER: 0
; COMPUTE_PGM_RSRC2:TGID_X_EN: 1
; COMPUTE_PGM_RSRC2:TGID_Y_EN: 1
; COMPUTE_PGM_RSRC2:TGID_Z_EN: 0
; COMPUTE_PGM_RSRC2:TIDIG_COMP_CNT: 1
	.section	.text._ZN2at6native12_GLOBAL__N_135GammaBetaBackwardCUDAKernelTemplateIddLj32ELj1ELj8ELb1ELb1ELb1EEEvllPKT_S5_PKT0_S8_PS3_S9_,"axG",@progbits,_ZN2at6native12_GLOBAL__N_135GammaBetaBackwardCUDAKernelTemplateIddLj32ELj1ELj8ELb1ELb1ELb1EEEvllPKT_S5_PKT0_S8_PS3_S9_,comdat
	.globl	_ZN2at6native12_GLOBAL__N_135GammaBetaBackwardCUDAKernelTemplateIddLj32ELj1ELj8ELb1ELb1ELb1EEEvllPKT_S5_PKT0_S8_PS3_S9_ ; -- Begin function _ZN2at6native12_GLOBAL__N_135GammaBetaBackwardCUDAKernelTemplateIddLj32ELj1ELj8ELb1ELb1ELb1EEEvllPKT_S5_PKT0_S8_PS3_S9_
	.p2align	8
	.type	_ZN2at6native12_GLOBAL__N_135GammaBetaBackwardCUDAKernelTemplateIddLj32ELj1ELj8ELb1ELb1ELb1EEEvllPKT_S5_PKT0_S8_PS3_S9_,@function
_ZN2at6native12_GLOBAL__N_135GammaBetaBackwardCUDAKernelTemplateIddLj32ELj1ELj8ELb1ELb1ELb1EEEvllPKT_S5_PKT0_S8_PS3_S9_: ; @_ZN2at6native12_GLOBAL__N_135GammaBetaBackwardCUDAKernelTemplateIddLj32ELj1ELj8ELb1ELb1ELb1EEEvllPKT_S5_PKT0_S8_PS3_S9_
; %bb.0:
	s_load_b128 s[4:7], s[0:1], 0x0
	s_bfe_u32 s2, ttmp6, 0x40010
	s_bfe_u32 s3, ttmp6, 0x40004
	s_add_co_i32 s2, s2, 1
	s_getreg_b32 s22, hwreg(HW_REG_IB_STS2, 6, 4)
	s_mul_i32 s2, ttmp7, s2
	s_mov_b32 s13, 0
	s_add_co_i32 s3, s3, s2
	s_cmp_eq_u32 s22, 0
	v_mov_b64_e32 v[4:5], 0
	s_cselect_b32 s23, ttmp7, s3
	v_bfe_u32 v2, v0, 10, 10
	s_lshl_b32 s12, s23, 3
	v_and_b32_e32 v14, 0x3ff, v0
	s_wait_kmcnt 0x0
	v_cmp_le_i64_e64 s2, s[4:5], s[12:13]
	s_and_b32 vcc_lo, exec_lo, s2
	s_cbranch_vccnz .LBB131_7
; %bb.1:
	v_dual_mov_b32 v1, 0 :: v_dual_lshlrev_b32 v0, 3, v2
	s_load_b32 s2, s[0:1], 0x4c
	s_bfe_u32 s15, ttmp6, 0x4000c
	s_clause 0x2
	s_load_b32 s3, s[0:1], 0x44
	s_load_b128 s[8:11], s[0:1], 0x10
	s_load_b64 s[16:17], s[0:1], 0x28
	s_add_co_i32 s15, s15, 1
	v_add_nc_u64_e32 v[4:5], s[12:13], v[0:1]
	s_and_b32 s14, ttmp6, 15
	s_mul_i32 s15, ttmp9, s15
	v_dual_mov_b32 v15, 12 :: v_dual_mov_b32 v9, v1
	s_add_co_i32 s14, s14, s15
	s_mov_b32 s15, s13
	s_delay_alu instid0(VALU_DEP_2)
	v_mul_u64_e32 v[10:11], s[6:7], v[4:5]
	v_dual_mov_b32 v0, 8 :: v_dual_mov_b32 v3, 4
	v_dual_mov_b32 v16, 16 :: v_dual_mov_b32 v17, 20
	;; [unrolled: 1-line block ×3, first 2 shown]
	s_wait_kmcnt 0x0
	s_and_b32 s2, s2, 0xffff
	s_cmp_eq_u32 s22, 0
	v_mad_u32_u24 v6, v2, s2, v14
	s_cselect_b32 s2, ttmp9, s14
	v_mov_b32_e32 v13, v1
	v_lshl_or_b32 v12, s2, 5, v14
	s_lshl_b32 s14, s3, 3
	v_and_b32_e32 v8, 31, v6
	s_mul_u64 s[18:19], s[6:7], s[14:15]
	s_lshl_b64 s[20:21], s[6:7], 3
	v_lshlrev_b64_e32 v[12:13], 3, v[12:13]
	s_lshl_b64 s[18:19], s[18:19], 3
	v_add_nc_u64_e32 v[6:7], v[4:5], v[8:9]
	v_mov_b64_e32 v[4:5], 0
	v_cmp_gt_u32_e64 s2, 8, v8
	s_delay_alu instid0(VALU_DEP_3)
	v_lshl_add_u64 v[8:9], v[6:7], 3, s[16:17]
	s_lshl_b64 s[16:17], s[14:15], 3
	v_lshl_add_u64 v[10:11], v[10:11], 3, v[12:13]
	s_branch .LBB131_4
.LBB131_2:                              ;   in Loop: Header=BB131_4 Depth=1
	s_wait_xcnt 0x0
	s_or_b32 exec_lo, exec_lo, s24
.LBB131_3:                              ;   in Loop: Header=BB131_4 Depth=1
	s_delay_alu instid0(SALU_CYCLE_1)
	s_or_b32 exec_lo, exec_lo, s3
	v_add_nc_u64_e32 v[20:21], s[8:9], v[10:11]
	v_add_nc_u64_e32 v[22:23], s[10:11], v[10:11]
	s_add_nc_u64 s[12:13], s[12:13], s[14:15]
	v_add_nc_u64_e32 v[8:9], s[16:17], v[8:9]
	v_cmp_lt_i64_e64 s3, s[12:13], s[4:5]
	v_add_nc_u64_e32 v[6:7], s[14:15], v[6:7]
	v_add_nc_u64_e32 v[10:11], s[18:19], v[10:11]
	global_load_b64 v[24:25], v[20:21], off
	global_load_b64 v[26:27], v[22:23], off
	s_wait_xcnt 0x1
	v_add_nc_u64_e32 v[20:21], s[20:21], v[20:21]
	s_wait_xcnt 0x0
	v_add_nc_u64_e32 v[22:23], s[20:21], v[22:23]
	global_load_b64 v[28:29], v[20:21], off
	global_load_b64 v[30:31], v[22:23], off
	s_wait_xcnt 0x1
	v_add_nc_u64_e32 v[20:21], s[20:21], v[20:21]
	s_wait_xcnt 0x0
	v_add_nc_u64_e32 v[22:23], s[20:21], v[22:23]
	s_and_b32 vcc_lo, exec_lo, s3
	global_load_b64 v[32:33], v[20:21], off
	global_load_b64 v[34:35], v[22:23], off
	s_wait_xcnt 0x1
	v_add_nc_u64_e32 v[20:21], s[20:21], v[20:21]
	s_wait_xcnt 0x0
	v_add_nc_u64_e32 v[22:23], s[20:21], v[22:23]
	global_load_b64 v[36:37], v[20:21], off
	global_load_b64 v[38:39], v[22:23], off
	s_wait_xcnt 0x1
	v_add_nc_u64_e32 v[20:21], s[20:21], v[20:21]
	s_wait_xcnt 0x0
	v_add_nc_u64_e32 v[22:23], s[20:21], v[22:23]
	;; [unrolled: 6-line block ×5, first 2 shown]
	global_load_b64 v[52:53], v[20:21], off
	global_load_b64 v[54:55], v[22:23], off
	s_wait_loadcnt 0x10
	s_wait_xcnt 0x0
	ds_bpermute_b32 v22, v1, v12
	ds_bpermute_b32 v23, v1, v13
	s_wait_loadcnt 0xe
	v_mul_f64_e32 v[20:21], v[24:25], v[26:27]
	s_wait_loadcnt 0xc
	v_mul_f64_e32 v[24:25], v[28:29], v[30:31]
	s_wait_dscnt 0x0
	s_delay_alu instid0(VALU_DEP_2)
	v_fmac_f64_e32 v[4:5], v[20:21], v[22:23]
	ds_bpermute_b32 v20, v3, v12
	ds_bpermute_b32 v21, v3, v13
	s_wait_loadcnt 0xa
	v_mul_f64_e32 v[22:23], v[32:33], v[34:35]
	s_wait_dscnt 0x0
	v_fmac_f64_e32 v[4:5], v[24:25], v[20:21]
	ds_bpermute_b32 v20, v0, v12
	ds_bpermute_b32 v21, v0, v13
	s_wait_loadcnt 0x8
	v_mul_f64_e32 v[24:25], v[36:37], v[38:39]
	s_wait_dscnt 0x0
	;; [unrolled: 6-line block ×5, first 2 shown]
	v_fmac_f64_e32 v[4:5], v[24:25], v[20:21]
	ds_bpermute_b32 v20, v18, v12
	ds_bpermute_b32 v21, v18, v13
	;; [unrolled: 1-line block ×4, first 2 shown]
	s_wait_dscnt 0x2
	v_fmac_f64_e32 v[4:5], v[22:23], v[20:21]
	s_wait_loadcnt 0x0
	v_mul_f64_e32 v[20:21], v[52:53], v[54:55]
	s_wait_dscnt 0x0
	s_delay_alu instid0(VALU_DEP_1)
	v_fmac_f64_e32 v[4:5], v[20:21], v[12:13]
	s_cbranch_vccz .LBB131_7
.LBB131_4:                              ; =>This Inner Loop Header: Depth=1
	v_mov_b64_e32 v[12:13], 0
	s_and_saveexec_b32 s3, s2
	s_cbranch_execz .LBB131_3
; %bb.5:                                ;   in Loop: Header=BB131_4 Depth=1
	v_mov_b64_e32 v[12:13], 0
	s_mov_b32 s24, exec_lo
	v_cmpx_gt_i64_e64 s[4:5], v[6:7]
	s_cbranch_execz .LBB131_2
; %bb.6:                                ;   in Loop: Header=BB131_4 Depth=1
	global_load_b64 v[12:13], v[8:9], off
	s_branch .LBB131_2
.LBB131_7:
	s_load_b64 s[2:3], s[0:1], 0x30
	s_wait_kmcnt 0x0
	s_cmp_eq_u64 s[2:3], 0
	s_cbranch_scc1 .LBB131_9
; %bb.8:
	s_load_u16 s0, s[0:1], 0x4e
	v_mov_b32_e32 v3, 0
	s_and_b32 s4, ttmp6, 15
	s_wait_xcnt 0x0
	s_mov_b32 s1, 0
	s_wait_kmcnt 0x0
	v_mad_nc_u64_u32 v[0:1], s0, s23, v[2:3]
	s_bfe_u32 s0, ttmp6, 0x4000c
	v_lshlrev_b32_e32 v2, 3, v14
	s_add_co_i32 s0, s0, 1
	s_delay_alu instid0(SALU_CYCLE_1) | instskip(NEXT) | instid1(SALU_CYCLE_1)
	s_mul_i32 s0, ttmp9, s0
	s_add_co_i32 s4, s4, s0
	s_cmp_eq_u32 s22, 0
	s_cselect_b32 s0, ttmp9, s4
	s_delay_alu instid0(VALU_DEP_2) | instskip(SKIP_1) | instid1(VALU_DEP_1)
	v_mul_u64_e32 v[0:1], s[6:7], v[0:1]
	s_lshl_b64 s[0:1], s[0:1], 8
	v_lshl_add_u64 v[0:1], v[0:1], 3, s[2:3]
	s_delay_alu instid0(VALU_DEP_1) | instskip(NEXT) | instid1(VALU_DEP_1)
	v_add_nc_u64_e32 v[0:1], s[0:1], v[0:1]
	v_add_nc_u64_e32 v[0:1], v[0:1], v[2:3]
	global_store_b64 v[0:1], v[4:5], off
.LBB131_9:
	s_endpgm
	.section	.rodata,"a",@progbits
	.p2align	6, 0x0
	.amdhsa_kernel _ZN2at6native12_GLOBAL__N_135GammaBetaBackwardCUDAKernelTemplateIddLj32ELj1ELj8ELb1ELb1ELb1EEEvllPKT_S5_PKT0_S8_PS3_S9_
		.amdhsa_group_segment_fixed_size 0
		.amdhsa_private_segment_fixed_size 0
		.amdhsa_kernarg_size 320
		.amdhsa_user_sgpr_count 2
		.amdhsa_user_sgpr_dispatch_ptr 0
		.amdhsa_user_sgpr_queue_ptr 0
		.amdhsa_user_sgpr_kernarg_segment_ptr 1
		.amdhsa_user_sgpr_dispatch_id 0
		.amdhsa_user_sgpr_kernarg_preload_length 0
		.amdhsa_user_sgpr_kernarg_preload_offset 0
		.amdhsa_user_sgpr_private_segment_size 0
		.amdhsa_wavefront_size32 1
		.amdhsa_uses_dynamic_stack 0
		.amdhsa_enable_private_segment 0
		.amdhsa_system_sgpr_workgroup_id_x 1
		.amdhsa_system_sgpr_workgroup_id_y 1
		.amdhsa_system_sgpr_workgroup_id_z 0
		.amdhsa_system_sgpr_workgroup_info 0
		.amdhsa_system_vgpr_workitem_id 1
		.amdhsa_next_free_vgpr 56
		.amdhsa_next_free_sgpr 25
		.amdhsa_named_barrier_count 0
		.amdhsa_reserve_vcc 1
		.amdhsa_float_round_mode_32 0
		.amdhsa_float_round_mode_16_64 0
		.amdhsa_float_denorm_mode_32 3
		.amdhsa_float_denorm_mode_16_64 3
		.amdhsa_fp16_overflow 0
		.amdhsa_memory_ordered 1
		.amdhsa_forward_progress 1
		.amdhsa_inst_pref_size 9
		.amdhsa_round_robin_scheduling 0
		.amdhsa_exception_fp_ieee_invalid_op 0
		.amdhsa_exception_fp_denorm_src 0
		.amdhsa_exception_fp_ieee_div_zero 0
		.amdhsa_exception_fp_ieee_overflow 0
		.amdhsa_exception_fp_ieee_underflow 0
		.amdhsa_exception_fp_ieee_inexact 0
		.amdhsa_exception_int_div_zero 0
	.end_amdhsa_kernel
	.section	.text._ZN2at6native12_GLOBAL__N_135GammaBetaBackwardCUDAKernelTemplateIddLj32ELj1ELj8ELb1ELb1ELb1EEEvllPKT_S5_PKT0_S8_PS3_S9_,"axG",@progbits,_ZN2at6native12_GLOBAL__N_135GammaBetaBackwardCUDAKernelTemplateIddLj32ELj1ELj8ELb1ELb1ELb1EEEvllPKT_S5_PKT0_S8_PS3_S9_,comdat
.Lfunc_end131:
	.size	_ZN2at6native12_GLOBAL__N_135GammaBetaBackwardCUDAKernelTemplateIddLj32ELj1ELj8ELb1ELb1ELb1EEEvllPKT_S5_PKT0_S8_PS3_S9_, .Lfunc_end131-_ZN2at6native12_GLOBAL__N_135GammaBetaBackwardCUDAKernelTemplateIddLj32ELj1ELj8ELb1ELb1ELb1EEEvllPKT_S5_PKT0_S8_PS3_S9_
                                        ; -- End function
	.set _ZN2at6native12_GLOBAL__N_135GammaBetaBackwardCUDAKernelTemplateIddLj32ELj1ELj8ELb1ELb1ELb1EEEvllPKT_S5_PKT0_S8_PS3_S9_.num_vgpr, 56
	.set _ZN2at6native12_GLOBAL__N_135GammaBetaBackwardCUDAKernelTemplateIddLj32ELj1ELj8ELb1ELb1ELb1EEEvllPKT_S5_PKT0_S8_PS3_S9_.num_agpr, 0
	.set _ZN2at6native12_GLOBAL__N_135GammaBetaBackwardCUDAKernelTemplateIddLj32ELj1ELj8ELb1ELb1ELb1EEEvllPKT_S5_PKT0_S8_PS3_S9_.numbered_sgpr, 25
	.set _ZN2at6native12_GLOBAL__N_135GammaBetaBackwardCUDAKernelTemplateIddLj32ELj1ELj8ELb1ELb1ELb1EEEvllPKT_S5_PKT0_S8_PS3_S9_.num_named_barrier, 0
	.set _ZN2at6native12_GLOBAL__N_135GammaBetaBackwardCUDAKernelTemplateIddLj32ELj1ELj8ELb1ELb1ELb1EEEvllPKT_S5_PKT0_S8_PS3_S9_.private_seg_size, 0
	.set _ZN2at6native12_GLOBAL__N_135GammaBetaBackwardCUDAKernelTemplateIddLj32ELj1ELj8ELb1ELb1ELb1EEEvllPKT_S5_PKT0_S8_PS3_S9_.uses_vcc, 1
	.set _ZN2at6native12_GLOBAL__N_135GammaBetaBackwardCUDAKernelTemplateIddLj32ELj1ELj8ELb1ELb1ELb1EEEvllPKT_S5_PKT0_S8_PS3_S9_.uses_flat_scratch, 0
	.set _ZN2at6native12_GLOBAL__N_135GammaBetaBackwardCUDAKernelTemplateIddLj32ELj1ELj8ELb1ELb1ELb1EEEvllPKT_S5_PKT0_S8_PS3_S9_.has_dyn_sized_stack, 0
	.set _ZN2at6native12_GLOBAL__N_135GammaBetaBackwardCUDAKernelTemplateIddLj32ELj1ELj8ELb1ELb1ELb1EEEvllPKT_S5_PKT0_S8_PS3_S9_.has_recursion, 0
	.set _ZN2at6native12_GLOBAL__N_135GammaBetaBackwardCUDAKernelTemplateIddLj32ELj1ELj8ELb1ELb1ELb1EEEvllPKT_S5_PKT0_S8_PS3_S9_.has_indirect_call, 0
	.section	.AMDGPU.csdata,"",@progbits
; Kernel info:
; codeLenInByte = 1144
; TotalNumSgprs: 27
; NumVgprs: 56
; ScratchSize: 0
; MemoryBound: 0
; FloatMode: 240
; IeeeMode: 1
; LDSByteSize: 0 bytes/workgroup (compile time only)
; SGPRBlocks: 0
; VGPRBlocks: 3
; NumSGPRsForWavesPerEU: 27
; NumVGPRsForWavesPerEU: 56
; NamedBarCnt: 0
; Occupancy: 16
; WaveLimiterHint : 0
; COMPUTE_PGM_RSRC2:SCRATCH_EN: 0
; COMPUTE_PGM_RSRC2:USER_SGPR: 2
; COMPUTE_PGM_RSRC2:TRAP_HANDLER: 0
; COMPUTE_PGM_RSRC2:TGID_X_EN: 1
; COMPUTE_PGM_RSRC2:TGID_Y_EN: 1
; COMPUTE_PGM_RSRC2:TGID_Z_EN: 0
; COMPUTE_PGM_RSRC2:TIDIG_COMP_CNT: 1
	.section	.text._ZN2at6native12_GLOBAL__N_135GammaBetaBackwardCUDAKernelTemplateIddLj32ELj1ELj8ELb1ELb0ELb1EEEvllPKT_S5_PKT0_S8_PS3_S9_,"axG",@progbits,_ZN2at6native12_GLOBAL__N_135GammaBetaBackwardCUDAKernelTemplateIddLj32ELj1ELj8ELb1ELb0ELb1EEEvllPKT_S5_PKT0_S8_PS3_S9_,comdat
	.globl	_ZN2at6native12_GLOBAL__N_135GammaBetaBackwardCUDAKernelTemplateIddLj32ELj1ELj8ELb1ELb0ELb1EEEvllPKT_S5_PKT0_S8_PS3_S9_ ; -- Begin function _ZN2at6native12_GLOBAL__N_135GammaBetaBackwardCUDAKernelTemplateIddLj32ELj1ELj8ELb1ELb0ELb1EEEvllPKT_S5_PKT0_S8_PS3_S9_
	.p2align	8
	.type	_ZN2at6native12_GLOBAL__N_135GammaBetaBackwardCUDAKernelTemplateIddLj32ELj1ELj8ELb1ELb0ELb1EEEvllPKT_S5_PKT0_S8_PS3_S9_,@function
_ZN2at6native12_GLOBAL__N_135GammaBetaBackwardCUDAKernelTemplateIddLj32ELj1ELj8ELb1ELb0ELb1EEEvllPKT_S5_PKT0_S8_PS3_S9_: ; @_ZN2at6native12_GLOBAL__N_135GammaBetaBackwardCUDAKernelTemplateIddLj32ELj1ELj8ELb1ELb0ELb1EEEvllPKT_S5_PKT0_S8_PS3_S9_
; %bb.0:
	s_load_b256 s[4:11], s[0:1], 0x0
	s_bfe_u32 s3, ttmp6, 0x4000c
	s_bfe_u32 s12, ttmp6, 0x40010
	s_add_co_i32 s3, s3, 1
	s_add_co_i32 s12, s12, 1
	s_and_b32 s2, ttmp6, 15
	s_bfe_u32 s13, ttmp6, 0x40004
	s_mul_i32 s3, ttmp9, s3
	s_mul_i32 s12, ttmp7, s12
	s_getreg_b32 s14, hwreg(HW_REG_IB_STS2, 6, 4)
	s_add_co_i32 s2, s2, s3
	s_add_co_i32 s13, s13, s12
	s_cmp_eq_u32 s14, 0
	s_mov_b32 s17, 0
	s_cselect_b32 s12, ttmp9, s2
	s_cselect_b32 s30, ttmp7, s13
	s_lshl_b32 s13, s12, 5
	s_load_b64 s[14:15], s[0:1], 0x28
	s_or_b32 s16, s13, 31
	s_wait_kmcnt 0x0
	v_cmp_le_i64_e64 s2, s[6:7], s[16:17]
	s_lshl_b32 s16, s30, 3
	s_delay_alu instid0(SALU_CYCLE_1) | instskip(SKIP_2) | instid1(VALU_DEP_1)
	v_cmp_gt_i64_e64 s31, s[4:5], s[16:17]
	s_and_b32 vcc_lo, exec_lo, s2
	v_cndmask_b32_e64 v1, 0, 1, s31
	v_cmp_ne_u32_e64 s2, 1, v1
	s_cbranch_vccz .LBB132_49
; %bb.1:
	v_mov_b64_e32 v[4:5], 0
	s_and_b32 vcc_lo, exec_lo, s2
	s_cbranch_vccnz .LBB132_50
; %bb.2:
	v_bfe_u32 v1, v0, 10, 10
	v_mov_b32_e32 v2, 0
	v_and_b32_e32 v92, 0x3ff, v0
	s_load_b32 s3, s[0:1], 0x44
	s_mov_b32 s19, 0
	s_delay_alu instid0(VALU_DEP_2) | instskip(NEXT) | instid1(VALU_DEP_2)
	v_dual_mov_b32 v51, v2 :: v_dual_lshlrev_b32 v50, 3, v1
	v_dual_mov_b32 v19, v2 :: v_dual_add_nc_u32 v18, s13, v92
	v_mov_b64_e32 v[86:87], 0
	s_mov_b32 s21, s19
	s_delay_alu instid0(VALU_DEP_3)
	v_add_nc_u64_e32 v[4:5], s[16:17], v[50:51]
	s_add_nc_u64 s[22:23], s[0:1], 64
	v_cmp_gt_i64_e64 s2, s[6:7], v[18:19]
	v_lshlrev_b64_e32 v[52:53], 3, v[18:19]
	s_mov_b64 s[26:27], 7
	s_mov_b64 s[28:29], s[16:17]
	v_mul_u64_e32 v[6:7], s[6:7], v[4:5]
	v_add_nc_u64_e32 v[8:9], 7, v[4:5]
	v_add_nc_u64_e32 v[10:11], 6, v[4:5]
	;; [unrolled: 1-line block ×6, first 2 shown]
	s_wait_kmcnt 0x0
	s_lshl_b32 s20, s3, 3
	v_mul_u64_e32 v[8:9], s[6:7], v[8:9]
	v_mul_u64_e32 v[10:11], s[6:7], v[10:11]
	;; [unrolled: 1-line block ×6, first 2 shown]
	s_mul_u64 s[24:25], s[6:7], s[20:21]
	s_delay_alu instid0(SALU_CYCLE_1) | instskip(SKIP_2) | instid1(VALU_DEP_2)
	s_lshl_b64 s[24:25], s[24:25], 3
	v_lshlrev_b64_e32 v[20:21], 3, v[6:7]
	v_add_nc_u64_e32 v[6:7], s[6:7], v[6:7]
	v_add_nc_u64_e32 v[54:55], s[8:9], v[20:21]
	v_lshlrev_b64_e32 v[8:9], 3, v[8:9]
	v_lshlrev_b64_e32 v[10:11], 3, v[10:11]
	;; [unrolled: 1-line block ×7, first 2 shown]
	v_add_nc_u64_e32 v[56:57], s[10:11], v[20:21]
	v_add_nc_u64_e32 v[58:59], s[8:9], v[8:9]
	;; [unrolled: 1-line block ×15, first 2 shown]
.LBB132_3:                              ; =>This Inner Loop Header: Depth=1
	s_add_nc_u64 s[34:35], s[16:17], s[26:27]
	v_add_nc_u64_e32 v[88:89], s[16:17], v[50:51]
	v_cmp_ge_i64_e64 s3, s[34:35], s[4:5]
                                        ; implicit-def: $vgpr4_vgpr5
                                        ; implicit-def: $vgpr18_vgpr19_vgpr20_vgpr21_vgpr22_vgpr23_vgpr24_vgpr25_vgpr26_vgpr27_vgpr28_vgpr29_vgpr30_vgpr31_vgpr32_vgpr33
                                        ; implicit-def: $vgpr34_vgpr35_vgpr36_vgpr37_vgpr38_vgpr39_vgpr40_vgpr41_vgpr42_vgpr43_vgpr44_vgpr45_vgpr46_vgpr47_vgpr48_vgpr49
                                        ; implicit-def: $vgpr6
	s_and_b32 vcc_lo, exec_lo, s3
	s_mov_b32 s3, -1
	s_cbranch_vccz .LBB132_25
; %bb.4:                                ;   in Loop: Header=BB132_3 Depth=1
	s_load_b32 s3, s[22:23], 0xc
	v_mov_b64_e32 v[90:91], 0
	s_wait_kmcnt 0x0
	s_and_b32 s3, s3, 0xffff
	s_delay_alu instid0(SALU_CYCLE_1) | instskip(SKIP_1) | instid1(VALU_DEP_1)
	v_mad_u32_u24 v3, v1, s3, v92
	s_mov_b32 s3, exec_lo
	v_and_b32_e32 v4, 31, v3
	s_delay_alu instid0(VALU_DEP_1)
	v_cmpx_gt_u32_e32 8, v4
	s_cbranch_execz .LBB132_8
; %bb.5:                                ;   in Loop: Header=BB132_3 Depth=1
	v_mov_b32_e32 v5, v2
	v_mov_b64_e32 v[90:91], 0
	s_mov_b32 s18, exec_lo
	s_delay_alu instid0(VALU_DEP_2) | instskip(NEXT) | instid1(VALU_DEP_1)
	v_add_nc_u64_e32 v[4:5], v[88:89], v[4:5]
	v_cmpx_gt_i64_e64 s[4:5], v[4:5]
	s_cbranch_execz .LBB132_7
; %bb.6:                                ;   in Loop: Header=BB132_3 Depth=1
	v_lshl_add_u64 v[4:5], v[4:5], 3, s[14:15]
	global_load_b64 v[90:91], v[4:5], off
.LBB132_7:                              ;   in Loop: Header=BB132_3 Depth=1
	s_wait_xcnt 0x0
	s_or_b32 exec_lo, exec_lo, s18
.LBB132_8:                              ;   in Loop: Header=BB132_3 Depth=1
	s_delay_alu instid0(SALU_CYCLE_1)
	s_or_b32 exec_lo, exec_lo, s3
	v_dual_mov_b32 v15, v2 :: v_dual_mov_b32 v16, v2
	v_dual_mov_b32 v17, v2 :: v_dual_mov_b32 v3, v2
	;; [unrolled: 1-line block ×7, first 2 shown]
	v_mov_b32_e32 v14, v2
	v_cmp_gt_i64_e32 vcc_lo, s[4:5], v[88:89]
	v_mov_b64_e32 v[32:33], v[16:17]
	v_mov_b64_e32 v[48:49], v[16:17]
	;; [unrolled: 1-line block ×16, first 2 shown]
	s_and_b32 s18, s2, vcc_lo
	s_delay_alu instid0(SALU_CYCLE_1)
	s_and_saveexec_b32 s3, s18
	s_cbranch_execz .LBB132_10
; %bb.9:                                ;   in Loop: Header=BB132_3 Depth=1
	v_add_nc_u64_e32 v[4:5], v[54:55], v[52:53]
	v_add_nc_u64_e32 v[6:7], v[56:57], v[52:53]
	v_dual_mov_b32 v36, v2 :: v_dual_mov_b32 v37, v2
	v_dual_mov_b32 v38, v2 :: v_dual_mov_b32 v39, v2
	;; [unrolled: 1-line block ×3, first 2 shown]
	global_load_b64 v[34:35], v[4:5], off
	global_load_b64 v[18:19], v[6:7], off
	v_dual_mov_b32 v42, v2 :: v_dual_mov_b32 v43, v2
	v_dual_mov_b32 v44, v2 :: v_dual_mov_b32 v45, v2
	;; [unrolled: 1-line block ×11, first 2 shown]
.LBB132_10:                             ;   in Loop: Header=BB132_3 Depth=1
	s_wait_xcnt 0x0
	s_or_b32 exec_lo, exec_lo, s3
	v_add_nc_u64_e32 v[4:5], 1, v[88:89]
	s_delay_alu instid0(VALU_DEP_1) | instskip(SKIP_1) | instid1(SALU_CYCLE_1)
	v_cmp_gt_i64_e32 vcc_lo, s[4:5], v[4:5]
	s_and_b32 s18, s2, vcc_lo
	s_and_saveexec_b32 s3, s18
	s_cbranch_execz .LBB132_12
; %bb.11:                               ;   in Loop: Header=BB132_3 Depth=1
	v_add_nc_u64_e32 v[4:5], v[82:83], v[52:53]
	v_add_nc_u64_e32 v[6:7], v[84:85], v[52:53]
	global_load_b64 v[36:37], v[4:5], off
	global_load_b64 v[20:21], v[6:7], off
.LBB132_12:                             ;   in Loop: Header=BB132_3 Depth=1
	s_wait_xcnt 0x0
	s_or_b32 exec_lo, exec_lo, s3
	v_add_nc_u64_e32 v[4:5], 2, v[88:89]
	s_delay_alu instid0(VALU_DEP_1) | instskip(SKIP_1) | instid1(SALU_CYCLE_1)
	v_cmp_gt_i64_e32 vcc_lo, s[4:5], v[4:5]
	s_and_b32 s18, s2, vcc_lo
	s_and_saveexec_b32 s3, s18
	s_cbranch_execz .LBB132_14
; %bb.13:                               ;   in Loop: Header=BB132_3 Depth=1
	v_add_nc_u64_e32 v[4:5], v[78:79], v[52:53]
	v_add_nc_u64_e32 v[6:7], v[80:81], v[52:53]
	global_load_b64 v[38:39], v[4:5], off
	global_load_b64 v[22:23], v[6:7], off
.LBB132_14:                             ;   in Loop: Header=BB132_3 Depth=1
	;; [unrolled: 14-line block ×7, first 2 shown]
	s_wait_xcnt 0x0
	s_or_b32 exec_lo, exec_lo, s3
	s_wait_loadcnt 0x0
	v_mul_f64_e32 v[4:5], v[18:19], v[34:35]
	ds_bpermute_b32 v6, v2, v90
	ds_bpermute_b32 v7, v2, v91
	v_mul_f64_e32 v[8:9], v[20:21], v[36:37]
	v_mul_f64_e32 v[10:11], v[22:23], v[38:39]
	s_mov_b32 s3, 0
	s_wait_dscnt 0x0
	v_fma_f64 v[4:5], v[4:5], v[6:7], v[86:87]
	ds_bpermute_b32 v6, v2, v90 offset:4
	ds_bpermute_b32 v7, v2, v91 offset:4
	s_wait_dscnt 0x0
	v_fmac_f64_e32 v[4:5], v[8:9], v[6:7]
	ds_bpermute_b32 v6, v2, v90 offset:8
	ds_bpermute_b32 v7, v2, v91 offset:8
	v_mul_f64_e32 v[8:9], v[24:25], v[40:41]
	s_wait_dscnt 0x0
	v_fmac_f64_e32 v[4:5], v[10:11], v[6:7]
	ds_bpermute_b32 v6, v2, v90 offset:12
	ds_bpermute_b32 v7, v2, v91 offset:12
	v_mul_f64_e32 v[10:11], v[26:27], v[42:43]
	;; [unrolled: 5-line block ×3, first 2 shown]
	s_wait_dscnt 0x0
	v_fmac_f64_e32 v[4:5], v[10:11], v[6:7]
	ds_bpermute_b32 v6, v2, v90 offset:20
	ds_bpermute_b32 v7, v2, v91 offset:20
	s_wait_dscnt 0x0
	v_fmac_f64_e32 v[4:5], v[8:9], v[6:7]
	v_mul_f64_e32 v[6:7], v[30:31], v[46:47]
	ds_bpermute_b32 v8, v2, v90 offset:24
	ds_bpermute_b32 v9, v2, v91 offset:24
	s_wait_dscnt 0x0
	v_fmac_f64_e32 v[4:5], v[6:7], v[8:9]
	ds_bpermute_b32 v6, v2, v90 offset:28
	ds_bpermute_b32 v7, v2, v91 offset:28
.LBB132_25:                             ;   in Loop: Header=BB132_3 Depth=1
	s_and_b32 vcc_lo, exec_lo, s3
	s_cbranch_vccz .LBB132_40
; %bb.26:                               ;   in Loop: Header=BB132_3 Depth=1
	s_load_b32 s3, s[22:23], 0x0
	v_mov_b64_e32 v[90:91], 0
	s_wait_kmcnt 0x0
	s_cmp_lt_u32 s12, s3
	s_cselect_b32 s18, 12, 18
	s_delay_alu instid0(SALU_CYCLE_1) | instskip(SKIP_4) | instid1(VALU_DEP_1)
	s_add_nc_u64 s[34:35], s[22:23], s[18:19]
	s_load_u16 s3, s[34:35], 0x0
	s_wait_kmcnt 0x0
	v_mad_u32_u24 v3, v1, s3, v92
	s_mov_b32 s3, exec_lo
	v_and_b32_e32 v4, 31, v3
	s_delay_alu instid0(VALU_DEP_1)
	v_cmpx_gt_u32_e32 8, v4
	s_cbranch_execz .LBB132_30
; %bb.27:                               ;   in Loop: Header=BB132_3 Depth=1
	v_mov_b32_e32 v5, v2
	v_mov_b64_e32 v[90:91], 0
	s_mov_b32 s18, exec_lo
	s_delay_alu instid0(VALU_DEP_2) | instskip(NEXT) | instid1(VALU_DEP_1)
	v_add_nc_u64_e32 v[4:5], v[88:89], v[4:5]
	v_cmpx_gt_i64_e64 s[4:5], v[4:5]
	s_cbranch_execz .LBB132_29
; %bb.28:                               ;   in Loop: Header=BB132_3 Depth=1
	v_lshl_add_u64 v[4:5], v[4:5], 3, s[14:15]
	global_load_b64 v[90:91], v[4:5], off
.LBB132_29:                             ;   in Loop: Header=BB132_3 Depth=1
	s_wait_xcnt 0x0
	s_or_b32 exec_lo, exec_lo, s18
.LBB132_30:                             ;   in Loop: Header=BB132_3 Depth=1
	s_delay_alu instid0(SALU_CYCLE_1)
	s_or_b32 exec_lo, exec_lo, s3
	v_dual_mov_b32 v15, v2 :: v_dual_mov_b32 v16, v2
	v_dual_mov_b32 v17, v2 :: v_dual_mov_b32 v3, v2
	v_dual_mov_b32 v4, v2 :: v_dual_mov_b32 v5, v2
	s_wait_dscnt 0x0
	v_dual_mov_b32 v6, v2 :: v_dual_mov_b32 v7, v2
	v_dual_mov_b32 v8, v2 :: v_dual_mov_b32 v9, v2
	;; [unrolled: 1-line block ×4, first 2 shown]
	v_mov_b32_e32 v14, v2
	v_mov_b64_e32 v[32:33], v[16:17]
	v_mov_b64_e32 v[48:49], v[16:17]
	v_mov_b64_e32 v[26:27], v[10:11]
	v_mov_b64_e32 v[28:29], v[12:13]
	v_mov_b64_e32 v[30:31], v[14:15]
	v_mov_b64_e32 v[24:25], v[8:9]
	v_mov_b64_e32 v[22:23], v[6:7]
	v_mov_b64_e32 v[20:21], v[4:5]
	v_mov_b64_e32 v[18:19], v[2:3]
	v_mov_b64_e32 v[46:47], v[14:15]
	v_mov_b64_e32 v[44:45], v[12:13]
	v_mov_b64_e32 v[42:43], v[10:11]
	v_mov_b64_e32 v[40:41], v[8:9]
	v_mov_b64_e32 v[38:39], v[6:7]
	v_mov_b64_e32 v[36:37], v[4:5]
	v_mov_b64_e32 v[34:35], v[2:3]
	s_and_saveexec_b32 s3, s2
	s_cbranch_execnz .LBB132_42
; %bb.31:                               ;   in Loop: Header=BB132_3 Depth=1
	s_or_b32 exec_lo, exec_lo, s3
	s_and_saveexec_b32 s3, s2
	s_cbranch_execnz .LBB132_43
.LBB132_32:                             ;   in Loop: Header=BB132_3 Depth=1
	s_or_b32 exec_lo, exec_lo, s3
	s_and_saveexec_b32 s3, s2
	s_cbranch_execnz .LBB132_44
.LBB132_33:                             ;   in Loop: Header=BB132_3 Depth=1
	s_or_b32 exec_lo, exec_lo, s3
	s_and_saveexec_b32 s3, s2
	s_cbranch_execnz .LBB132_45
.LBB132_34:                             ;   in Loop: Header=BB132_3 Depth=1
	s_or_b32 exec_lo, exec_lo, s3
	s_and_saveexec_b32 s3, s2
	s_cbranch_execnz .LBB132_46
.LBB132_35:                             ;   in Loop: Header=BB132_3 Depth=1
	s_or_b32 exec_lo, exec_lo, s3
	s_and_saveexec_b32 s3, s2
	s_cbranch_execnz .LBB132_47
.LBB132_36:                             ;   in Loop: Header=BB132_3 Depth=1
	s_or_b32 exec_lo, exec_lo, s3
	s_and_saveexec_b32 s3, s2
	s_cbranch_execnz .LBB132_48
.LBB132_37:                             ;   in Loop: Header=BB132_3 Depth=1
	s_or_b32 exec_lo, exec_lo, s3
	s_and_saveexec_b32 s3, s2
	s_cbranch_execz .LBB132_39
.LBB132_38:                             ;   in Loop: Header=BB132_3 Depth=1
	v_add_nc_u64_e32 v[4:5], v[58:59], v[52:53]
	v_add_nc_u64_e32 v[6:7], v[60:61], v[52:53]
	global_load_b64 v[48:49], v[4:5], off
	global_load_b64 v[32:33], v[6:7], off
.LBB132_39:                             ;   in Loop: Header=BB132_3 Depth=1
	s_wait_xcnt 0x0
	s_or_b32 exec_lo, exec_lo, s3
	s_wait_loadcnt 0x0
	v_mul_f64_e32 v[4:5], v[18:19], v[34:35]
	ds_bpermute_b32 v6, v2, v90
	ds_bpermute_b32 v7, v2, v91
	v_mul_f64_e32 v[8:9], v[20:21], v[36:37]
	s_wait_dscnt 0x0
	v_fmac_f64_e32 v[86:87], v[4:5], v[6:7]
	ds_bpermute_b32 v4, v2, v90 offset:4
	ds_bpermute_b32 v5, v2, v91 offset:4
	v_mul_f64_e32 v[6:7], v[22:23], v[38:39]
	s_wait_dscnt 0x0
	v_fmac_f64_e32 v[86:87], v[8:9], v[4:5]
	ds_bpermute_b32 v4, v2, v90 offset:8
	ds_bpermute_b32 v5, v2, v91 offset:8
	;; [unrolled: 5-line block ×5, first 2 shown]
	ds_bpermute_b32 v6, v2, v90 offset:24
	ds_bpermute_b32 v7, v2, v91 offset:24
	s_wait_dscnt 0x2
	v_fmac_f64_e32 v[86:87], v[8:9], v[4:5]
	v_mul_f64_e32 v[4:5], v[30:31], v[46:47]
	s_wait_dscnt 0x0
	s_delay_alu instid0(VALU_DEP_1)
	v_fmac_f64_e32 v[86:87], v[4:5], v[6:7]
	ds_bpermute_b32 v6, v2, v90 offset:28
	ds_bpermute_b32 v7, v2, v91 offset:28
	v_mov_b64_e32 v[4:5], v[86:87]
.LBB132_40:                             ;   in Loop: Header=BB132_3 Depth=1
	v_mul_f64_e32 v[8:9], v[48:49], v[32:33]
	s_add_nc_u64 s[28:29], s[28:29], s[20:21]
	v_add_nc_u64_e32 v[54:55], s[24:25], v[54:55]
	v_cmp_lt_i64_e64 s3, s[28:29], s[4:5]
	v_add_nc_u64_e32 v[56:57], s[24:25], v[56:57]
	v_add_nc_u64_e32 v[58:59], s[24:25], v[58:59]
	;; [unrolled: 1-line block ×16, first 2 shown]
	s_and_b32 vcc_lo, exec_lo, s3
	s_add_nc_u64 s[26:27], s[26:27], s[20:21]
	s_wait_dscnt 0x0
	v_fmac_f64_e32 v[4:5], v[8:9], v[6:7]
	s_cbranch_vccz .LBB132_50
; %bb.41:                               ;   in Loop: Header=BB132_3 Depth=1
	s_delay_alu instid0(VALU_DEP_1)
	v_mov_b64_e32 v[86:87], v[4:5]
	s_branch .LBB132_3
.LBB132_42:                             ;   in Loop: Header=BB132_3 Depth=1
	v_add_nc_u64_e32 v[4:5], v[54:55], v[52:53]
	v_add_nc_u64_e32 v[6:7], v[56:57], v[52:53]
	v_dual_mov_b32 v36, v2 :: v_dual_mov_b32 v37, v2
	v_dual_mov_b32 v38, v2 :: v_dual_mov_b32 v39, v2
	;; [unrolled: 1-line block ×3, first 2 shown]
	global_load_b64 v[34:35], v[4:5], off
	global_load_b64 v[18:19], v[6:7], off
	v_dual_mov_b32 v42, v2 :: v_dual_mov_b32 v43, v2
	v_dual_mov_b32 v44, v2 :: v_dual_mov_b32 v45, v2
	;; [unrolled: 1-line block ×11, first 2 shown]
	s_wait_xcnt 0x0
	s_or_b32 exec_lo, exec_lo, s3
	s_and_saveexec_b32 s3, s2
	s_cbranch_execz .LBB132_32
.LBB132_43:                             ;   in Loop: Header=BB132_3 Depth=1
	v_add_nc_u64_e32 v[4:5], v[82:83], v[52:53]
	v_add_nc_u64_e32 v[6:7], v[84:85], v[52:53]
	global_load_b64 v[36:37], v[4:5], off
	global_load_b64 v[20:21], v[6:7], off
	s_wait_xcnt 0x0
	s_or_b32 exec_lo, exec_lo, s3
	s_and_saveexec_b32 s3, s2
	s_cbranch_execz .LBB132_33
.LBB132_44:                             ;   in Loop: Header=BB132_3 Depth=1
	v_add_nc_u64_e32 v[4:5], v[78:79], v[52:53]
	v_add_nc_u64_e32 v[6:7], v[80:81], v[52:53]
	global_load_b64 v[38:39], v[4:5], off
	global_load_b64 v[22:23], v[6:7], off
	s_wait_xcnt 0x0
	s_or_b32 exec_lo, exec_lo, s3
	s_and_saveexec_b32 s3, s2
	s_cbranch_execz .LBB132_34
.LBB132_45:                             ;   in Loop: Header=BB132_3 Depth=1
	v_add_nc_u64_e32 v[4:5], v[74:75], v[52:53]
	v_add_nc_u64_e32 v[6:7], v[76:77], v[52:53]
	global_load_b64 v[40:41], v[4:5], off
	global_load_b64 v[24:25], v[6:7], off
	s_wait_xcnt 0x0
	s_or_b32 exec_lo, exec_lo, s3
	s_and_saveexec_b32 s3, s2
	s_cbranch_execz .LBB132_35
.LBB132_46:                             ;   in Loop: Header=BB132_3 Depth=1
	v_add_nc_u64_e32 v[4:5], v[70:71], v[52:53]
	v_add_nc_u64_e32 v[6:7], v[72:73], v[52:53]
	global_load_b64 v[42:43], v[4:5], off
	global_load_b64 v[26:27], v[6:7], off
	s_wait_xcnt 0x0
	s_or_b32 exec_lo, exec_lo, s3
	s_and_saveexec_b32 s3, s2
	s_cbranch_execz .LBB132_36
.LBB132_47:                             ;   in Loop: Header=BB132_3 Depth=1
	v_add_nc_u64_e32 v[4:5], v[66:67], v[52:53]
	v_add_nc_u64_e32 v[6:7], v[68:69], v[52:53]
	global_load_b64 v[44:45], v[4:5], off
	global_load_b64 v[28:29], v[6:7], off
	s_wait_xcnt 0x0
	s_or_b32 exec_lo, exec_lo, s3
	s_and_saveexec_b32 s3, s2
	s_cbranch_execz .LBB132_37
.LBB132_48:                             ;   in Loop: Header=BB132_3 Depth=1
	v_add_nc_u64_e32 v[4:5], v[62:63], v[52:53]
	v_add_nc_u64_e32 v[6:7], v[64:65], v[52:53]
	global_load_b64 v[46:47], v[4:5], off
	global_load_b64 v[30:31], v[6:7], off
	s_wait_xcnt 0x0
	s_or_b32 exec_lo, exec_lo, s3
	s_and_saveexec_b32 s3, s2
	s_cbranch_execnz .LBB132_38
	s_branch .LBB132_39
.LBB132_49:
                                        ; implicit-def: $vgpr4_vgpr5
	s_load_b64 s[2:3], s[0:1], 0x30
	s_branch .LBB132_51
.LBB132_50:
	s_load_b64 s[2:3], s[0:1], 0x30
	s_cbranch_execnz .LBB132_83
.LBB132_51:
	v_mov_b64_e32 v[4:5], 0
	s_and_not1_b32 vcc_lo, exec_lo, s31
	s_cbranch_vccnz .LBB132_83
; %bb.52:
	v_bfe_u32 v1, v0, 10, 10
	v_mov_b32_e32 v2, 0
	v_and_b32_e32 v120, 0x3ff, v0
	s_load_b32 s18, s[0:1], 0x44
	s_mov_b32 s19, 0
	s_delay_alu instid0(VALU_DEP_2) | instskip(SKIP_3) | instid1(VALU_DEP_3)
	v_dual_mov_b32 v5, v2 :: v_dual_lshlrev_b32 v4, 6, v1
	v_dual_mov_b32 v51, v2 :: v_dual_lshlrev_b32 v50, 3, v1
	v_mov_b64_e32 v[114:115], 0
	s_mov_b32 s21, s19
	v_lshl_add_u64 v[4:5], s[16:17], 3, v[4:5]
	s_mov_b64 s[22:23], 7
	s_mov_b64 s[24:25], s[16:17]
	s_delay_alu instid0(VALU_DEP_1)
	v_add_nc_u64_e32 v[6:7], 8, v[4:5]
	v_add_nc_u64_e32 v[10:11], 16, v[4:5]
	;; [unrolled: 1-line block ×7, first 2 shown]
	v_mad_nc_u64_u32 v[52:53], s6, v6, s[8:9]
	v_mul_lo_u32 v3, s6, v7
	v_mul_lo_u32 v20, s7, v6
	v_mad_nc_u64_u32 v[62:63], s6, v6, s[10:11]
	v_mad_nc_u64_u32 v[56:57], s6, v12, s[8:9]
	v_mul_lo_u32 v26, s6, v13
	v_mad_nc_u64_u32 v[72:73], s6, v4, s[8:9]
	v_mad_nc_u64_u32 v[78:79], s6, v4, s[10:11]
	v_mul_lo_u32 v27, s7, v12
	v_mad_nc_u64_u32 v[58:59], s6, v14, s[8:9]
	v_mul_lo_u32 v28, s6, v15
	v_mul_lo_u32 v29, s7, v14
	v_mad_nc_u64_u32 v[66:67], s6, v12, s[10:11]
	v_add3_u32 v53, v20, v53, v3
	v_add3_u32 v63, v20, v63, v3
	v_mul_lo_u32 v3, s6, v5
	v_mul_lo_u32 v5, s7, v4
	v_add_nc_u32_e32 v4, s13, v120
	v_add_nc_u64_e32 v[8:9], s[16:17], v[50:51]
	v_mad_nc_u64_u32 v[70:71], s6, v14, s[10:11]
	v_mad_nc_u64_u32 v[54:55], s6, v10, s[8:9]
	v_mul_lo_u32 v24, s6, v11
	v_mul_lo_u32 v25, s7, v10
	v_mad_nc_u64_u32 v[64:65], s6, v10, s[10:11]
	v_mad_nc_u64_u32 v[60:61], s6, v16, s[8:9]
	v_add_nc_u64_e32 v[6:7], 7, v[8:9]
	v_add_nc_u64_e32 v[12:13], 6, v[8:9]
	;; [unrolled: 1-line block ×3, first 2 shown]
	v_mul_u64_e32 v[10:11], s[6:7], v[8:9]
	v_add_nc_u64_e32 v[20:21], 4, v[8:9]
	v_add_nc_u64_e32 v[22:23], 3, v[8:9]
	;; [unrolled: 1-line block ×3, first 2 shown]
	v_mul_u64_e32 v[6:7], s[6:7], v[6:7]
	v_mul_u64_e32 v[12:13], s[6:7], v[12:13]
	;; [unrolled: 1-line block ×3, first 2 shown]
	v_mul_lo_u32 v30, s6, v17
	v_mul_lo_u32 v31, s7, v16
	v_mul_u64_e32 v[20:21], s[6:7], v[20:21]
	v_mad_nc_u64_u32 v[74:75], s6, v16, s[10:11]
	v_mul_u64_e32 v[16:17], s[6:7], v[22:23]
	v_mul_u64_e32 v[8:9], s[6:7], v[8:9]
	v_mad_nc_u64_u32 v[68:69], s6, v18, s[8:9]
	v_mul_lo_u32 v19, s6, v19
	v_mul_lo_u32 v32, s7, v18
	v_mad_nc_u64_u32 v[76:77], s6, v18, s[10:11]
	v_add3_u32 v73, v5, v73, v3
	v_add3_u32 v79, v5, v79, v3
	v_mov_b32_e32 v5, v2
	s_wait_kmcnt 0x0
	s_lshl_b32 s20, s18, 3
	v_add3_u32 v55, v25, v55, v24
	v_add3_u32 v57, v27, v57, v26
	;; [unrolled: 1-line block ×3, first 2 shown]
	v_lshlrev_b64_e32 v[80:81], 3, v[4:5]
	v_add3_u32 v67, v27, v67, v26
	v_add3_u32 v69, v32, v69, v19
	v_add3_u32 v77, v32, v77, v19
	v_add3_u32 v59, v29, v59, v28
	v_add3_u32 v71, v29, v71, v28
	v_add3_u32 v61, v31, v61, v30
	v_add3_u32 v75, v31, v75, v30
	v_lshlrev_b64_e32 v[18:19], 3, v[10:11]
	v_add_nc_u64_e32 v[10:11], s[6:7], v[10:11]
	v_lshlrev_b64_e32 v[6:7], 3, v[6:7]
	v_lshlrev_b64_e32 v[4:5], 3, v[12:13]
	s_delay_alu instid0(VALU_DEP_4)
	v_add_nc_u64_e32 v[82:83], s[8:9], v[18:19]
	v_add_nc_u64_e32 v[84:85], s[10:11], v[18:19]
	v_lshlrev_b64_e32 v[12:13], 3, v[20:21]
	v_add_nc_u64_e32 v[86:87], s[8:9], v[6:7]
	v_add_nc_u64_e32 v[88:89], s[10:11], v[6:7]
	v_lshlrev_b64_e32 v[6:7], 3, v[14:15]
	;; [unrolled: 3-line block ×3, first 2 shown]
	v_lshlrev_b64_e32 v[8:9], 3, v[8:9]
	v_add_nc_u64_e32 v[98:99], s[8:9], v[12:13]
	v_add_nc_u64_e32 v[100:101], s[10:11], v[12:13]
	;; [unrolled: 1-line block ×4, first 2 shown]
	v_lshlrev_b64_e32 v[6:7], 3, v[10:11]
	v_add_nc_u64_e32 v[102:103], s[8:9], v[4:5]
	v_add_nc_u64_e32 v[104:105], s[10:11], v[4:5]
	;; [unrolled: 1-line block ×6, first 2 shown]
	s_mul_u64 s[10:11], s[6:7], s[20:21]
	s_add_nc_u64 s[8:9], s[0:1], 64
	s_lshl_b64 s[10:11], s[10:11], 3
.LBB132_53:                             ; =>This Inner Loop Header: Depth=1
	s_add_nc_u64 s[26:27], s[16:17], s[22:23]
	v_add_nc_u64_e32 v[116:117], s[16:17], v[50:51]
	v_cmp_ge_i64_e64 s13, s[26:27], s[4:5]
                                        ; implicit-def: $vgpr4_vgpr5
	s_and_b32 vcc_lo, exec_lo, s13
	s_mov_b32 s13, -1
	s_cbranch_vccz .LBB132_75
; %bb.54:                               ;   in Loop: Header=BB132_53 Depth=1
	s_load_b32 s13, s[8:9], 0xc
	v_mov_b64_e32 v[118:119], 0
	s_wait_kmcnt 0x0
	s_and_b32 s13, s13, 0xffff
	s_delay_alu instid0(SALU_CYCLE_1) | instskip(SKIP_1) | instid1(VALU_DEP_1)
	v_mad_u32_u24 v3, v1, s13, v120
	s_mov_b32 s13, exec_lo
	v_and_b32_e32 v4, 31, v3
	s_delay_alu instid0(VALU_DEP_1)
	v_cmpx_gt_u32_e32 8, v4
	s_cbranch_execz .LBB132_58
; %bb.55:                               ;   in Loop: Header=BB132_53 Depth=1
	v_mov_b32_e32 v5, v2
	v_mov_b64_e32 v[118:119], 0
	s_mov_b32 s18, exec_lo
	s_delay_alu instid0(VALU_DEP_2) | instskip(NEXT) | instid1(VALU_DEP_1)
	v_add_nc_u64_e32 v[4:5], v[116:117], v[4:5]
	v_cmpx_gt_i64_e64 s[4:5], v[4:5]
	s_cbranch_execz .LBB132_57
; %bb.56:                               ;   in Loop: Header=BB132_53 Depth=1
	v_lshl_add_u64 v[4:5], v[4:5], 3, s[14:15]
	global_load_b64 v[118:119], v[4:5], off
.LBB132_57:                             ;   in Loop: Header=BB132_53 Depth=1
	s_wait_xcnt 0x0
	s_or_b32 exec_lo, exec_lo, s18
.LBB132_58:                             ;   in Loop: Header=BB132_53 Depth=1
	s_delay_alu instid0(SALU_CYCLE_1)
	s_or_b32 exec_lo, exec_lo, s13
	v_dual_mov_b32 v15, v2 :: v_dual_mov_b32 v16, v2
	v_dual_mov_b32 v17, v2 :: v_dual_mov_b32 v3, v2
	;; [unrolled: 1-line block ×7, first 2 shown]
	v_mov_b32_e32 v14, v2
	v_mov_b64_e32 v[32:33], v[16:17]
	v_mov_b64_e32 v[48:49], v[16:17]
	;; [unrolled: 1-line block ×16, first 2 shown]
	s_mov_b32 s13, exec_lo
	v_cmpx_gt_i64_e64 s[4:5], v[116:117]
	s_cbranch_execz .LBB132_60
; %bb.59:                               ;   in Loop: Header=BB132_53 Depth=1
	v_add_nc_u64_e32 v[4:5], v[82:83], v[80:81]
	v_add_nc_u64_e32 v[6:7], v[84:85], v[80:81]
	v_dual_mov_b32 v36, v2 :: v_dual_mov_b32 v37, v2
	v_dual_mov_b32 v38, v2 :: v_dual_mov_b32 v39, v2
	;; [unrolled: 1-line block ×3, first 2 shown]
	global_load_b64 v[34:35], v[4:5], off
	global_load_b64 v[18:19], v[6:7], off
	v_dual_mov_b32 v42, v2 :: v_dual_mov_b32 v43, v2
	v_dual_mov_b32 v44, v2 :: v_dual_mov_b32 v45, v2
	;; [unrolled: 1-line block ×11, first 2 shown]
.LBB132_60:                             ;   in Loop: Header=BB132_53 Depth=1
	s_wait_xcnt 0x0
	s_or_b32 exec_lo, exec_lo, s13
	v_add_nc_u64_e32 v[4:5], 1, v[116:117]
	s_mov_b32 s13, exec_lo
	s_delay_alu instid0(VALU_DEP_1)
	v_cmpx_gt_i64_e64 s[4:5], v[4:5]
	s_cbranch_execz .LBB132_62
; %bb.61:                               ;   in Loop: Header=BB132_53 Depth=1
	v_add_nc_u64_e32 v[4:5], v[110:111], v[80:81]
	v_add_nc_u64_e32 v[6:7], v[112:113], v[80:81]
	global_load_b64 v[36:37], v[4:5], off
	global_load_b64 v[20:21], v[6:7], off
.LBB132_62:                             ;   in Loop: Header=BB132_53 Depth=1
	s_wait_xcnt 0x0
	s_or_b32 exec_lo, exec_lo, s13
	v_add_nc_u64_e32 v[4:5], 2, v[116:117]
	s_mov_b32 s13, exec_lo
	s_delay_alu instid0(VALU_DEP_1)
	v_cmpx_gt_i64_e64 s[4:5], v[4:5]
	s_cbranch_execz .LBB132_64
; %bb.63:                               ;   in Loop: Header=BB132_53 Depth=1
	v_add_nc_u64_e32 v[4:5], v[106:107], v[80:81]
	v_add_nc_u64_e32 v[6:7], v[108:109], v[80:81]
	global_load_b64 v[38:39], v[4:5], off
	global_load_b64 v[22:23], v[6:7], off
.LBB132_64:                             ;   in Loop: Header=BB132_53 Depth=1
	;; [unrolled: 13-line block ×7, first 2 shown]
	s_wait_xcnt 0x0
	s_or_b32 exec_lo, exec_lo, s13
	s_wait_loadcnt 0x0
	v_mul_f64_e32 v[4:5], v[18:19], v[34:35]
	ds_bpermute_b32 v6, v2, v118
	ds_bpermute_b32 v7, v2, v119
	v_mul_f64_e32 v[8:9], v[20:21], v[36:37]
	v_mul_f64_e32 v[10:11], v[22:23], v[38:39]
	s_mov_b32 s13, 0
	s_wait_dscnt 0x0
	v_fma_f64 v[4:5], v[4:5], v[6:7], v[114:115]
	ds_bpermute_b32 v6, v2, v118 offset:4
	ds_bpermute_b32 v7, v2, v119 offset:4
	s_wait_dscnt 0x0
	v_fmac_f64_e32 v[4:5], v[8:9], v[6:7]
	ds_bpermute_b32 v6, v2, v118 offset:8
	ds_bpermute_b32 v7, v2, v119 offset:8
	v_mul_f64_e32 v[8:9], v[24:25], v[40:41]
	s_wait_dscnt 0x0
	v_fmac_f64_e32 v[4:5], v[10:11], v[6:7]
	ds_bpermute_b32 v6, v2, v118 offset:12
	ds_bpermute_b32 v7, v2, v119 offset:12
	v_mul_f64_e32 v[10:11], v[26:27], v[42:43]
	;; [unrolled: 5-line block ×4, first 2 shown]
	s_wait_dscnt 0x0
	v_fmac_f64_e32 v[4:5], v[8:9], v[6:7]
	ds_bpermute_b32 v6, v2, v118 offset:24
	ds_bpermute_b32 v7, v2, v119 offset:24
	ds_bpermute_b32 v8, v2, v118 offset:28
	ds_bpermute_b32 v9, v2, v119 offset:28
	s_wait_dscnt 0x2
	v_fmac_f64_e32 v[4:5], v[10:11], v[6:7]
	v_mul_f64_e32 v[6:7], v[32:33], v[48:49]
	s_wait_dscnt 0x0
	s_delay_alu instid0(VALU_DEP_1)
	v_fmac_f64_e32 v[4:5], v[6:7], v[8:9]
.LBB132_75:                             ;   in Loop: Header=BB132_53 Depth=1
	s_and_b32 vcc_lo, exec_lo, s13
	s_cbranch_vccz .LBB132_81
; %bb.76:                               ;   in Loop: Header=BB132_53 Depth=1
	s_load_b32 s13, s[8:9], 0x0
	v_mov_b64_e32 v[4:5], 0
	s_wait_kmcnt 0x0
	s_cmp_lt_u32 s12, s13
	s_cselect_b32 s18, 12, 18
	s_delay_alu instid0(SALU_CYCLE_1) | instskip(SKIP_4) | instid1(VALU_DEP_1)
	s_add_nc_u64 s[26:27], s[8:9], s[18:19]
	s_load_u16 s13, s[26:27], 0x0
	s_wait_kmcnt 0x0
	v_mad_u32_u24 v3, v1, s13, v120
	s_mov_b32 s13, exec_lo
	v_and_b32_e32 v6, 31, v3
	s_delay_alu instid0(VALU_DEP_1)
	v_cmpx_gt_u32_e32 8, v6
	s_cbranch_execz .LBB132_80
; %bb.77:                               ;   in Loop: Header=BB132_53 Depth=1
	v_mov_b32_e32 v7, v2
	v_mov_b64_e32 v[4:5], 0
	s_mov_b32 s18, exec_lo
	s_delay_alu instid0(VALU_DEP_2) | instskip(NEXT) | instid1(VALU_DEP_1)
	v_add_nc_u64_e32 v[6:7], v[116:117], v[6:7]
	v_cmpx_gt_i64_e64 s[4:5], v[6:7]
	s_cbranch_execz .LBB132_79
; %bb.78:                               ;   in Loop: Header=BB132_53 Depth=1
	v_lshl_add_u64 v[4:5], v[6:7], 3, s[14:15]
	global_load_b64 v[4:5], v[4:5], off
.LBB132_79:                             ;   in Loop: Header=BB132_53 Depth=1
	s_wait_xcnt 0x0
	s_or_b32 exec_lo, exec_lo, s18
.LBB132_80:                             ;   in Loop: Header=BB132_53 Depth=1
	s_delay_alu instid0(SALU_CYCLE_1)
	s_or_b32 exec_lo, exec_lo, s13
	v_add_nc_u64_e32 v[6:7], v[82:83], v[80:81]
	v_add_nc_u64_e32 v[8:9], v[84:85], v[80:81]
	global_load_b64 v[10:11], v[6:7], off
	global_load_b64 v[12:13], v[8:9], off
	s_wait_xcnt 0x1
	v_add_nc_u64_e32 v[6:7], v[52:53], v[80:81]
	s_wait_xcnt 0x0
	v_add_nc_u64_e32 v[8:9], v[62:63], v[80:81]
	global_load_b64 v[14:15], v[6:7], off
	global_load_b64 v[16:17], v[8:9], off
	s_wait_xcnt 0x1
	v_add_nc_u64_e32 v[6:7], v[54:55], v[80:81]
	s_wait_xcnt 0x0
	;; [unrolled: 6-line block ×7, first 2 shown]
	v_add_nc_u64_e32 v[8:9], v[78:79], v[80:81]
	global_load_b64 v[38:39], v[6:7], off
	global_load_b64 v[40:41], v[8:9], off
	s_wait_loadcnt 0x10
	s_wait_xcnt 0x0
	ds_bpermute_b32 v8, v2, v4
	ds_bpermute_b32 v9, v2, v5
	s_wait_loadcnt 0xe
	v_mul_f64_e32 v[6:7], v[10:11], v[12:13]
	s_wait_loadcnt 0xc
	v_mul_f64_e32 v[10:11], v[14:15], v[16:17]
	s_wait_dscnt 0x0
	s_delay_alu instid0(VALU_DEP_2)
	v_fmac_f64_e32 v[114:115], v[6:7], v[8:9]
	ds_bpermute_b32 v6, v2, v4 offset:4
	ds_bpermute_b32 v7, v2, v5 offset:4
	s_wait_loadcnt 0xa
	v_mul_f64_e32 v[8:9], v[18:19], v[20:21]
	s_wait_dscnt 0x0
	v_fmac_f64_e32 v[114:115], v[10:11], v[6:7]
	ds_bpermute_b32 v6, v2, v4 offset:8
	ds_bpermute_b32 v7, v2, v5 offset:8
	s_wait_loadcnt 0x8
	v_mul_f64_e32 v[10:11], v[22:23], v[24:25]
	s_wait_dscnt 0x0
	;; [unrolled: 6-line block ×5, first 2 shown]
	v_fmac_f64_e32 v[114:115], v[10:11], v[6:7]
	ds_bpermute_b32 v6, v2, v4 offset:24
	ds_bpermute_b32 v7, v2, v5 offset:24
	ds_bpermute_b32 v4, v2, v4 offset:28
	ds_bpermute_b32 v5, v2, v5 offset:28
	s_wait_dscnt 0x2
	v_fmac_f64_e32 v[114:115], v[8:9], v[6:7]
	s_wait_loadcnt 0x0
	v_mul_f64_e32 v[6:7], v[38:39], v[40:41]
	s_wait_dscnt 0x0
	s_delay_alu instid0(VALU_DEP_1) | instskip(NEXT) | instid1(VALU_DEP_1)
	v_fmac_f64_e32 v[114:115], v[6:7], v[4:5]
	v_mov_b64_e32 v[4:5], v[114:115]
.LBB132_81:                             ;   in Loop: Header=BB132_53 Depth=1
	s_add_nc_u64 s[24:25], s[24:25], s[20:21]
	v_add_nc_u64_e32 v[82:83], s[10:11], v[82:83]
	v_cmp_ge_i64_e64 s13, s[24:25], s[4:5]
	v_add_nc_u64_e32 v[84:85], s[10:11], v[84:85]
	v_add_nc_u64_e32 v[50:51], s[20:21], v[50:51]
	;; [unrolled: 1-line block ×30, first 2 shown]
	s_and_b32 vcc_lo, exec_lo, s13
	s_add_nc_u64 s[22:23], s[22:23], s[20:21]
	s_cbranch_vccnz .LBB132_83
; %bb.82:                               ;   in Loop: Header=BB132_53 Depth=1
	v_mov_b64_e32 v[114:115], v[4:5]
	s_branch .LBB132_53
.LBB132_83:
	s_mov_b32 s13, 0
	s_delay_alu instid0(SALU_CYCLE_1)
	s_lshl_b64 s[4:5], s[12:13], 5
	s_wait_kmcnt 0x0
	s_cmp_lg_u64 s[2:3], 0
	v_and_or_b32 v2, 0x3ff, v0, s4
	v_mov_b32_e32 v3, s5
	s_cselect_b32 s4, -1, 0
	s_delay_alu instid0(VALU_DEP_1) | instskip(SKIP_1) | instid1(SALU_CYCLE_1)
	v_cmp_gt_i64_e32 vcc_lo, s[6:7], v[2:3]
	s_and_b32 s4, vcc_lo, s4
	s_and_saveexec_b32 s5, s4
	s_cbranch_execz .LBB132_85
; %bb.84:
	s_load_u16 s0, s[0:1], 0x4e
	v_bfe_u32 v0, v0, 10, 10
	v_mov_b32_e32 v1, 0
	s_wait_kmcnt 0x0
	s_delay_alu instid0(VALU_DEP_1) | instskip(NEXT) | instid1(VALU_DEP_1)
	v_mad_nc_u64_u32 v[0:1], s0, s30, v[0:1]
	v_mul_u64_e32 v[0:1], s[6:7], v[0:1]
	s_delay_alu instid0(VALU_DEP_1) | instskip(NEXT) | instid1(VALU_DEP_1)
	v_lshl_add_u64 v[0:1], v[0:1], 3, s[2:3]
	v_lshl_add_u64 v[0:1], v[2:3], 3, v[0:1]
	global_store_b64 v[0:1], v[4:5], off
.LBB132_85:
	s_sendmsg sendmsg(MSG_DEALLOC_VGPRS)
	s_endpgm
	.section	.rodata,"a",@progbits
	.p2align	6, 0x0
	.amdhsa_kernel _ZN2at6native12_GLOBAL__N_135GammaBetaBackwardCUDAKernelTemplateIddLj32ELj1ELj8ELb1ELb0ELb1EEEvllPKT_S5_PKT0_S8_PS3_S9_
		.amdhsa_group_segment_fixed_size 0
		.amdhsa_private_segment_fixed_size 0
		.amdhsa_kernarg_size 320
		.amdhsa_user_sgpr_count 2
		.amdhsa_user_sgpr_dispatch_ptr 0
		.amdhsa_user_sgpr_queue_ptr 0
		.amdhsa_user_sgpr_kernarg_segment_ptr 1
		.amdhsa_user_sgpr_dispatch_id 0
		.amdhsa_user_sgpr_kernarg_preload_length 0
		.amdhsa_user_sgpr_kernarg_preload_offset 0
		.amdhsa_user_sgpr_private_segment_size 0
		.amdhsa_wavefront_size32 1
		.amdhsa_uses_dynamic_stack 0
		.amdhsa_enable_private_segment 0
		.amdhsa_system_sgpr_workgroup_id_x 1
		.amdhsa_system_sgpr_workgroup_id_y 1
		.amdhsa_system_sgpr_workgroup_id_z 0
		.amdhsa_system_sgpr_workgroup_info 0
		.amdhsa_system_vgpr_workitem_id 1
		.amdhsa_next_free_vgpr 121
		.amdhsa_next_free_sgpr 36
		.amdhsa_named_barrier_count 0
		.amdhsa_reserve_vcc 1
		.amdhsa_float_round_mode_32 0
		.amdhsa_float_round_mode_16_64 0
		.amdhsa_float_denorm_mode_32 3
		.amdhsa_float_denorm_mode_16_64 3
		.amdhsa_fp16_overflow 0
		.amdhsa_memory_ordered 1
		.amdhsa_forward_progress 1
		.amdhsa_inst_pref_size 44
		.amdhsa_round_robin_scheduling 0
		.amdhsa_exception_fp_ieee_invalid_op 0
		.amdhsa_exception_fp_denorm_src 0
		.amdhsa_exception_fp_ieee_div_zero 0
		.amdhsa_exception_fp_ieee_overflow 0
		.amdhsa_exception_fp_ieee_underflow 0
		.amdhsa_exception_fp_ieee_inexact 0
		.amdhsa_exception_int_div_zero 0
	.end_amdhsa_kernel
	.section	.text._ZN2at6native12_GLOBAL__N_135GammaBetaBackwardCUDAKernelTemplateIddLj32ELj1ELj8ELb1ELb0ELb1EEEvllPKT_S5_PKT0_S8_PS3_S9_,"axG",@progbits,_ZN2at6native12_GLOBAL__N_135GammaBetaBackwardCUDAKernelTemplateIddLj32ELj1ELj8ELb1ELb0ELb1EEEvllPKT_S5_PKT0_S8_PS3_S9_,comdat
.Lfunc_end132:
	.size	_ZN2at6native12_GLOBAL__N_135GammaBetaBackwardCUDAKernelTemplateIddLj32ELj1ELj8ELb1ELb0ELb1EEEvllPKT_S5_PKT0_S8_PS3_S9_, .Lfunc_end132-_ZN2at6native12_GLOBAL__N_135GammaBetaBackwardCUDAKernelTemplateIddLj32ELj1ELj8ELb1ELb0ELb1EEEvllPKT_S5_PKT0_S8_PS3_S9_
                                        ; -- End function
	.set _ZN2at6native12_GLOBAL__N_135GammaBetaBackwardCUDAKernelTemplateIddLj32ELj1ELj8ELb1ELb0ELb1EEEvllPKT_S5_PKT0_S8_PS3_S9_.num_vgpr, 121
	.set _ZN2at6native12_GLOBAL__N_135GammaBetaBackwardCUDAKernelTemplateIddLj32ELj1ELj8ELb1ELb0ELb1EEEvllPKT_S5_PKT0_S8_PS3_S9_.num_agpr, 0
	.set _ZN2at6native12_GLOBAL__N_135GammaBetaBackwardCUDAKernelTemplateIddLj32ELj1ELj8ELb1ELb0ELb1EEEvllPKT_S5_PKT0_S8_PS3_S9_.numbered_sgpr, 36
	.set _ZN2at6native12_GLOBAL__N_135GammaBetaBackwardCUDAKernelTemplateIddLj32ELj1ELj8ELb1ELb0ELb1EEEvllPKT_S5_PKT0_S8_PS3_S9_.num_named_barrier, 0
	.set _ZN2at6native12_GLOBAL__N_135GammaBetaBackwardCUDAKernelTemplateIddLj32ELj1ELj8ELb1ELb0ELb1EEEvllPKT_S5_PKT0_S8_PS3_S9_.private_seg_size, 0
	.set _ZN2at6native12_GLOBAL__N_135GammaBetaBackwardCUDAKernelTemplateIddLj32ELj1ELj8ELb1ELb0ELb1EEEvllPKT_S5_PKT0_S8_PS3_S9_.uses_vcc, 1
	.set _ZN2at6native12_GLOBAL__N_135GammaBetaBackwardCUDAKernelTemplateIddLj32ELj1ELj8ELb1ELb0ELb1EEEvllPKT_S5_PKT0_S8_PS3_S9_.uses_flat_scratch, 0
	.set _ZN2at6native12_GLOBAL__N_135GammaBetaBackwardCUDAKernelTemplateIddLj32ELj1ELj8ELb1ELb0ELb1EEEvllPKT_S5_PKT0_S8_PS3_S9_.has_dyn_sized_stack, 0
	.set _ZN2at6native12_GLOBAL__N_135GammaBetaBackwardCUDAKernelTemplateIddLj32ELj1ELj8ELb1ELb0ELb1EEEvllPKT_S5_PKT0_S8_PS3_S9_.has_recursion, 0
	.set _ZN2at6native12_GLOBAL__N_135GammaBetaBackwardCUDAKernelTemplateIddLj32ELj1ELj8ELb1ELb0ELb1EEEvllPKT_S5_PKT0_S8_PS3_S9_.has_indirect_call, 0
	.section	.AMDGPU.csdata,"",@progbits
; Kernel info:
; codeLenInByte = 5592
; TotalNumSgprs: 38
; NumVgprs: 121
; ScratchSize: 0
; MemoryBound: 1
; FloatMode: 240
; IeeeMode: 1
; LDSByteSize: 0 bytes/workgroup (compile time only)
; SGPRBlocks: 0
; VGPRBlocks: 7
; NumSGPRsForWavesPerEU: 38
; NumVGPRsForWavesPerEU: 121
; NamedBarCnt: 0
; Occupancy: 8
; WaveLimiterHint : 0
; COMPUTE_PGM_RSRC2:SCRATCH_EN: 0
; COMPUTE_PGM_RSRC2:USER_SGPR: 2
; COMPUTE_PGM_RSRC2:TRAP_HANDLER: 0
; COMPUTE_PGM_RSRC2:TGID_X_EN: 1
; COMPUTE_PGM_RSRC2:TGID_Y_EN: 1
; COMPUTE_PGM_RSRC2:TGID_Z_EN: 0
; COMPUTE_PGM_RSRC2:TIDIG_COMP_CNT: 1
	.section	.text._ZN2at6native12_GLOBAL__N_135GammaBetaBackwardCUDAKernelTemplateIddLj32ELj8ELj64ELb0ELb1ELb1EEEvllPKT_S5_PKT0_S8_PS3_S9_,"axG",@progbits,_ZN2at6native12_GLOBAL__N_135GammaBetaBackwardCUDAKernelTemplateIddLj32ELj8ELj64ELb0ELb1ELb1EEEvllPKT_S5_PKT0_S8_PS3_S9_,comdat
	.globl	_ZN2at6native12_GLOBAL__N_135GammaBetaBackwardCUDAKernelTemplateIddLj32ELj8ELj64ELb0ELb1ELb1EEEvllPKT_S5_PKT0_S8_PS3_S9_ ; -- Begin function _ZN2at6native12_GLOBAL__N_135GammaBetaBackwardCUDAKernelTemplateIddLj32ELj8ELj64ELb0ELb1ELb1EEEvllPKT_S5_PKT0_S8_PS3_S9_
	.p2align	8
	.type	_ZN2at6native12_GLOBAL__N_135GammaBetaBackwardCUDAKernelTemplateIddLj32ELj8ELj64ELb0ELb1ELb1EEEvllPKT_S5_PKT0_S8_PS3_S9_,@function
_ZN2at6native12_GLOBAL__N_135GammaBetaBackwardCUDAKernelTemplateIddLj32ELj8ELj64ELb0ELb1ELb1EEEvllPKT_S5_PKT0_S8_PS3_S9_: ; @_ZN2at6native12_GLOBAL__N_135GammaBetaBackwardCUDAKernelTemplateIddLj32ELj8ELj64ELb0ELb1ELb1EEEvllPKT_S5_PKT0_S8_PS3_S9_
; %bb.0:
	s_load_b128 s[4:7], s[0:1], 0x0
	s_bfe_u32 s2, ttmp6, 0x40010
	s_bfe_u32 s3, ttmp6, 0x40004
	s_add_co_i32 s2, s2, 1
	s_getreg_b32 s20, hwreg(HW_REG_IB_STS2, 6, 4)
	s_mul_i32 s2, ttmp7, s2
	s_mov_b32 s13, 0
	s_add_co_i32 s3, s3, s2
	s_cmp_eq_u32 s20, 0
	v_bfe_u32 v13, v0, 10, 10
	s_cselect_b32 s2, ttmp7, s3
	s_delay_alu instid0(SALU_CYCLE_1)
	s_lshl_b32 s12, s2, 6
	s_wait_kmcnt 0x0
	v_cmp_gt_i64_e64 s2, s[4:5], s[12:13]
	s_and_b32 vcc_lo, exec_lo, s2
	s_cbranch_vccnz .LBB133_2
; %bb.1:
	v_bfe_u32 v1, v0, 10, 10
	s_mov_b32 s2, s13
	v_mov_b64_e32 v[2:3], 0
	v_and_b32_e32 v12, 0x3ff, v0
	s_and_not1_b32 vcc_lo, exec_lo, s2
	s_cbranch_vccz .LBB133_3
	s_branch .LBB133_10
.LBB133_2:
                                        ; implicit-def: $vgpr1
	v_mov_b64_e32 v[2:3], 0
	v_and_b32_e32 v12, 0x3ff, v0
.LBB133_3:
	v_dual_mov_b32 v1, 0 :: v_dual_lshlrev_b32 v0, 3, v13
	s_load_b32 s2, s[0:1], 0x4c
	s_bfe_u32 s14, ttmp6, 0x4000c
	s_clause 0x2
	s_load_b32 s3, s[0:1], 0x44
	s_load_b128 s[8:11], s[0:1], 0x10
	s_load_b64 s[16:17], s[0:1], 0x28
	s_add_co_i32 s14, s14, 1
	v_add_nc_u64_e32 v[2:3], s[12:13], v[0:1]
	s_and_b32 s18, ttmp6, 15
	s_mul_i32 s14, ttmp9, s14
	v_dual_mov_b32 v7, v1 :: v_dual_mov_b32 v11, v1
	s_add_co_i32 s18, s18, s14
	s_mov_b32 s15, 0
	s_delay_alu instid0(VALU_DEP_2)
	v_mul_u64_e32 v[8:9], s[6:7], v[2:3]
	v_dual_mov_b32 v0, 8 :: v_dual_mov_b32 v14, 4
	v_dual_mov_b32 v16, 16 :: v_dual_mov_b32 v17, 20
	;; [unrolled: 1-line block ×3, first 2 shown]
	v_mov_b32_e32 v15, 12
	s_wait_kmcnt 0x0
	s_and_b32 s2, s2, 0xffff
	s_cmp_eq_u32 s20, 0
	v_mad_u32_u24 v4, v13, s2, v12
	s_cselect_b32 s2, ttmp9, s18
	s_lshl_b32 s14, s3, 6
	v_lshl_add_u32 v10, s2, 5, v12
	s_mul_u64 s[18:19], s[6:7], s[14:15]
	v_and_b32_e32 v6, 31, v4
	s_lshl_b64 s[18:19], s[18:19], 3
	s_lshl_b64 s[6:7], s[6:7], 3
	v_lshlrev_b64_e32 v[10:11], 3, v[10:11]
	s_delay_alu instid0(VALU_DEP_2) | instskip(SKIP_2) | instid1(VALU_DEP_3)
	v_add_nc_u64_e32 v[4:5], v[2:3], v[6:7]
	v_mov_b64_e32 v[2:3], 0
	v_cmp_gt_u32_e64 s2, 8, v6
	v_lshl_add_u64 v[6:7], v[4:5], 3, s[16:17]
	s_lshl_b64 s[16:17], s[14:15], 3
	v_lshl_add_u64 v[8:9], v[8:9], 3, v[10:11]
	s_branch .LBB133_6
.LBB133_4:                              ;   in Loop: Header=BB133_6 Depth=1
	s_wait_xcnt 0x0
	s_or_b32 exec_lo, exec_lo, s21
.LBB133_5:                              ;   in Loop: Header=BB133_6 Depth=1
	s_delay_alu instid0(SALU_CYCLE_1)
	s_or_b32 exec_lo, exec_lo, s3
	v_add_nc_u64_e32 v[20:21], s[8:9], v[8:9]
	v_add_nc_u64_e32 v[22:23], s[10:11], v[8:9]
	s_add_nc_u64 s[12:13], s[12:13], s[14:15]
	v_add_nc_u64_e32 v[6:7], s[16:17], v[6:7]
	v_cmp_lt_i64_e64 s3, s[12:13], s[4:5]
	v_add_nc_u64_e32 v[4:5], s[14:15], v[4:5]
	v_add_nc_u64_e32 v[8:9], s[18:19], v[8:9]
	global_load_b64 v[24:25], v[20:21], off
	global_load_b64 v[26:27], v[22:23], off
	s_wait_xcnt 0x1
	v_add_nc_u64_e32 v[20:21], s[6:7], v[20:21]
	s_wait_xcnt 0x0
	v_add_nc_u64_e32 v[22:23], s[6:7], v[22:23]
	global_load_b64 v[28:29], v[20:21], off
	global_load_b64 v[30:31], v[22:23], off
	s_wait_xcnt 0x1
	v_add_nc_u64_e32 v[20:21], s[6:7], v[20:21]
	s_wait_xcnt 0x0
	v_add_nc_u64_e32 v[22:23], s[6:7], v[22:23]
	s_and_b32 vcc_lo, exec_lo, s3
	global_load_b64 v[32:33], v[20:21], off
	global_load_b64 v[34:35], v[22:23], off
	s_wait_xcnt 0x1
	v_add_nc_u64_e32 v[20:21], s[6:7], v[20:21]
	s_wait_xcnt 0x0
	v_add_nc_u64_e32 v[22:23], s[6:7], v[22:23]
	global_load_b64 v[36:37], v[20:21], off
	global_load_b64 v[38:39], v[22:23], off
	s_wait_xcnt 0x1
	v_add_nc_u64_e32 v[20:21], s[6:7], v[20:21]
	s_wait_xcnt 0x0
	v_add_nc_u64_e32 v[22:23], s[6:7], v[22:23]
	;; [unrolled: 6-line block ×5, first 2 shown]
	global_load_b64 v[52:53], v[20:21], off
	global_load_b64 v[54:55], v[22:23], off
	s_wait_loadcnt 0x10
	s_wait_xcnt 0x0
	ds_bpermute_b32 v22, v1, v10
	ds_bpermute_b32 v23, v1, v11
	s_wait_loadcnt 0xe
	v_mul_f64_e32 v[20:21], v[24:25], v[26:27]
	s_wait_loadcnt 0xc
	v_mul_f64_e32 v[24:25], v[28:29], v[30:31]
	s_wait_dscnt 0x0
	s_delay_alu instid0(VALU_DEP_2)
	v_fmac_f64_e32 v[2:3], v[20:21], v[22:23]
	ds_bpermute_b32 v20, v14, v10
	ds_bpermute_b32 v21, v14, v11
	s_wait_loadcnt 0xa
	v_mul_f64_e32 v[22:23], v[32:33], v[34:35]
	s_wait_dscnt 0x0
	v_fmac_f64_e32 v[2:3], v[24:25], v[20:21]
	ds_bpermute_b32 v20, v0, v10
	ds_bpermute_b32 v21, v0, v11
	s_wait_loadcnt 0x8
	v_mul_f64_e32 v[24:25], v[36:37], v[38:39]
	s_wait_dscnt 0x0
	;; [unrolled: 6-line block ×5, first 2 shown]
	v_fmac_f64_e32 v[2:3], v[24:25], v[20:21]
	ds_bpermute_b32 v20, v18, v10
	ds_bpermute_b32 v21, v18, v11
	;; [unrolled: 1-line block ×4, first 2 shown]
	s_wait_dscnt 0x2
	v_fmac_f64_e32 v[2:3], v[22:23], v[20:21]
	s_wait_loadcnt 0x0
	v_mul_f64_e32 v[20:21], v[52:53], v[54:55]
	s_wait_dscnt 0x0
	s_delay_alu instid0(VALU_DEP_1)
	v_fmac_f64_e32 v[2:3], v[20:21], v[10:11]
	s_cbranch_vccz .LBB133_9
.LBB133_6:                              ; =>This Inner Loop Header: Depth=1
	v_mov_b64_e32 v[10:11], 0
	s_and_saveexec_b32 s3, s2
	s_cbranch_execz .LBB133_5
; %bb.7:                                ;   in Loop: Header=BB133_6 Depth=1
	v_mov_b64_e32 v[10:11], 0
	s_mov_b32 s21, exec_lo
	v_cmpx_gt_i64_e64 s[4:5], v[4:5]
	s_cbranch_execz .LBB133_4
; %bb.8:                                ;   in Loop: Header=BB133_6 Depth=1
	global_load_b64 v[10:11], v[6:7], off
	s_branch .LBB133_4
.LBB133_9:
	v_mov_b32_e32 v1, v13
.LBB133_10:
	s_load_b64 s[2:3], s[0:1], 0x30
	s_delay_alu instid0(VALU_DEP_1)
	v_mad_u32_u24 v0, v1, 33, v12
	v_lshrrev_b32_e32 v4, 5, v12
	v_mov_b64_e32 v[6:7], 0
	s_wait_xcnt 0x0
	s_mov_b32 s0, exec_lo
	v_lshl_add_u32 v0, v0, 3, 0
	v_add_nc_u32_e32 v4, v4, v1
	ds_store_b64 v0, v[2:3]
	ds_store_b64 v0, v[6:7] offset:2112
	s_wait_dscnt 0x0
	s_barrier_signal -1
	s_barrier_wait -1
	v_cmpx_gt_u32_e32 32, v4
	s_cbranch_execz .LBB133_30
; %bb.11:
	v_and_b32_e32 v0, 31, v12
	s_delay_alu instid0(VALU_DEP_1)
	v_cmp_gt_u32_e32 vcc_lo, 8, v0
	v_mul_u32_u24_e32 v2, 33, v0
                                        ; implicit-def: $vgpr0_vgpr1
	s_and_saveexec_b32 s0, vcc_lo
; %bb.12:
	s_delay_alu instid0(VALU_DEP_1) | instskip(NEXT) | instid1(VALU_DEP_1)
	v_dual_lshlrev_b32 v0, 3, v4 :: v_dual_lshlrev_b32 v1, 3, v2
	v_add3_u32 v0, 0, v0, v1
	ds_load_b64 v[0:1], v0
; %bb.13:
	s_or_b32 exec_lo, exec_lo, s0
	v_mbcnt_lo_u32_b32 v8, -1, 0
	s_wait_kmcnt 0x0
	s_cmp_lg_u64 s[2:3], 0
	s_cselect_b32 s1, -1, 0
	s_bfe_u32 s4, ttmp6, 0x4000c
	v_xor_b32_e32 v3, 4, v8
	s_add_co_i32 s4, s4, 1
	s_and_b32 s5, ttmp6, 15
	s_mul_i32 s4, ttmp9, s4
	v_xor_b32_e32 v5, 2, v8
	v_cmp_gt_i32_e64 s0, 32, v3
	s_delay_alu instid0(VALU_DEP_1) | instskip(NEXT) | instid1(VALU_DEP_3)
	v_cndmask_b32_e64 v3, v8, v3, s0
	v_cmp_gt_i32_e64 s0, 32, v5
	s_delay_alu instid0(VALU_DEP_1)
	v_dual_lshlrev_b32 v3, 2, v3 :: v_dual_cndmask_b32 v5, v8, v5, s0
	s_wait_dscnt 0x0
	ds_bpermute_b32 v6, v3, v0
	ds_bpermute_b32 v7, v3, v1
	s_wait_dscnt 0x0
	v_dual_add_f64 v[0:1], v[0:1], v[6:7] :: v_dual_lshlrev_b32 v5, 2, v5
	ds_bpermute_b32 v6, v5, v0
	ds_bpermute_b32 v7, v5, v1
	s_wait_dscnt 0x0
	v_dual_add_f64 v[0:1], v[0:1], v[6:7] :: v_dual_bitop2_b32 v6, 1, v8 bitop3:0x14
	s_delay_alu instid0(VALU_DEP_1) | instskip(NEXT) | instid1(VALU_DEP_1)
	v_cmp_gt_i32_e64 s0, 32, v6
	v_cndmask_b32_e64 v6, v8, v6, s0
	v_cmp_eq_u32_e64 s0, 0, v12
	s_delay_alu instid0(VALU_DEP_2)
	v_lshlrev_b32_e32 v6, 2, v6
	s_and_b32 s1, s0, s1
	s_add_co_i32 s0, s5, s4
	s_cmp_eq_u32 s20, 0
	s_mov_b32 s5, 0
	s_cselect_b32 s4, ttmp9, s0
	s_delay_alu instid0(SALU_CYCLE_1) | instskip(NEXT) | instid1(SALU_CYCLE_1)
	s_lshl_b64 s[4:5], s[4:5], 8
	s_add_nc_u64 s[2:3], s[2:3], s[4:5]
	ds_bpermute_b32 v8, v6, v0
	ds_bpermute_b32 v9, v6, v1
	s_wait_dscnt 0x0
	v_add_f64_e32 v[0:1], v[0:1], v[8:9]
	s_and_saveexec_b32 s0, s1
	s_cbranch_execz .LBB133_15
; %bb.14:
	global_store_b64 v4, v[0:1], s[2:3] scale_offset
.LBB133_15:
	s_wait_xcnt 0x0
	s_or_b32 exec_lo, exec_lo, s0
	v_cmp_gt_u32_e64 s0, 24, v4
	s_and_b32 exec_lo, exec_lo, s0
	s_cbranch_execz .LBB133_30
; %bb.16:
	s_and_saveexec_b32 s0, vcc_lo
; %bb.17:
	v_dual_lshlrev_b32 v0, 3, v4 :: v_dual_lshlrev_b32 v1, 3, v2
	s_delay_alu instid0(VALU_DEP_1)
	v_add3_u32 v0, 0, v0, v1
	ds_load_b64 v[0:1], v0 offset:64
; %bb.18:
	s_or_b32 exec_lo, exec_lo, s0
	s_wait_dscnt 0x0
	ds_bpermute_b32 v8, v3, v0
	ds_bpermute_b32 v9, v3, v1
	s_wait_dscnt 0x0
	v_add_f64_e32 v[0:1], v[0:1], v[8:9]
	ds_bpermute_b32 v8, v5, v0
	ds_bpermute_b32 v9, v5, v1
	s_wait_dscnt 0x0
	v_add_f64_e32 v[0:1], v[0:1], v[8:9]
	;; [unrolled: 4-line block ×3, first 2 shown]
	s_and_saveexec_b32 s0, s1
	s_cbranch_execz .LBB133_20
; %bb.19:
	global_store_b64 v4, v[0:1], s[2:3] offset:64 scale_offset
.LBB133_20:
	s_wait_xcnt 0x0
	s_or_b32 exec_lo, exec_lo, s0
	v_cmp_gt_u32_e64 s0, 16, v4
	s_and_b32 exec_lo, exec_lo, s0
	s_cbranch_execz .LBB133_30
; %bb.21:
	s_and_saveexec_b32 s0, vcc_lo
; %bb.22:
	v_dual_lshlrev_b32 v0, 3, v4 :: v_dual_lshlrev_b32 v1, 3, v2
	s_delay_alu instid0(VALU_DEP_1)
	v_add3_u32 v0, 0, v0, v1
	ds_load_b64 v[0:1], v0 offset:128
; %bb.23:
	s_or_b32 exec_lo, exec_lo, s0
	s_wait_dscnt 0x0
	ds_bpermute_b32 v8, v3, v0
	ds_bpermute_b32 v9, v3, v1
	s_wait_dscnt 0x0
	v_add_f64_e32 v[0:1], v[0:1], v[8:9]
	ds_bpermute_b32 v8, v5, v0
	ds_bpermute_b32 v9, v5, v1
	s_wait_dscnt 0x0
	v_add_f64_e32 v[0:1], v[0:1], v[8:9]
	;; [unrolled: 4-line block ×3, first 2 shown]
	s_and_saveexec_b32 s0, s1
	s_cbranch_execz .LBB133_25
; %bb.24:
	global_store_b64 v4, v[0:1], s[2:3] offset:128 scale_offset
.LBB133_25:
	s_wait_xcnt 0x0
	s_or_b32 exec_lo, exec_lo, s0
	v_cmp_gt_u32_e64 s0, 8, v4
	s_and_b32 exec_lo, exec_lo, s0
	s_cbranch_execz .LBB133_30
; %bb.26:
	s_and_saveexec_b32 s0, vcc_lo
; %bb.27:
	v_dual_lshlrev_b32 v0, 3, v4 :: v_dual_lshlrev_b32 v1, 3, v2
	s_delay_alu instid0(VALU_DEP_1)
	v_add3_u32 v0, 0, v0, v1
	ds_load_b64 v[0:1], v0 offset:192
; %bb.28:
	s_or_b32 exec_lo, exec_lo, s0
	s_wait_dscnt 0x0
	ds_bpermute_b32 v2, v3, v0
	ds_bpermute_b32 v3, v3, v1
	s_wait_dscnt 0x0
	v_add_f64_e32 v[0:1], v[0:1], v[2:3]
	ds_bpermute_b32 v2, v5, v0
	ds_bpermute_b32 v3, v5, v1
	s_wait_dscnt 0x0
	v_add_f64_e32 v[0:1], v[0:1], v[2:3]
	ds_bpermute_b32 v2, v6, v0
	ds_bpermute_b32 v3, v6, v1
	s_and_saveexec_b32 s0, s1
	s_delay_alu instid0(SALU_CYCLE_1)
	s_xor_b32 s0, exec_lo, s0
	s_cbranch_execz .LBB133_30
; %bb.29:
	s_wait_dscnt 0x0
	v_add_f64_e32 v[0:1], v[0:1], v[2:3]
	global_store_b64 v4, v[0:1], s[2:3] offset:192 scale_offset
.LBB133_30:
	s_endpgm
	.section	.rodata,"a",@progbits
	.p2align	6, 0x0
	.amdhsa_kernel _ZN2at6native12_GLOBAL__N_135GammaBetaBackwardCUDAKernelTemplateIddLj32ELj8ELj64ELb0ELb1ELb1EEEvllPKT_S5_PKT0_S8_PS3_S9_
		.amdhsa_group_segment_fixed_size 0
		.amdhsa_private_segment_fixed_size 0
		.amdhsa_kernarg_size 320
		.amdhsa_user_sgpr_count 2
		.amdhsa_user_sgpr_dispatch_ptr 0
		.amdhsa_user_sgpr_queue_ptr 0
		.amdhsa_user_sgpr_kernarg_segment_ptr 1
		.amdhsa_user_sgpr_dispatch_id 0
		.amdhsa_user_sgpr_kernarg_preload_length 0
		.amdhsa_user_sgpr_kernarg_preload_offset 0
		.amdhsa_user_sgpr_private_segment_size 0
		.amdhsa_wavefront_size32 1
		.amdhsa_uses_dynamic_stack 0
		.amdhsa_enable_private_segment 0
		.amdhsa_system_sgpr_workgroup_id_x 1
		.amdhsa_system_sgpr_workgroup_id_y 1
		.amdhsa_system_sgpr_workgroup_id_z 0
		.amdhsa_system_sgpr_workgroup_info 0
		.amdhsa_system_vgpr_workitem_id 1
		.amdhsa_next_free_vgpr 56
		.amdhsa_next_free_sgpr 22
		.amdhsa_named_barrier_count 0
		.amdhsa_reserve_vcc 1
		.amdhsa_float_round_mode_32 0
		.amdhsa_float_round_mode_16_64 0
		.amdhsa_float_denorm_mode_32 3
		.amdhsa_float_denorm_mode_16_64 3
		.amdhsa_fp16_overflow 0
		.amdhsa_memory_ordered 1
		.amdhsa_forward_progress 1
		.amdhsa_inst_pref_size 16
		.amdhsa_round_robin_scheduling 0
		.amdhsa_exception_fp_ieee_invalid_op 0
		.amdhsa_exception_fp_denorm_src 0
		.amdhsa_exception_fp_ieee_div_zero 0
		.amdhsa_exception_fp_ieee_overflow 0
		.amdhsa_exception_fp_ieee_underflow 0
		.amdhsa_exception_fp_ieee_inexact 0
		.amdhsa_exception_int_div_zero 0
	.end_amdhsa_kernel
	.section	.text._ZN2at6native12_GLOBAL__N_135GammaBetaBackwardCUDAKernelTemplateIddLj32ELj8ELj64ELb0ELb1ELb1EEEvllPKT_S5_PKT0_S8_PS3_S9_,"axG",@progbits,_ZN2at6native12_GLOBAL__N_135GammaBetaBackwardCUDAKernelTemplateIddLj32ELj8ELj64ELb0ELb1ELb1EEEvllPKT_S5_PKT0_S8_PS3_S9_,comdat
.Lfunc_end133:
	.size	_ZN2at6native12_GLOBAL__N_135GammaBetaBackwardCUDAKernelTemplateIddLj32ELj8ELj64ELb0ELb1ELb1EEEvllPKT_S5_PKT0_S8_PS3_S9_, .Lfunc_end133-_ZN2at6native12_GLOBAL__N_135GammaBetaBackwardCUDAKernelTemplateIddLj32ELj8ELj64ELb0ELb1ELb1EEEvllPKT_S5_PKT0_S8_PS3_S9_
                                        ; -- End function
	.set _ZN2at6native12_GLOBAL__N_135GammaBetaBackwardCUDAKernelTemplateIddLj32ELj8ELj64ELb0ELb1ELb1EEEvllPKT_S5_PKT0_S8_PS3_S9_.num_vgpr, 56
	.set _ZN2at6native12_GLOBAL__N_135GammaBetaBackwardCUDAKernelTemplateIddLj32ELj8ELj64ELb0ELb1ELb1EEEvllPKT_S5_PKT0_S8_PS3_S9_.num_agpr, 0
	.set _ZN2at6native12_GLOBAL__N_135GammaBetaBackwardCUDAKernelTemplateIddLj32ELj8ELj64ELb0ELb1ELb1EEEvllPKT_S5_PKT0_S8_PS3_S9_.numbered_sgpr, 22
	.set _ZN2at6native12_GLOBAL__N_135GammaBetaBackwardCUDAKernelTemplateIddLj32ELj8ELj64ELb0ELb1ELb1EEEvllPKT_S5_PKT0_S8_PS3_S9_.num_named_barrier, 0
	.set _ZN2at6native12_GLOBAL__N_135GammaBetaBackwardCUDAKernelTemplateIddLj32ELj8ELj64ELb0ELb1ELb1EEEvllPKT_S5_PKT0_S8_PS3_S9_.private_seg_size, 0
	.set _ZN2at6native12_GLOBAL__N_135GammaBetaBackwardCUDAKernelTemplateIddLj32ELj8ELj64ELb0ELb1ELb1EEEvllPKT_S5_PKT0_S8_PS3_S9_.uses_vcc, 1
	.set _ZN2at6native12_GLOBAL__N_135GammaBetaBackwardCUDAKernelTemplateIddLj32ELj8ELj64ELb0ELb1ELb1EEEvllPKT_S5_PKT0_S8_PS3_S9_.uses_flat_scratch, 0
	.set _ZN2at6native12_GLOBAL__N_135GammaBetaBackwardCUDAKernelTemplateIddLj32ELj8ELj64ELb0ELb1ELb1EEEvllPKT_S5_PKT0_S8_PS3_S9_.has_dyn_sized_stack, 0
	.set _ZN2at6native12_GLOBAL__N_135GammaBetaBackwardCUDAKernelTemplateIddLj32ELj8ELj64ELb0ELb1ELb1EEEvllPKT_S5_PKT0_S8_PS3_S9_.has_recursion, 0
	.set _ZN2at6native12_GLOBAL__N_135GammaBetaBackwardCUDAKernelTemplateIddLj32ELj8ELj64ELb0ELb1ELb1EEEvllPKT_S5_PKT0_S8_PS3_S9_.has_indirect_call, 0
	.section	.AMDGPU.csdata,"",@progbits
; Kernel info:
; codeLenInByte = 1956
; TotalNumSgprs: 24
; NumVgprs: 56
; ScratchSize: 0
; MemoryBound: 0
; FloatMode: 240
; IeeeMode: 1
; LDSByteSize: 0 bytes/workgroup (compile time only)
; SGPRBlocks: 0
; VGPRBlocks: 3
; NumSGPRsForWavesPerEU: 24
; NumVGPRsForWavesPerEU: 56
; NamedBarCnt: 0
; Occupancy: 16
; WaveLimiterHint : 0
; COMPUTE_PGM_RSRC2:SCRATCH_EN: 0
; COMPUTE_PGM_RSRC2:USER_SGPR: 2
; COMPUTE_PGM_RSRC2:TRAP_HANDLER: 0
; COMPUTE_PGM_RSRC2:TGID_X_EN: 1
; COMPUTE_PGM_RSRC2:TGID_Y_EN: 1
; COMPUTE_PGM_RSRC2:TGID_Z_EN: 0
; COMPUTE_PGM_RSRC2:TIDIG_COMP_CNT: 1
	.section	.text._ZN2at6native12_GLOBAL__N_135GammaBetaBackwardCUDAKernelTemplateIddLj32ELj8ELj64ELb0ELb0ELb1EEEvllPKT_S5_PKT0_S8_PS3_S9_,"axG",@progbits,_ZN2at6native12_GLOBAL__N_135GammaBetaBackwardCUDAKernelTemplateIddLj32ELj8ELj64ELb0ELb0ELb1EEEvllPKT_S5_PKT0_S8_PS3_S9_,comdat
	.globl	_ZN2at6native12_GLOBAL__N_135GammaBetaBackwardCUDAKernelTemplateIddLj32ELj8ELj64ELb0ELb0ELb1EEEvllPKT_S5_PKT0_S8_PS3_S9_ ; -- Begin function _ZN2at6native12_GLOBAL__N_135GammaBetaBackwardCUDAKernelTemplateIddLj32ELj8ELj64ELb0ELb0ELb1EEEvllPKT_S5_PKT0_S8_PS3_S9_
	.p2align	8
	.type	_ZN2at6native12_GLOBAL__N_135GammaBetaBackwardCUDAKernelTemplateIddLj32ELj8ELj64ELb0ELb0ELb1EEEvllPKT_S5_PKT0_S8_PS3_S9_,@function
_ZN2at6native12_GLOBAL__N_135GammaBetaBackwardCUDAKernelTemplateIddLj32ELj8ELj64ELb0ELb0ELb1EEEvllPKT_S5_PKT0_S8_PS3_S9_: ; @_ZN2at6native12_GLOBAL__N_135GammaBetaBackwardCUDAKernelTemplateIddLj32ELj8ELj64ELb0ELb0ELb1EEEvllPKT_S5_PKT0_S8_PS3_S9_
; %bb.0:
	s_load_b256 s[4:11], s[0:1], 0x0
	s_bfe_u32 s3, ttmp6, 0x4000c
	s_bfe_u32 s12, ttmp6, 0x40010
	s_add_co_i32 s3, s3, 1
	s_add_co_i32 s12, s12, 1
	s_and_b32 s2, ttmp6, 15
	s_bfe_u32 s13, ttmp6, 0x40004
	s_mul_i32 s3, ttmp9, s3
	s_mul_i32 s12, ttmp7, s12
	s_getreg_b32 s14, hwreg(HW_REG_IB_STS2, 6, 4)
	s_add_co_i32 s2, s2, s3
	s_add_co_i32 s13, s13, s12
	s_cmp_eq_u32 s14, 0
	s_mov_b32 s17, 0
	s_cselect_b32 s12, ttmp9, s2
	s_cselect_b32 s2, ttmp7, s13
	s_lshl_b32 s3, s12, 5
	s_load_b64 s[14:15], s[0:1], 0x28
	s_or_b32 s16, s3, 31
	s_wait_kmcnt 0x0
	v_cmp_le_i64_e64 s18, s[6:7], s[16:17]
	s_lshl_b32 s16, s2, 6
	s_delay_alu instid0(SALU_CYCLE_1) | instskip(SKIP_2) | instid1(VALU_DEP_1)
	v_cmp_gt_i64_e64 s13, s[4:5], s[16:17]
	s_and_b32 vcc_lo, exec_lo, s18
	v_cndmask_b32_e64 v1, 0, 1, s13
	v_cmp_ne_u32_e64 s2, 1, v1
	s_cbranch_vccz .LBB134_49
; %bb.1:
	v_mov_b64_e32 v[4:5], 0
	s_and_b32 vcc_lo, exec_lo, s2
	s_cbranch_vccnz .LBB134_50
; %bb.2:
	v_bfe_u32 v1, v0, 10, 10
	v_mov_b32_e32 v2, 0
	v_and_b32_e32 v92, 0x3ff, v0
	s_load_b32 s18, s[0:1], 0x44
	s_mov_b32 s19, 0
	s_delay_alu instid0(VALU_DEP_2) | instskip(NEXT) | instid1(VALU_DEP_2)
	v_dual_mov_b32 v51, v2 :: v_dual_lshlrev_b32 v50, 3, v1
	v_dual_mov_b32 v19, v2 :: v_dual_add_nc_u32 v18, s3, v92
	v_mov_b64_e32 v[86:87], 0
	s_mov_b32 s31, s19
	s_delay_alu instid0(VALU_DEP_3)
	v_add_nc_u64_e32 v[4:5], s[16:17], v[50:51]
	s_mov_b64 s[20:21], 0xffffffffffffffc1
	v_cmp_gt_i64_e64 s2, s[6:7], v[18:19]
	v_lshlrev_b64_e32 v[52:53], 3, v[18:19]
	s_mov_b64 s[22:23], 0xffffffffffffffc2
	s_mov_b64 s[24:25], 0xffffffffffffffc3
	;; [unrolled: 1-line block ×3, first 2 shown]
	v_mul_u64_e32 v[6:7], s[6:7], v[4:5]
	v_add_nc_u64_e32 v[8:9], 7, v[4:5]
	v_add_nc_u64_e32 v[10:11], 6, v[4:5]
	;; [unrolled: 1-line block ×6, first 2 shown]
	s_wait_kmcnt 0x0
	s_lshl_b32 s30, s18, 6
	v_mul_u64_e32 v[8:9], s[6:7], v[8:9]
	v_mul_u64_e32 v[10:11], s[6:7], v[10:11]
	v_mul_u64_e32 v[12:13], s[6:7], v[12:13]
	v_mul_u64_e32 v[14:15], s[6:7], v[14:15]
	v_mul_u64_e32 v[16:17], s[6:7], v[16:17]
	v_mul_u64_e32 v[4:5], s[6:7], v[4:5]
	s_mul_u64 s[42:43], s[6:7], s[30:31]
	s_mov_b64 s[28:29], 0xffffffffffffffc5
	s_mov_b64 s[34:35], 0xffffffffffffffc6
	s_mov_b64 s[36:37], 0xffffffffffffffc7
	s_mov_b64 s[38:39], 0xffffffffffffffc8
	s_add_nc_u64 s[40:41], s[0:1], 64
	s_lshl_b64 s[42:43], s[42:43], 3
	s_add_nc_u64 s[44:45], s[16:17], 63
	s_mov_b64 s[46:47], s[16:17]
	v_lshlrev_b64_e32 v[20:21], 3, v[6:7]
	v_add_nc_u64_e32 v[6:7], s[6:7], v[6:7]
	s_delay_alu instid0(VALU_DEP_2)
	v_add_nc_u64_e32 v[54:55], s[8:9], v[20:21]
	v_lshlrev_b64_e32 v[8:9], 3, v[8:9]
	v_lshlrev_b64_e32 v[10:11], 3, v[10:11]
	;; [unrolled: 1-line block ×7, first 2 shown]
	v_add_nc_u64_e32 v[56:57], s[10:11], v[20:21]
	v_add_nc_u64_e32 v[58:59], s[8:9], v[8:9]
	;; [unrolled: 1-line block ×15, first 2 shown]
.LBB134_3:                              ; =>This Inner Loop Header: Depth=1
	v_cmp_ge_i64_e64 s18, s[44:45], s[4:5]
	v_add_nc_u64_e32 v[88:89], s[44:45], v[50:51]
                                        ; implicit-def: $vgpr4_vgpr5
                                        ; implicit-def: $vgpr18_vgpr19_vgpr20_vgpr21_vgpr22_vgpr23_vgpr24_vgpr25_vgpr26_vgpr27_vgpr28_vgpr29_vgpr30_vgpr31_vgpr32_vgpr33
                                        ; implicit-def: $vgpr34_vgpr35_vgpr36_vgpr37_vgpr38_vgpr39_vgpr40_vgpr41_vgpr42_vgpr43_vgpr44_vgpr45_vgpr46_vgpr47_vgpr48_vgpr49
                                        ; implicit-def: $vgpr6
	s_and_b32 vcc_lo, exec_lo, s18
	s_mov_b32 s18, -1
	s_cbranch_vccz .LBB134_25
; %bb.4:                                ;   in Loop: Header=BB134_3 Depth=1
	s_load_b32 s18, s[40:41], 0xc
	v_mov_b64_e32 v[90:91], 0
	s_wait_kmcnt 0x0
	s_and_b32 s18, s18, 0xffff
	s_delay_alu instid0(SALU_CYCLE_1) | instskip(SKIP_1) | instid1(VALU_DEP_1)
	v_mad_u32_u24 v3, v1, s18, v92
	s_mov_b32 s18, exec_lo
	v_and_b32_e32 v4, 31, v3
	s_delay_alu instid0(VALU_DEP_1)
	v_cmpx_gt_u32_e32 8, v4
	s_cbranch_execz .LBB134_8
; %bb.5:                                ;   in Loop: Header=BB134_3 Depth=1
	v_mov_b32_e32 v5, v2
	v_mov_b64_e32 v[90:91], 0
	s_mov_b32 s33, exec_lo
	s_delay_alu instid0(VALU_DEP_2) | instskip(NEXT) | instid1(VALU_DEP_1)
	v_add_nc_u64_e32 v[4:5], v[88:89], v[4:5]
	v_add_nc_u64_e32 v[4:5], s[20:21], v[4:5]
	s_delay_alu instid0(VALU_DEP_1)
	v_cmpx_gt_i64_e64 s[4:5], v[4:5]
	s_cbranch_execz .LBB134_7
; %bb.6:                                ;   in Loop: Header=BB134_3 Depth=1
	v_lshl_add_u64 v[4:5], v[4:5], 3, s[14:15]
	global_load_b64 v[90:91], v[4:5], off
.LBB134_7:                              ;   in Loop: Header=BB134_3 Depth=1
	s_wait_xcnt 0x0
	s_or_b32 exec_lo, exec_lo, s33
.LBB134_8:                              ;   in Loop: Header=BB134_3 Depth=1
	s_delay_alu instid0(SALU_CYCLE_1)
	s_or_b32 exec_lo, exec_lo, s18
	v_add_nc_u64_e32 v[18:19], s[20:21], v[88:89]
	v_dual_mov_b32 v15, v2 :: v_dual_mov_b32 v16, v2
	v_dual_mov_b32 v17, v2 :: v_dual_mov_b32 v3, v2
	v_dual_mov_b32 v4, v2 :: v_dual_mov_b32 v5, v2
	v_dual_mov_b32 v6, v2 :: v_dual_mov_b32 v7, v2
	v_dual_mov_b32 v8, v2 :: v_dual_mov_b32 v9, v2
	v_dual_mov_b32 v10, v2 :: v_dual_mov_b32 v11, v2
	v_dual_mov_b32 v12, v2 :: v_dual_mov_b32 v13, v2
	v_mov_b32_e32 v14, v2
	v_cmp_gt_i64_e32 vcc_lo, s[4:5], v[18:19]
	v_mov_b64_e32 v[32:33], v[16:17]
	v_mov_b64_e32 v[48:49], v[16:17]
	;; [unrolled: 1-line block ×16, first 2 shown]
	s_and_b32 s33, s2, vcc_lo
	s_delay_alu instid0(SALU_CYCLE_1)
	s_and_saveexec_b32 s18, s33
	s_cbranch_execz .LBB134_10
; %bb.9:                                ;   in Loop: Header=BB134_3 Depth=1
	v_add_nc_u64_e32 v[4:5], v[54:55], v[52:53]
	v_add_nc_u64_e32 v[6:7], v[56:57], v[52:53]
	v_dual_mov_b32 v36, v2 :: v_dual_mov_b32 v37, v2
	v_dual_mov_b32 v38, v2 :: v_dual_mov_b32 v39, v2
	;; [unrolled: 1-line block ×3, first 2 shown]
	global_load_b64 v[34:35], v[4:5], off
	global_load_b64 v[18:19], v[6:7], off
	v_dual_mov_b32 v42, v2 :: v_dual_mov_b32 v43, v2
	v_dual_mov_b32 v44, v2 :: v_dual_mov_b32 v45, v2
	;; [unrolled: 1-line block ×11, first 2 shown]
.LBB134_10:                             ;   in Loop: Header=BB134_3 Depth=1
	s_wait_xcnt 0x0
	s_or_b32 exec_lo, exec_lo, s18
	v_add_nc_u64_e32 v[4:5], s[22:23], v[88:89]
	s_delay_alu instid0(VALU_DEP_1) | instskip(SKIP_1) | instid1(SALU_CYCLE_1)
	v_cmp_gt_i64_e32 vcc_lo, s[4:5], v[4:5]
	s_and_b32 s33, s2, vcc_lo
	s_and_saveexec_b32 s18, s33
	s_cbranch_execz .LBB134_12
; %bb.11:                               ;   in Loop: Header=BB134_3 Depth=1
	v_add_nc_u64_e32 v[4:5], v[82:83], v[52:53]
	v_add_nc_u64_e32 v[6:7], v[84:85], v[52:53]
	global_load_b64 v[36:37], v[4:5], off
	global_load_b64 v[20:21], v[6:7], off
.LBB134_12:                             ;   in Loop: Header=BB134_3 Depth=1
	s_wait_xcnt 0x0
	s_or_b32 exec_lo, exec_lo, s18
	v_add_nc_u64_e32 v[4:5], s[24:25], v[88:89]
	s_delay_alu instid0(VALU_DEP_1) | instskip(SKIP_1) | instid1(SALU_CYCLE_1)
	v_cmp_gt_i64_e32 vcc_lo, s[4:5], v[4:5]
	s_and_b32 s33, s2, vcc_lo
	s_and_saveexec_b32 s18, s33
	s_cbranch_execz .LBB134_14
; %bb.13:                               ;   in Loop: Header=BB134_3 Depth=1
	v_add_nc_u64_e32 v[4:5], v[78:79], v[52:53]
	v_add_nc_u64_e32 v[6:7], v[80:81], v[52:53]
	global_load_b64 v[38:39], v[4:5], off
	global_load_b64 v[22:23], v[6:7], off
.LBB134_14:                             ;   in Loop: Header=BB134_3 Depth=1
	;; [unrolled: 14-line block ×7, first 2 shown]
	s_wait_xcnt 0x0
	s_or_b32 exec_lo, exec_lo, s18
	s_wait_loadcnt 0x0
	v_mul_f64_e32 v[4:5], v[18:19], v[34:35]
	ds_bpermute_b32 v6, v2, v90
	ds_bpermute_b32 v7, v2, v91
	v_mul_f64_e32 v[8:9], v[20:21], v[36:37]
	v_mul_f64_e32 v[10:11], v[22:23], v[38:39]
	s_mov_b32 s18, 0
	s_wait_dscnt 0x0
	v_fma_f64 v[4:5], v[4:5], v[6:7], v[86:87]
	ds_bpermute_b32 v6, v2, v90 offset:4
	ds_bpermute_b32 v7, v2, v91 offset:4
	s_wait_dscnt 0x0
	v_fmac_f64_e32 v[4:5], v[8:9], v[6:7]
	ds_bpermute_b32 v6, v2, v90 offset:8
	ds_bpermute_b32 v7, v2, v91 offset:8
	v_mul_f64_e32 v[8:9], v[24:25], v[40:41]
	s_wait_dscnt 0x0
	v_fmac_f64_e32 v[4:5], v[10:11], v[6:7]
	ds_bpermute_b32 v6, v2, v90 offset:12
	ds_bpermute_b32 v7, v2, v91 offset:12
	v_mul_f64_e32 v[10:11], v[26:27], v[42:43]
	;; [unrolled: 5-line block ×3, first 2 shown]
	s_wait_dscnt 0x0
	v_fmac_f64_e32 v[4:5], v[10:11], v[6:7]
	ds_bpermute_b32 v6, v2, v90 offset:20
	ds_bpermute_b32 v7, v2, v91 offset:20
	s_wait_dscnt 0x0
	v_fmac_f64_e32 v[4:5], v[8:9], v[6:7]
	v_mul_f64_e32 v[6:7], v[30:31], v[46:47]
	ds_bpermute_b32 v8, v2, v90 offset:24
	ds_bpermute_b32 v9, v2, v91 offset:24
	s_wait_dscnt 0x0
	v_fmac_f64_e32 v[4:5], v[6:7], v[8:9]
	ds_bpermute_b32 v6, v2, v90 offset:28
	ds_bpermute_b32 v7, v2, v91 offset:28
.LBB134_25:                             ;   in Loop: Header=BB134_3 Depth=1
	s_and_b32 vcc_lo, exec_lo, s18
	s_cbranch_vccz .LBB134_40
; %bb.26:                               ;   in Loop: Header=BB134_3 Depth=1
	s_load_b32 s18, s[40:41], 0x0
	v_mov_b64_e32 v[90:91], 0
	s_wait_kmcnt 0x0
	s_cmp_lt_u32 s12, s18
	s_cselect_b32 s18, 12, 18
	s_delay_alu instid0(SALU_CYCLE_1) | instskip(SKIP_4) | instid1(VALU_DEP_1)
	s_add_nc_u64 s[48:49], s[40:41], s[18:19]
	s_load_u16 s18, s[48:49], 0x0
	s_wait_kmcnt 0x0
	v_mad_u32_u24 v3, v1, s18, v92
	s_mov_b32 s18, exec_lo
	v_and_b32_e32 v4, 31, v3
	s_delay_alu instid0(VALU_DEP_1)
	v_cmpx_gt_u32_e32 8, v4
	s_cbranch_execz .LBB134_30
; %bb.27:                               ;   in Loop: Header=BB134_3 Depth=1
	v_mov_b32_e32 v5, v2
	v_mov_b64_e32 v[90:91], 0
	s_mov_b32 s33, exec_lo
	s_delay_alu instid0(VALU_DEP_2) | instskip(NEXT) | instid1(VALU_DEP_1)
	v_add_nc_u64_e32 v[4:5], v[88:89], v[4:5]
	v_add_nc_u64_e32 v[4:5], s[20:21], v[4:5]
	s_delay_alu instid0(VALU_DEP_1)
	v_cmpx_gt_i64_e64 s[4:5], v[4:5]
	s_cbranch_execz .LBB134_29
; %bb.28:                               ;   in Loop: Header=BB134_3 Depth=1
	v_lshl_add_u64 v[4:5], v[4:5], 3, s[14:15]
	global_load_b64 v[90:91], v[4:5], off
.LBB134_29:                             ;   in Loop: Header=BB134_3 Depth=1
	s_wait_xcnt 0x0
	s_or_b32 exec_lo, exec_lo, s33
.LBB134_30:                             ;   in Loop: Header=BB134_3 Depth=1
	s_delay_alu instid0(SALU_CYCLE_1)
	s_or_b32 exec_lo, exec_lo, s18
	v_dual_mov_b32 v15, v2 :: v_dual_mov_b32 v16, v2
	v_dual_mov_b32 v17, v2 :: v_dual_mov_b32 v3, v2
	;; [unrolled: 1-line block ×3, first 2 shown]
	s_wait_dscnt 0x0
	v_dual_mov_b32 v6, v2 :: v_dual_mov_b32 v7, v2
	v_dual_mov_b32 v8, v2 :: v_dual_mov_b32 v9, v2
	;; [unrolled: 1-line block ×4, first 2 shown]
	v_mov_b32_e32 v14, v2
	v_mov_b64_e32 v[32:33], v[16:17]
	v_mov_b64_e32 v[48:49], v[16:17]
	;; [unrolled: 1-line block ×16, first 2 shown]
	s_and_saveexec_b32 s18, s2
	s_cbranch_execnz .LBB134_42
; %bb.31:                               ;   in Loop: Header=BB134_3 Depth=1
	s_or_b32 exec_lo, exec_lo, s18
	s_and_saveexec_b32 s18, s2
	s_cbranch_execnz .LBB134_43
.LBB134_32:                             ;   in Loop: Header=BB134_3 Depth=1
	s_or_b32 exec_lo, exec_lo, s18
	s_and_saveexec_b32 s18, s2
	s_cbranch_execnz .LBB134_44
.LBB134_33:                             ;   in Loop: Header=BB134_3 Depth=1
	s_or_b32 exec_lo, exec_lo, s18
	s_and_saveexec_b32 s18, s2
	s_cbranch_execnz .LBB134_45
.LBB134_34:                             ;   in Loop: Header=BB134_3 Depth=1
	s_or_b32 exec_lo, exec_lo, s18
	s_and_saveexec_b32 s18, s2
	s_cbranch_execnz .LBB134_46
.LBB134_35:                             ;   in Loop: Header=BB134_3 Depth=1
	s_or_b32 exec_lo, exec_lo, s18
	s_and_saveexec_b32 s18, s2
	s_cbranch_execnz .LBB134_47
.LBB134_36:                             ;   in Loop: Header=BB134_3 Depth=1
	s_or_b32 exec_lo, exec_lo, s18
	s_and_saveexec_b32 s18, s2
	s_cbranch_execnz .LBB134_48
.LBB134_37:                             ;   in Loop: Header=BB134_3 Depth=1
	s_or_b32 exec_lo, exec_lo, s18
	s_and_saveexec_b32 s18, s2
	s_cbranch_execz .LBB134_39
.LBB134_38:                             ;   in Loop: Header=BB134_3 Depth=1
	v_add_nc_u64_e32 v[4:5], v[58:59], v[52:53]
	v_add_nc_u64_e32 v[6:7], v[60:61], v[52:53]
	global_load_b64 v[48:49], v[4:5], off
	global_load_b64 v[32:33], v[6:7], off
.LBB134_39:                             ;   in Loop: Header=BB134_3 Depth=1
	s_wait_xcnt 0x0
	s_or_b32 exec_lo, exec_lo, s18
	s_wait_loadcnt 0x0
	v_mul_f64_e32 v[4:5], v[18:19], v[34:35]
	ds_bpermute_b32 v6, v2, v90
	ds_bpermute_b32 v7, v2, v91
	v_mul_f64_e32 v[8:9], v[20:21], v[36:37]
	s_wait_dscnt 0x0
	v_fmac_f64_e32 v[86:87], v[4:5], v[6:7]
	ds_bpermute_b32 v4, v2, v90 offset:4
	ds_bpermute_b32 v5, v2, v91 offset:4
	v_mul_f64_e32 v[6:7], v[22:23], v[38:39]
	s_wait_dscnt 0x0
	v_fmac_f64_e32 v[86:87], v[8:9], v[4:5]
	ds_bpermute_b32 v4, v2, v90 offset:8
	ds_bpermute_b32 v5, v2, v91 offset:8
	;; [unrolled: 5-line block ×5, first 2 shown]
	ds_bpermute_b32 v6, v2, v90 offset:24
	ds_bpermute_b32 v7, v2, v91 offset:24
	s_wait_dscnt 0x2
	v_fmac_f64_e32 v[86:87], v[8:9], v[4:5]
	v_mul_f64_e32 v[4:5], v[30:31], v[46:47]
	s_wait_dscnt 0x0
	s_delay_alu instid0(VALU_DEP_1)
	v_fmac_f64_e32 v[86:87], v[4:5], v[6:7]
	ds_bpermute_b32 v6, v2, v90 offset:28
	ds_bpermute_b32 v7, v2, v91 offset:28
	v_mov_b64_e32 v[4:5], v[86:87]
.LBB134_40:                             ;   in Loop: Header=BB134_3 Depth=1
	v_mul_f64_e32 v[8:9], v[48:49], v[32:33]
	s_add_nc_u64 s[46:47], s[46:47], s[30:31]
	v_add_nc_u64_e32 v[54:55], s[42:43], v[54:55]
	v_cmp_lt_i64_e64 s18, s[46:47], s[4:5]
	v_add_nc_u64_e32 v[56:57], s[42:43], v[56:57]
	v_add_nc_u64_e32 v[58:59], s[42:43], v[58:59]
	;; [unrolled: 1-line block ×15, first 2 shown]
	s_and_b32 vcc_lo, exec_lo, s18
	s_add_nc_u64 s[44:45], s[44:45], s[30:31]
	s_wait_dscnt 0x0
	v_fmac_f64_e32 v[4:5], v[8:9], v[6:7]
	s_cbranch_vccz .LBB134_50
; %bb.41:                               ;   in Loop: Header=BB134_3 Depth=1
	s_delay_alu instid0(VALU_DEP_1)
	v_mov_b64_e32 v[86:87], v[4:5]
	s_branch .LBB134_3
.LBB134_42:                             ;   in Loop: Header=BB134_3 Depth=1
	v_add_nc_u64_e32 v[4:5], v[54:55], v[52:53]
	v_add_nc_u64_e32 v[6:7], v[56:57], v[52:53]
	v_dual_mov_b32 v36, v2 :: v_dual_mov_b32 v37, v2
	v_dual_mov_b32 v38, v2 :: v_dual_mov_b32 v39, v2
	;; [unrolled: 1-line block ×3, first 2 shown]
	global_load_b64 v[34:35], v[4:5], off
	global_load_b64 v[18:19], v[6:7], off
	v_dual_mov_b32 v42, v2 :: v_dual_mov_b32 v43, v2
	v_dual_mov_b32 v44, v2 :: v_dual_mov_b32 v45, v2
	;; [unrolled: 1-line block ×11, first 2 shown]
	s_wait_xcnt 0x0
	s_or_b32 exec_lo, exec_lo, s18
	s_and_saveexec_b32 s18, s2
	s_cbranch_execz .LBB134_32
.LBB134_43:                             ;   in Loop: Header=BB134_3 Depth=1
	v_add_nc_u64_e32 v[4:5], v[82:83], v[52:53]
	v_add_nc_u64_e32 v[6:7], v[84:85], v[52:53]
	global_load_b64 v[36:37], v[4:5], off
	global_load_b64 v[20:21], v[6:7], off
	s_wait_xcnt 0x0
	s_or_b32 exec_lo, exec_lo, s18
	s_and_saveexec_b32 s18, s2
	s_cbranch_execz .LBB134_33
.LBB134_44:                             ;   in Loop: Header=BB134_3 Depth=1
	v_add_nc_u64_e32 v[4:5], v[78:79], v[52:53]
	v_add_nc_u64_e32 v[6:7], v[80:81], v[52:53]
	global_load_b64 v[38:39], v[4:5], off
	global_load_b64 v[22:23], v[6:7], off
	s_wait_xcnt 0x0
	s_or_b32 exec_lo, exec_lo, s18
	s_and_saveexec_b32 s18, s2
	s_cbranch_execz .LBB134_34
.LBB134_45:                             ;   in Loop: Header=BB134_3 Depth=1
	v_add_nc_u64_e32 v[4:5], v[74:75], v[52:53]
	v_add_nc_u64_e32 v[6:7], v[76:77], v[52:53]
	global_load_b64 v[40:41], v[4:5], off
	global_load_b64 v[24:25], v[6:7], off
	s_wait_xcnt 0x0
	s_or_b32 exec_lo, exec_lo, s18
	s_and_saveexec_b32 s18, s2
	s_cbranch_execz .LBB134_35
.LBB134_46:                             ;   in Loop: Header=BB134_3 Depth=1
	v_add_nc_u64_e32 v[4:5], v[70:71], v[52:53]
	v_add_nc_u64_e32 v[6:7], v[72:73], v[52:53]
	global_load_b64 v[42:43], v[4:5], off
	global_load_b64 v[26:27], v[6:7], off
	s_wait_xcnt 0x0
	s_or_b32 exec_lo, exec_lo, s18
	s_and_saveexec_b32 s18, s2
	s_cbranch_execz .LBB134_36
.LBB134_47:                             ;   in Loop: Header=BB134_3 Depth=1
	v_add_nc_u64_e32 v[4:5], v[66:67], v[52:53]
	v_add_nc_u64_e32 v[6:7], v[68:69], v[52:53]
	global_load_b64 v[44:45], v[4:5], off
	global_load_b64 v[28:29], v[6:7], off
	s_wait_xcnt 0x0
	s_or_b32 exec_lo, exec_lo, s18
	s_and_saveexec_b32 s18, s2
	s_cbranch_execz .LBB134_37
.LBB134_48:                             ;   in Loop: Header=BB134_3 Depth=1
	v_add_nc_u64_e32 v[4:5], v[62:63], v[52:53]
	v_add_nc_u64_e32 v[6:7], v[64:65], v[52:53]
	global_load_b64 v[46:47], v[4:5], off
	global_load_b64 v[30:31], v[6:7], off
	s_wait_xcnt 0x0
	s_or_b32 exec_lo, exec_lo, s18
	s_and_saveexec_b32 s18, s2
	s_cbranch_execnz .LBB134_38
	s_branch .LBB134_39
.LBB134_49:
                                        ; implicit-def: $vgpr4_vgpr5
	s_branch .LBB134_51
.LBB134_50:
	s_cbranch_execnz .LBB134_83
.LBB134_51:
	v_mov_b64_e32 v[4:5], 0
	s_and_not1_b32 vcc_lo, exec_lo, s13
	s_cbranch_vccnz .LBB134_83
; %bb.52:
	v_bfe_u32 v1, v0, 10, 10
	v_mov_b32_e32 v2, 0
	v_and_b32_e32 v120, 0x3ff, v0
	s_load_b32 s2, s[0:1], 0x44
	v_mov_b64_e32 v[114:115], 0
	s_delay_alu instid0(VALU_DEP_3) | instskip(SKIP_3) | instid1(VALU_DEP_2)
	v_dual_mov_b32 v5, v2 :: v_dual_lshlrev_b32 v4, 6, v1
	v_dual_mov_b32 v51, v2 :: v_dual_lshlrev_b32 v50, 3, v1
	s_mov_b64 s[20:21], 0xffffffffffffffc3
	s_mov_b64 s[22:23], 0xffffffffffffffc4
	v_lshl_add_u64 v[4:5], s[16:17], 3, v[4:5]
	s_mov_b64 s[24:25], 0xffffffffffffffc5
	s_mov_b64 s[26:27], 0xffffffffffffffc6
	;; [unrolled: 1-line block ×4, first 2 shown]
	v_add_nc_u64_e32 v[6:7], 8, v[4:5]
	v_add_nc_u64_e32 v[10:11], 16, v[4:5]
	;; [unrolled: 1-line block ×7, first 2 shown]
	v_mad_nc_u64_u32 v[52:53], s6, v6, s[8:9]
	v_mul_lo_u32 v3, s6, v7
	v_mul_lo_u32 v20, s7, v6
	v_mad_nc_u64_u32 v[62:63], s6, v6, s[10:11]
	v_mad_nc_u64_u32 v[56:57], s6, v12, s[8:9]
	v_mul_lo_u32 v26, s6, v13
	v_mad_nc_u64_u32 v[72:73], s6, v4, s[8:9]
	v_mul_lo_u32 v32, s7, v4
	v_mad_nc_u64_u32 v[78:79], s6, v4, s[10:11]
	v_add_nc_u32_e32 v4, s3, v120
	v_add_nc_u64_e32 v[8:9], s[16:17], v[50:51]
	v_mul_lo_u32 v27, s7, v12
	v_mad_nc_u64_u32 v[66:67], s6, v12, s[10:11]
	v_add3_u32 v53, v20, v53, v3
	v_add3_u32 v63, v20, v63, v3
	v_mad_nc_u64_u32 v[54:55], s6, v10, s[8:9]
	v_mul_lo_u32 v24, s6, v11
	v_add_nc_u64_e32 v[6:7], 7, v[8:9]
	v_add_nc_u64_e32 v[12:13], 6, v[8:9]
	;; [unrolled: 1-line block ×3, first 2 shown]
	v_mul_lo_u32 v25, s7, v10
	v_mad_nc_u64_u32 v[58:59], s6, v14, s[8:9]
	v_mul_lo_u32 v28, s6, v15
	v_mul_lo_u32 v29, s7, v14
	v_mul_u64_e32 v[6:7], s[6:7], v[6:7]
	v_mad_nc_u64_u32 v[64:65], s6, v10, s[10:11]
	v_mul_u64_e32 v[10:11], s[6:7], v[8:9]
	v_add_nc_u64_e32 v[22:23], 4, v[8:9]
	v_mad_nc_u64_u32 v[70:71], s6, v14, s[10:11]
	v_mul_u64_e32 v[12:13], s[6:7], v[12:13]
	v_add_nc_u64_e32 v[14:15], 3, v[8:9]
	v_add_nc_u64_e32 v[8:9], 2, v[8:9]
	v_mul_u64_e32 v[20:21], s[6:7], v[20:21]
	v_mad_nc_u64_u32 v[60:61], s6, v16, s[8:9]
	v_mul_u64_e32 v[22:23], s[6:7], v[22:23]
	v_mul_lo_u32 v17, s6, v17
	v_mul_lo_u32 v30, s7, v16
	v_mul_u64_e32 v[14:15], s[6:7], v[14:15]
	v_mul_u64_e32 v[8:9], s[6:7], v[8:9]
	v_mad_nc_u64_u32 v[74:75], s6, v16, s[10:11]
	v_mul_lo_u32 v3, s6, v5
	v_mov_b32_e32 v5, v2
	v_mad_nc_u64_u32 v[68:69], s6, v18, s[8:9]
	v_mul_lo_u32 v19, s6, v19
	v_mul_lo_u32 v31, s7, v18
	v_mad_nc_u64_u32 v[76:77], s6, v18, s[10:11]
	v_lshlrev_b64_e32 v[80:81], 3, v[4:5]
	v_add3_u32 v61, v30, v61, v17
	s_mov_b32 s3, 0
	s_wait_kmcnt 0x0
	s_lshl_b32 s18, s2, 6
	v_add3_u32 v75, v30, v75, v17
	s_mov_b32 s19, s3
	v_add3_u32 v55, v25, v55, v24
	v_add3_u32 v57, v27, v57, v26
	;; [unrolled: 1-line block ×4, first 2 shown]
	v_lshlrev_b64_e32 v[6:7], 3, v[6:7]
	v_add3_u32 v59, v29, v59, v28
	v_lshlrev_b64_e32 v[16:17], 3, v[10:11]
	v_add_nc_u64_e32 v[10:11], s[6:7], v[10:11]
	v_add3_u32 v71, v29, v71, v28
	v_lshlrev_b64_e32 v[4:5], 3, v[12:13]
	v_add3_u32 v69, v31, v69, v19
	v_add_nc_u64_e32 v[86:87], s[8:9], v[6:7]
	v_add_nc_u64_e32 v[88:89], s[10:11], v[6:7]
	v_lshlrev_b64_e32 v[6:7], 3, v[20:21]
	v_lshlrev_b64_e32 v[12:13], 3, v[22:23]
	v_add_nc_u64_e32 v[82:83], s[8:9], v[16:17]
	v_add_nc_u64_e32 v[90:91], s[8:9], v[4:5]
	;; [unrolled: 1-line block ×3, first 2 shown]
	v_lshlrev_b64_e32 v[4:5], 3, v[14:15]
	v_lshlrev_b64_e32 v[8:9], 3, v[8:9]
	v_add_nc_u64_e32 v[94:95], s[8:9], v[6:7]
	v_add_nc_u64_e32 v[96:97], s[10:11], v[6:7]
	v_lshlrev_b64_e32 v[6:7], 3, v[10:11]
	v_add_nc_u64_e32 v[84:85], s[10:11], v[16:17]
	v_add_nc_u64_e32 v[98:99], s[8:9], v[12:13]
	v_add_nc_u64_e32 v[100:101], s[10:11], v[12:13]
	v_add_nc_u64_e32 v[102:103], s[8:9], v[4:5]
	v_add_nc_u64_e32 v[104:105], s[10:11], v[4:5]
	v_add_nc_u64_e32 v[106:107], s[8:9], v[8:9]
	v_add_nc_u64_e32 v[108:109], s[10:11], v[8:9]
	v_add_nc_u64_e32 v[110:111], s[8:9], v[6:7]
	v_add_nc_u64_e32 v[112:113], s[10:11], v[6:7]
	v_add3_u32 v73, v32, v73, v3
	v_add3_u32 v77, v31, v77, v19
	v_add3_u32 v79, v32, v79, v3
	s_mul_u64 s[36:37], s[6:7], s[18:19]
	s_mov_b64 s[8:9], 0xffffffffffffffc1
	s_mov_b64 s[10:11], 0xffffffffffffffc2
	s_add_nc_u64 s[34:35], s[0:1], 64
	s_lshl_b64 s[36:37], s[36:37], 3
	s_add_nc_u64 s[38:39], s[16:17], 63
.LBB134_53:                             ; =>This Inner Loop Header: Depth=1
	s_delay_alu instid0(SALU_CYCLE_1)
	v_cmp_ge_i64_e64 s2, s[38:39], s[4:5]
	v_add_nc_u64_e32 v[116:117], s[38:39], v[50:51]
                                        ; implicit-def: $vgpr4_vgpr5
	s_and_b32 vcc_lo, exec_lo, s2
	s_mov_b32 s2, -1
	s_cbranch_vccz .LBB134_75
; %bb.54:                               ;   in Loop: Header=BB134_53 Depth=1
	s_load_b32 s2, s[34:35], 0xc
	v_mov_b64_e32 v[118:119], 0
	s_wait_kmcnt 0x0
	s_and_b32 s2, s2, 0xffff
	s_delay_alu instid0(SALU_CYCLE_1) | instskip(SKIP_1) | instid1(VALU_DEP_1)
	v_mad_u32_u24 v3, v1, s2, v120
	s_mov_b32 s2, exec_lo
	v_and_b32_e32 v4, 31, v3
	s_delay_alu instid0(VALU_DEP_1)
	v_cmpx_gt_u32_e32 8, v4
	s_cbranch_execz .LBB134_58
; %bb.55:                               ;   in Loop: Header=BB134_53 Depth=1
	v_mov_b32_e32 v5, v2
	v_mov_b64_e32 v[118:119], 0
	s_mov_b32 s13, exec_lo
	s_delay_alu instid0(VALU_DEP_2) | instskip(NEXT) | instid1(VALU_DEP_1)
	v_add_nc_u64_e32 v[4:5], v[116:117], v[4:5]
	v_add_nc_u64_e32 v[4:5], s[8:9], v[4:5]
	s_delay_alu instid0(VALU_DEP_1)
	v_cmpx_gt_i64_e64 s[4:5], v[4:5]
	s_cbranch_execz .LBB134_57
; %bb.56:                               ;   in Loop: Header=BB134_53 Depth=1
	v_lshl_add_u64 v[4:5], v[4:5], 3, s[14:15]
	global_load_b64 v[118:119], v[4:5], off
.LBB134_57:                             ;   in Loop: Header=BB134_53 Depth=1
	s_wait_xcnt 0x0
	s_or_b32 exec_lo, exec_lo, s13
.LBB134_58:                             ;   in Loop: Header=BB134_53 Depth=1
	s_delay_alu instid0(SALU_CYCLE_1)
	s_or_b32 exec_lo, exec_lo, s2
	v_add_nc_u64_e32 v[18:19], s[8:9], v[116:117]
	v_dual_mov_b32 v15, v2 :: v_dual_mov_b32 v16, v2
	v_dual_mov_b32 v17, v2 :: v_dual_mov_b32 v3, v2
	;; [unrolled: 1-line block ×7, first 2 shown]
	v_mov_b32_e32 v14, v2
	v_cmp_gt_i64_e32 vcc_lo, s[4:5], v[18:19]
	v_mov_b64_e32 v[32:33], v[16:17]
	v_mov_b64_e32 v[48:49], v[16:17]
	;; [unrolled: 1-line block ×16, first 2 shown]
	s_and_saveexec_b32 s2, vcc_lo
	s_cbranch_execz .LBB134_60
; %bb.59:                               ;   in Loop: Header=BB134_53 Depth=1
	v_add_nc_u64_e32 v[4:5], v[82:83], v[80:81]
	v_add_nc_u64_e32 v[6:7], v[84:85], v[80:81]
	v_dual_mov_b32 v36, v2 :: v_dual_mov_b32 v37, v2
	v_dual_mov_b32 v38, v2 :: v_dual_mov_b32 v39, v2
	;; [unrolled: 1-line block ×3, first 2 shown]
	global_load_b64 v[34:35], v[4:5], off
	global_load_b64 v[18:19], v[6:7], off
	v_dual_mov_b32 v42, v2 :: v_dual_mov_b32 v43, v2
	v_dual_mov_b32 v44, v2 :: v_dual_mov_b32 v45, v2
	;; [unrolled: 1-line block ×11, first 2 shown]
.LBB134_60:                             ;   in Loop: Header=BB134_53 Depth=1
	s_wait_xcnt 0x0
	s_or_b32 exec_lo, exec_lo, s2
	v_add_nc_u64_e32 v[4:5], s[10:11], v[116:117]
	s_mov_b32 s2, exec_lo
	s_delay_alu instid0(VALU_DEP_1)
	v_cmpx_gt_i64_e64 s[4:5], v[4:5]
	s_cbranch_execz .LBB134_62
; %bb.61:                               ;   in Loop: Header=BB134_53 Depth=1
	v_add_nc_u64_e32 v[4:5], v[110:111], v[80:81]
	v_add_nc_u64_e32 v[6:7], v[112:113], v[80:81]
	global_load_b64 v[36:37], v[4:5], off
	global_load_b64 v[20:21], v[6:7], off
.LBB134_62:                             ;   in Loop: Header=BB134_53 Depth=1
	s_wait_xcnt 0x0
	s_or_b32 exec_lo, exec_lo, s2
	v_add_nc_u64_e32 v[4:5], s[20:21], v[116:117]
	s_mov_b32 s2, exec_lo
	s_delay_alu instid0(VALU_DEP_1)
	v_cmpx_gt_i64_e64 s[4:5], v[4:5]
	s_cbranch_execz .LBB134_64
; %bb.63:                               ;   in Loop: Header=BB134_53 Depth=1
	v_add_nc_u64_e32 v[4:5], v[106:107], v[80:81]
	v_add_nc_u64_e32 v[6:7], v[108:109], v[80:81]
	global_load_b64 v[38:39], v[4:5], off
	global_load_b64 v[22:23], v[6:7], off
.LBB134_64:                             ;   in Loop: Header=BB134_53 Depth=1
	s_wait_xcnt 0x0
	s_or_b32 exec_lo, exec_lo, s2
	v_add_nc_u64_e32 v[4:5], s[22:23], v[116:117]
	s_mov_b32 s2, exec_lo
	s_delay_alu instid0(VALU_DEP_1)
	v_cmpx_gt_i64_e64 s[4:5], v[4:5]
	s_cbranch_execz .LBB134_66
; %bb.65:                               ;   in Loop: Header=BB134_53 Depth=1
	v_add_nc_u64_e32 v[4:5], v[102:103], v[80:81]
	v_add_nc_u64_e32 v[6:7], v[104:105], v[80:81]
	global_load_b64 v[40:41], v[4:5], off
	global_load_b64 v[24:25], v[6:7], off
.LBB134_66:                             ;   in Loop: Header=BB134_53 Depth=1
	s_wait_xcnt 0x0
	s_or_b32 exec_lo, exec_lo, s2
	v_add_nc_u64_e32 v[4:5], s[24:25], v[116:117]
	s_mov_b32 s2, exec_lo
	s_delay_alu instid0(VALU_DEP_1)
	v_cmpx_gt_i64_e64 s[4:5], v[4:5]
	s_cbranch_execz .LBB134_68
; %bb.67:                               ;   in Loop: Header=BB134_53 Depth=1
	v_add_nc_u64_e32 v[4:5], v[98:99], v[80:81]
	v_add_nc_u64_e32 v[6:7], v[100:101], v[80:81]
	global_load_b64 v[42:43], v[4:5], off
	global_load_b64 v[26:27], v[6:7], off
.LBB134_68:                             ;   in Loop: Header=BB134_53 Depth=1
	s_wait_xcnt 0x0
	s_or_b32 exec_lo, exec_lo, s2
	v_add_nc_u64_e32 v[4:5], s[26:27], v[116:117]
	s_mov_b32 s2, exec_lo
	s_delay_alu instid0(VALU_DEP_1)
	v_cmpx_gt_i64_e64 s[4:5], v[4:5]
	s_cbranch_execz .LBB134_70
; %bb.69:                               ;   in Loop: Header=BB134_53 Depth=1
	v_add_nc_u64_e32 v[4:5], v[94:95], v[80:81]
	v_add_nc_u64_e32 v[6:7], v[96:97], v[80:81]
	global_load_b64 v[44:45], v[4:5], off
	global_load_b64 v[28:29], v[6:7], off
.LBB134_70:                             ;   in Loop: Header=BB134_53 Depth=1
	s_wait_xcnt 0x0
	s_or_b32 exec_lo, exec_lo, s2
	v_add_nc_u64_e32 v[4:5], s[28:29], v[116:117]
	s_mov_b32 s2, exec_lo
	s_delay_alu instid0(VALU_DEP_1)
	v_cmpx_gt_i64_e64 s[4:5], v[4:5]
	s_cbranch_execz .LBB134_72
; %bb.71:                               ;   in Loop: Header=BB134_53 Depth=1
	v_add_nc_u64_e32 v[4:5], v[90:91], v[80:81]
	v_add_nc_u64_e32 v[6:7], v[92:93], v[80:81]
	global_load_b64 v[46:47], v[4:5], off
	global_load_b64 v[30:31], v[6:7], off
.LBB134_72:                             ;   in Loop: Header=BB134_53 Depth=1
	s_wait_xcnt 0x0
	s_or_b32 exec_lo, exec_lo, s2
	v_add_nc_u64_e32 v[4:5], s[30:31], v[116:117]
	s_mov_b32 s2, exec_lo
	s_delay_alu instid0(VALU_DEP_1)
	v_cmpx_gt_i64_e64 s[4:5], v[4:5]
	s_cbranch_execz .LBB134_74
; %bb.73:                               ;   in Loop: Header=BB134_53 Depth=1
	v_add_nc_u64_e32 v[4:5], v[86:87], v[80:81]
	v_add_nc_u64_e32 v[6:7], v[88:89], v[80:81]
	global_load_b64 v[48:49], v[4:5], off
	global_load_b64 v[32:33], v[6:7], off
.LBB134_74:                             ;   in Loop: Header=BB134_53 Depth=1
	s_wait_xcnt 0x0
	s_or_b32 exec_lo, exec_lo, s2
	s_wait_loadcnt 0x0
	v_mul_f64_e32 v[4:5], v[18:19], v[34:35]
	ds_bpermute_b32 v6, v2, v118
	ds_bpermute_b32 v7, v2, v119
	v_mul_f64_e32 v[8:9], v[20:21], v[36:37]
	v_mul_f64_e32 v[10:11], v[22:23], v[38:39]
	s_mov_b32 s2, 0
	s_wait_dscnt 0x0
	v_fma_f64 v[4:5], v[4:5], v[6:7], v[114:115]
	ds_bpermute_b32 v6, v2, v118 offset:4
	ds_bpermute_b32 v7, v2, v119 offset:4
	s_wait_dscnt 0x0
	v_fmac_f64_e32 v[4:5], v[8:9], v[6:7]
	ds_bpermute_b32 v6, v2, v118 offset:8
	ds_bpermute_b32 v7, v2, v119 offset:8
	v_mul_f64_e32 v[8:9], v[24:25], v[40:41]
	s_wait_dscnt 0x0
	v_fmac_f64_e32 v[4:5], v[10:11], v[6:7]
	ds_bpermute_b32 v6, v2, v118 offset:12
	ds_bpermute_b32 v7, v2, v119 offset:12
	v_mul_f64_e32 v[10:11], v[26:27], v[42:43]
	;; [unrolled: 5-line block ×4, first 2 shown]
	s_wait_dscnt 0x0
	v_fmac_f64_e32 v[4:5], v[8:9], v[6:7]
	ds_bpermute_b32 v6, v2, v118 offset:24
	ds_bpermute_b32 v7, v2, v119 offset:24
	;; [unrolled: 1-line block ×4, first 2 shown]
	s_wait_dscnt 0x2
	v_fmac_f64_e32 v[4:5], v[10:11], v[6:7]
	v_mul_f64_e32 v[6:7], v[32:33], v[48:49]
	s_wait_dscnt 0x0
	s_delay_alu instid0(VALU_DEP_1)
	v_fmac_f64_e32 v[4:5], v[6:7], v[8:9]
.LBB134_75:                             ;   in Loop: Header=BB134_53 Depth=1
	s_and_b32 vcc_lo, exec_lo, s2
	s_cbranch_vccz .LBB134_81
; %bb.76:                               ;   in Loop: Header=BB134_53 Depth=1
	s_load_b32 s2, s[34:35], 0x0
	v_mov_b64_e32 v[4:5], 0
	s_wait_kmcnt 0x0
	s_cmp_lt_u32 s12, s2
	s_cselect_b32 s2, 12, 18
	s_delay_alu instid0(SALU_CYCLE_1) | instskip(SKIP_4) | instid1(VALU_DEP_1)
	s_add_nc_u64 s[40:41], s[34:35], s[2:3]
	s_load_u16 s2, s[40:41], 0x0
	s_wait_kmcnt 0x0
	v_mad_u32_u24 v3, v1, s2, v120
	s_mov_b32 s2, exec_lo
	v_and_b32_e32 v6, 31, v3
	s_delay_alu instid0(VALU_DEP_1)
	v_cmpx_gt_u32_e32 8, v6
	s_cbranch_execz .LBB134_80
; %bb.77:                               ;   in Loop: Header=BB134_53 Depth=1
	v_mov_b32_e32 v7, v2
	s_mov_b32 s13, exec_lo
	s_delay_alu instid0(VALU_DEP_1) | instskip(NEXT) | instid1(VALU_DEP_1)
	v_add_nc_u64_e32 v[4:5], v[116:117], v[6:7]
	v_add_nc_u64_e32 v[6:7], s[8:9], v[4:5]
	v_mov_b64_e32 v[4:5], 0
	s_delay_alu instid0(VALU_DEP_2)
	v_cmpx_gt_i64_e64 s[4:5], v[6:7]
	s_cbranch_execz .LBB134_79
; %bb.78:                               ;   in Loop: Header=BB134_53 Depth=1
	v_lshl_add_u64 v[4:5], v[6:7], 3, s[14:15]
	global_load_b64 v[4:5], v[4:5], off
.LBB134_79:                             ;   in Loop: Header=BB134_53 Depth=1
	s_wait_xcnt 0x0
	s_or_b32 exec_lo, exec_lo, s13
.LBB134_80:                             ;   in Loop: Header=BB134_53 Depth=1
	s_delay_alu instid0(SALU_CYCLE_1)
	s_or_b32 exec_lo, exec_lo, s2
	v_add_nc_u64_e32 v[6:7], v[82:83], v[80:81]
	v_add_nc_u64_e32 v[8:9], v[84:85], v[80:81]
	global_load_b64 v[10:11], v[6:7], off
	global_load_b64 v[12:13], v[8:9], off
	s_wait_xcnt 0x1
	v_add_nc_u64_e32 v[6:7], v[52:53], v[80:81]
	s_wait_xcnt 0x0
	v_add_nc_u64_e32 v[8:9], v[62:63], v[80:81]
	global_load_b64 v[14:15], v[6:7], off
	global_load_b64 v[16:17], v[8:9], off
	s_wait_xcnt 0x1
	v_add_nc_u64_e32 v[6:7], v[54:55], v[80:81]
	s_wait_xcnt 0x0
	;; [unrolled: 6-line block ×7, first 2 shown]
	v_add_nc_u64_e32 v[8:9], v[78:79], v[80:81]
	global_load_b64 v[38:39], v[6:7], off
	global_load_b64 v[40:41], v[8:9], off
	s_wait_loadcnt 0x10
	s_wait_xcnt 0x0
	ds_bpermute_b32 v8, v2, v4
	ds_bpermute_b32 v9, v2, v5
	s_wait_loadcnt 0xe
	v_mul_f64_e32 v[6:7], v[10:11], v[12:13]
	s_wait_loadcnt 0xc
	v_mul_f64_e32 v[10:11], v[14:15], v[16:17]
	s_wait_dscnt 0x0
	s_delay_alu instid0(VALU_DEP_2)
	v_fmac_f64_e32 v[114:115], v[6:7], v[8:9]
	ds_bpermute_b32 v6, v2, v4 offset:4
	ds_bpermute_b32 v7, v2, v5 offset:4
	s_wait_loadcnt 0xa
	v_mul_f64_e32 v[8:9], v[18:19], v[20:21]
	s_wait_dscnt 0x0
	v_fmac_f64_e32 v[114:115], v[10:11], v[6:7]
	ds_bpermute_b32 v6, v2, v4 offset:8
	ds_bpermute_b32 v7, v2, v5 offset:8
	s_wait_loadcnt 0x8
	v_mul_f64_e32 v[10:11], v[22:23], v[24:25]
	s_wait_dscnt 0x0
	v_fmac_f64_e32 v[114:115], v[8:9], v[6:7]
	ds_bpermute_b32 v6, v2, v4 offset:12
	ds_bpermute_b32 v7, v2, v5 offset:12
	s_wait_loadcnt 0x6
	v_mul_f64_e32 v[8:9], v[26:27], v[28:29]
	s_wait_dscnt 0x0
	v_fmac_f64_e32 v[114:115], v[10:11], v[6:7]
	ds_bpermute_b32 v6, v2, v4 offset:16
	ds_bpermute_b32 v7, v2, v5 offset:16
	s_wait_loadcnt 0x4
	v_mul_f64_e32 v[10:11], v[30:31], v[32:33]
	s_wait_dscnt 0x0
	v_fmac_f64_e32 v[114:115], v[8:9], v[6:7]
	ds_bpermute_b32 v6, v2, v4 offset:20
	ds_bpermute_b32 v7, v2, v5 offset:20
	s_wait_loadcnt 0x2
	v_mul_f64_e32 v[8:9], v[34:35], v[36:37]
	s_wait_dscnt 0x0
	v_fmac_f64_e32 v[114:115], v[10:11], v[6:7]
	ds_bpermute_b32 v6, v2, v4 offset:24
	ds_bpermute_b32 v7, v2, v5 offset:24
	;; [unrolled: 1-line block ×4, first 2 shown]
	s_wait_dscnt 0x2
	v_fmac_f64_e32 v[114:115], v[8:9], v[6:7]
	s_wait_loadcnt 0x0
	v_mul_f64_e32 v[6:7], v[38:39], v[40:41]
	s_wait_dscnt 0x0
	s_delay_alu instid0(VALU_DEP_1) | instskip(NEXT) | instid1(VALU_DEP_1)
	v_fmac_f64_e32 v[114:115], v[6:7], v[4:5]
	v_mov_b64_e32 v[4:5], v[114:115]
.LBB134_81:                             ;   in Loop: Header=BB134_53 Depth=1
	s_add_nc_u64 s[16:17], s[16:17], s[18:19]
	v_add_nc_u64_e32 v[82:83], s[36:37], v[82:83]
	v_cmp_ge_i64_e64 s2, s[16:17], s[4:5]
	v_add_nc_u64_e32 v[84:85], s[36:37], v[84:85]
	v_add_nc_u64_e32 v[52:53], s[36:37], v[52:53]
	;; [unrolled: 1-line block ×29, first 2 shown]
	s_and_b32 vcc_lo, exec_lo, s2
	s_add_nc_u64 s[38:39], s[38:39], s[18:19]
	s_cbranch_vccnz .LBB134_83
; %bb.82:                               ;   in Loop: Header=BB134_53 Depth=1
	v_mov_b64_e32 v[114:115], v[4:5]
	s_branch .LBB134_53
.LBB134_83:
	v_and_b32_e32 v1, 0x3ff, v0
	v_bfe_u32 v6, v0, 10, 10
	v_bfe_u32 v0, v0, 5, 5
	v_mov_b64_e32 v[2:3], 0
	s_mov_b32 s2, exec_lo
	s_delay_alu instid0(VALU_DEP_3) | instskip(NEXT) | instid1(VALU_DEP_3)
	v_mad_u32_u24 v7, v6, 33, v1
	v_add_nc_u32_e32 v0, v0, v6
	s_delay_alu instid0(VALU_DEP_2)
	v_lshl_add_u32 v6, v7, 3, 0
	ds_store_b64 v6, v[4:5]
	ds_store_b64 v6, v[2:3] offset:2112
	s_wait_dscnt 0x0
	s_barrier_signal -1
	s_barrier_wait -1
	v_cmpx_gt_u32_e32 32, v0
	s_cbranch_execz .LBB134_103
; %bb.84:
	s_load_b64 s[2:3], s[0:1], 0x30
	v_and_b32_e32 v2, 31, v1
	s_delay_alu instid0(VALU_DEP_1)
	v_cmp_gt_u32_e32 vcc_lo, 8, v2
	v_mul_u32_u24_e32 v6, 33, v2
                                        ; implicit-def: $vgpr2_vgpr3
	s_wait_xcnt 0x0
	s_and_saveexec_b32 s0, vcc_lo
; %bb.85:
	s_delay_alu instid0(VALU_DEP_1) | instskip(NEXT) | instid1(VALU_DEP_1)
	v_dual_lshlrev_b32 v2, 3, v0 :: v_dual_lshlrev_b32 v3, 3, v6
	v_add3_u32 v2, 0, v2, v3
	ds_load_b64 v[2:3], v2
; %bb.86:
	s_or_b32 exec_lo, exec_lo, s0
	v_mbcnt_lo_u32_b32 v9, -1, 0
	s_mov_b32 s13, 0
	s_delay_alu instid0(SALU_CYCLE_1) | instskip(SKIP_4) | instid1(VALU_DEP_1)
	s_lshl_b64 s[4:5], s[12:13], 5
	s_wait_kmcnt 0x0
	s_cmp_eq_u64 s[2:3], 0
	v_xor_b32_e32 v4, 4, v9
	s_cselect_b32 s8, -1, 0
	v_cmp_gt_i32_e64 s0, 32, v4
	s_delay_alu instid0(VALU_DEP_1) | instskip(NEXT) | instid1(VALU_DEP_1)
	v_cndmask_b32_e64 v4, v9, v4, s0
	v_lshlrev_b32_e32 v7, 2, v4
	s_wait_dscnt 0x0
	ds_bpermute_b32 v4, v7, v2
	ds_bpermute_b32 v5, v7, v3
	s_wait_dscnt 0x0
	v_add_f64_e32 v[2:3], v[2:3], v[4:5]
	v_xor_b32_e32 v4, 2, v9
	s_delay_alu instid0(VALU_DEP_1) | instskip(NEXT) | instid1(VALU_DEP_1)
	v_cmp_gt_i32_e64 s0, 32, v4
	v_cndmask_b32_e64 v4, v9, v4, s0
	s_delay_alu instid0(VALU_DEP_1)
	v_lshlrev_b32_e32 v8, 2, v4
	ds_bpermute_b32 v4, v8, v2
	ds_bpermute_b32 v5, v8, v3
	s_wait_dscnt 0x0
	v_add_f64_e32 v[2:3], v[2:3], v[4:5]
	v_xor_b32_e32 v4, 1, v9
	s_delay_alu instid0(VALU_DEP_1) | instskip(NEXT) | instid1(VALU_DEP_1)
	v_cmp_gt_i32_e64 s0, 32, v4
	v_cndmask_b32_e64 v4, v9, v4, s0
	v_cmp_ne_u32_e64 s0, 0, v1
	s_delay_alu instid0(VALU_DEP_2)
	v_lshlrev_b32_e32 v9, 2, v4
	ds_bpermute_b32 v4, v9, v2
	ds_bpermute_b32 v5, v9, v3
	s_wait_dscnt 0x0
	v_add_f64_e32 v[2:3], v[2:3], v[4:5]
	v_dual_mov_b32 v5, s5 :: v_dual_bitop2_b32 v4, s4, v0 bitop3:0x54
	s_delay_alu instid0(VALU_DEP_1) | instskip(SKIP_1) | instid1(SALU_CYCLE_1)
	v_cmp_le_i64_e64 s1, s[6:7], v[4:5]
	s_or_b32 s1, s0, s1
	s_nor_b32 s9, s8, s1
	s_delay_alu instid0(SALU_CYCLE_1)
	s_and_saveexec_b32 s1, s9
	s_cbranch_execz .LBB134_88
; %bb.87:
	v_lshl_add_u64 v[4:5], v[4:5], 3, s[2:3]
	global_store_b64 v[4:5], v[2:3], off
.LBB134_88:
	s_wait_xcnt 0x0
	s_or_b32 exec_lo, exec_lo, s1
	v_cmp_gt_u32_e64 s1, 24, v0
	s_and_b32 exec_lo, exec_lo, s1
	s_cbranch_execz .LBB134_103
; %bb.89:
	v_mov_b32_e32 v1, 0
	s_and_saveexec_b32 s1, vcc_lo
; %bb.90:
	v_dual_lshlrev_b32 v2, 3, v0 :: v_dual_lshlrev_b32 v3, 3, v6
	s_delay_alu instid0(VALU_DEP_1)
	v_add3_u32 v2, 0, v2, v3
	ds_load_b64 v[2:3], v2 offset:64
; %bb.91:
	s_or_b32 exec_lo, exec_lo, s1
	s_wait_dscnt 0x0
	ds_bpermute_b32 v4, v7, v2
	ds_bpermute_b32 v5, v7, v3
	s_wait_dscnt 0x0
	v_add_f64_e32 v[2:3], v[2:3], v[4:5]
	ds_bpermute_b32 v4, v8, v2
	ds_bpermute_b32 v5, v8, v3
	s_wait_dscnt 0x0
	v_add_f64_e32 v[2:3], v[2:3], v[4:5]
	;; [unrolled: 4-line block ×3, first 2 shown]
	v_dual_mov_b32 v5, v1 :: v_dual_add_nc_u32 v4, 8, v0
	s_delay_alu instid0(VALU_DEP_1) | instskip(NEXT) | instid1(VALU_DEP_1)
	v_add_nc_u64_e32 v[4:5], s[4:5], v[4:5]
	v_cmp_le_i64_e64 s1, s[6:7], v[4:5]
	s_or_b32 s1, s0, s1
	s_delay_alu instid0(SALU_CYCLE_1) | instskip(NEXT) | instid1(SALU_CYCLE_1)
	s_nor_b32 s9, s8, s1
	s_and_saveexec_b32 s1, s9
	s_cbranch_execz .LBB134_93
; %bb.92:
	v_add_nc_u64_e32 v[4:5], s[4:5], v[0:1]
	s_delay_alu instid0(VALU_DEP_1)
	v_lshl_add_u64 v[4:5], v[4:5], 3, s[2:3]
	global_store_b64 v[4:5], v[2:3], off offset:64
.LBB134_93:
	s_wait_xcnt 0x0
	s_or_b32 exec_lo, exec_lo, s1
	v_cmp_gt_u32_e64 s1, 16, v0
	s_and_b32 exec_lo, exec_lo, s1
	s_cbranch_execz .LBB134_103
; %bb.94:
	s_and_saveexec_b32 s1, vcc_lo
; %bb.95:
	v_dual_lshlrev_b32 v2, 3, v0 :: v_dual_lshlrev_b32 v3, 3, v6
	s_delay_alu instid0(VALU_DEP_1)
	v_add3_u32 v2, 0, v2, v3
	ds_load_b64 v[2:3], v2 offset:128
; %bb.96:
	s_or_b32 exec_lo, exec_lo, s1
	s_wait_dscnt 0x0
	ds_bpermute_b32 v4, v7, v2
	ds_bpermute_b32 v5, v7, v3
	s_wait_dscnt 0x0
	v_add_f64_e32 v[2:3], v[2:3], v[4:5]
	ds_bpermute_b32 v4, v8, v2
	ds_bpermute_b32 v5, v8, v3
	s_wait_dscnt 0x0
	v_add_f64_e32 v[2:3], v[2:3], v[4:5]
	;; [unrolled: 4-line block ×3, first 2 shown]
	v_dual_mov_b32 v5, s5 :: v_dual_add_nc_u32 v4, 16, v0
	s_delay_alu instid0(VALU_DEP_1) | instskip(NEXT) | instid1(VALU_DEP_1)
	v_or_b32_e32 v4, s4, v4
	v_cmp_le_i64_e64 s1, s[6:7], v[4:5]
	s_or_b32 s1, s0, s1
	s_delay_alu instid0(SALU_CYCLE_1) | instskip(NEXT) | instid1(SALU_CYCLE_1)
	s_nor_b32 s9, s8, s1
	s_and_saveexec_b32 s1, s9
	s_cbranch_execz .LBB134_98
; %bb.97:
	v_add_nc_u64_e32 v[4:5], s[4:5], v[0:1]
	s_delay_alu instid0(VALU_DEP_1)
	v_lshl_add_u64 v[4:5], v[4:5], 3, s[2:3]
	global_store_b64 v[4:5], v[2:3], off offset:128
.LBB134_98:
	s_wait_xcnt 0x0
	s_or_b32 exec_lo, exec_lo, s1
	v_cmp_gt_u32_e64 s1, 8, v0
	s_and_b32 exec_lo, exec_lo, s1
	s_cbranch_execz .LBB134_103
; %bb.99:
	s_and_saveexec_b32 s1, vcc_lo
; %bb.100:
	v_dual_lshlrev_b32 v2, 3, v0 :: v_dual_lshlrev_b32 v3, 3, v6
	s_delay_alu instid0(VALU_DEP_1)
	v_add3_u32 v2, 0, v2, v3
	ds_load_b64 v[2:3], v2 offset:192
; %bb.101:
	s_or_b32 exec_lo, exec_lo, s1
	s_wait_dscnt 0x0
	ds_bpermute_b32 v4, v7, v2
	ds_bpermute_b32 v5, v7, v3
	v_dual_mov_b32 v7, s5 :: v_dual_add_nc_u32 v6, 24, v0
	s_delay_alu instid0(VALU_DEP_1) | instskip(NEXT) | instid1(VALU_DEP_1)
	v_or_b32_e32 v6, s4, v6
	v_cmp_le_i64_e32 vcc_lo, s[6:7], v[6:7]
	s_or_b32 s0, s0, vcc_lo
	s_wait_dscnt 0x0
	v_add_f64_e32 v[2:3], v[2:3], v[4:5]
	s_nor_b32 s0, s8, s0
	ds_bpermute_b32 v4, v8, v2
	ds_bpermute_b32 v5, v8, v3
	s_wait_dscnt 0x0
	v_add_f64_e32 v[2:3], v[2:3], v[4:5]
	ds_bpermute_b32 v4, v9, v2
	ds_bpermute_b32 v5, v9, v3
	s_and_saveexec_b32 s1, s0
	s_delay_alu instid0(SALU_CYCLE_1)
	s_xor_b32 s1, exec_lo, s1
	s_cbranch_execz .LBB134_103
; %bb.102:
	s_wait_dscnt 0x0
	v_add_f64_e32 v[2:3], v[2:3], v[4:5]
	v_add_nc_u64_e32 v[0:1], s[4:5], v[0:1]
	s_delay_alu instid0(VALU_DEP_1)
	v_lshl_add_u64 v[0:1], v[0:1], 3, s[2:3]
	global_store_b64 v[0:1], v[2:3], off offset:192
.LBB134_103:
	s_sendmsg sendmsg(MSG_DEALLOC_VGPRS)
	s_endpgm
	.section	.rodata,"a",@progbits
	.p2align	6, 0x0
	.amdhsa_kernel _ZN2at6native12_GLOBAL__N_135GammaBetaBackwardCUDAKernelTemplateIddLj32ELj8ELj64ELb0ELb0ELb1EEEvllPKT_S5_PKT0_S8_PS3_S9_
		.amdhsa_group_segment_fixed_size 0
		.amdhsa_private_segment_fixed_size 0
		.amdhsa_kernarg_size 320
		.amdhsa_user_sgpr_count 2
		.amdhsa_user_sgpr_dispatch_ptr 0
		.amdhsa_user_sgpr_queue_ptr 0
		.amdhsa_user_sgpr_kernarg_segment_ptr 1
		.amdhsa_user_sgpr_dispatch_id 0
		.amdhsa_user_sgpr_kernarg_preload_length 0
		.amdhsa_user_sgpr_kernarg_preload_offset 0
		.amdhsa_user_sgpr_private_segment_size 0
		.amdhsa_wavefront_size32 1
		.amdhsa_uses_dynamic_stack 0
		.amdhsa_enable_private_segment 0
		.amdhsa_system_sgpr_workgroup_id_x 1
		.amdhsa_system_sgpr_workgroup_id_y 1
		.amdhsa_system_sgpr_workgroup_id_z 0
		.amdhsa_system_sgpr_workgroup_info 0
		.amdhsa_system_vgpr_workitem_id 1
		.amdhsa_next_free_vgpr 121
		.amdhsa_next_free_sgpr 50
		.amdhsa_named_barrier_count 0
		.amdhsa_reserve_vcc 1
		.amdhsa_float_round_mode_32 0
		.amdhsa_float_round_mode_16_64 0
		.amdhsa_float_denorm_mode_32 3
		.amdhsa_float_denorm_mode_16_64 3
		.amdhsa_fp16_overflow 0
		.amdhsa_memory_ordered 1
		.amdhsa_forward_progress 1
		.amdhsa_inst_pref_size 53
		.amdhsa_round_robin_scheduling 0
		.amdhsa_exception_fp_ieee_invalid_op 0
		.amdhsa_exception_fp_denorm_src 0
		.amdhsa_exception_fp_ieee_div_zero 0
		.amdhsa_exception_fp_ieee_overflow 0
		.amdhsa_exception_fp_ieee_underflow 0
		.amdhsa_exception_fp_ieee_inexact 0
		.amdhsa_exception_int_div_zero 0
	.end_amdhsa_kernel
	.section	.text._ZN2at6native12_GLOBAL__N_135GammaBetaBackwardCUDAKernelTemplateIddLj32ELj8ELj64ELb0ELb0ELb1EEEvllPKT_S5_PKT0_S8_PS3_S9_,"axG",@progbits,_ZN2at6native12_GLOBAL__N_135GammaBetaBackwardCUDAKernelTemplateIddLj32ELj8ELj64ELb0ELb0ELb1EEEvllPKT_S5_PKT0_S8_PS3_S9_,comdat
.Lfunc_end134:
	.size	_ZN2at6native12_GLOBAL__N_135GammaBetaBackwardCUDAKernelTemplateIddLj32ELj8ELj64ELb0ELb0ELb1EEEvllPKT_S5_PKT0_S8_PS3_S9_, .Lfunc_end134-_ZN2at6native12_GLOBAL__N_135GammaBetaBackwardCUDAKernelTemplateIddLj32ELj8ELj64ELb0ELb0ELb1EEEvllPKT_S5_PKT0_S8_PS3_S9_
                                        ; -- End function
	.set _ZN2at6native12_GLOBAL__N_135GammaBetaBackwardCUDAKernelTemplateIddLj32ELj8ELj64ELb0ELb0ELb1EEEvllPKT_S5_PKT0_S8_PS3_S9_.num_vgpr, 121
	.set _ZN2at6native12_GLOBAL__N_135GammaBetaBackwardCUDAKernelTemplateIddLj32ELj8ELj64ELb0ELb0ELb1EEEvllPKT_S5_PKT0_S8_PS3_S9_.num_agpr, 0
	.set _ZN2at6native12_GLOBAL__N_135GammaBetaBackwardCUDAKernelTemplateIddLj32ELj8ELj64ELb0ELb0ELb1EEEvllPKT_S5_PKT0_S8_PS3_S9_.numbered_sgpr, 50
	.set _ZN2at6native12_GLOBAL__N_135GammaBetaBackwardCUDAKernelTemplateIddLj32ELj8ELj64ELb0ELb0ELb1EEEvllPKT_S5_PKT0_S8_PS3_S9_.num_named_barrier, 0
	.set _ZN2at6native12_GLOBAL__N_135GammaBetaBackwardCUDAKernelTemplateIddLj32ELj8ELj64ELb0ELb0ELb1EEEvllPKT_S5_PKT0_S8_PS3_S9_.private_seg_size, 0
	.set _ZN2at6native12_GLOBAL__N_135GammaBetaBackwardCUDAKernelTemplateIddLj32ELj8ELj64ELb0ELb0ELb1EEEvllPKT_S5_PKT0_S8_PS3_S9_.uses_vcc, 1
	.set _ZN2at6native12_GLOBAL__N_135GammaBetaBackwardCUDAKernelTemplateIddLj32ELj8ELj64ELb0ELb0ELb1EEEvllPKT_S5_PKT0_S8_PS3_S9_.uses_flat_scratch, 0
	.set _ZN2at6native12_GLOBAL__N_135GammaBetaBackwardCUDAKernelTemplateIddLj32ELj8ELj64ELb0ELb0ELb1EEEvllPKT_S5_PKT0_S8_PS3_S9_.has_dyn_sized_stack, 0
	.set _ZN2at6native12_GLOBAL__N_135GammaBetaBackwardCUDAKernelTemplateIddLj32ELj8ELj64ELb0ELb0ELb1EEEvllPKT_S5_PKT0_S8_PS3_S9_.has_recursion, 0
	.set _ZN2at6native12_GLOBAL__N_135GammaBetaBackwardCUDAKernelTemplateIddLj32ELj8ELj64ELb0ELb0ELb1EEEvllPKT_S5_PKT0_S8_PS3_S9_.has_indirect_call, 0
	.section	.AMDGPU.csdata,"",@progbits
; Kernel info:
; codeLenInByte = 6660
; TotalNumSgprs: 52
; NumVgprs: 121
; ScratchSize: 0
; MemoryBound: 1
; FloatMode: 240
; IeeeMode: 1
; LDSByteSize: 0 bytes/workgroup (compile time only)
; SGPRBlocks: 0
; VGPRBlocks: 7
; NumSGPRsForWavesPerEU: 52
; NumVGPRsForWavesPerEU: 121
; NamedBarCnt: 0
; Occupancy: 8
; WaveLimiterHint : 0
; COMPUTE_PGM_RSRC2:SCRATCH_EN: 0
; COMPUTE_PGM_RSRC2:USER_SGPR: 2
; COMPUTE_PGM_RSRC2:TRAP_HANDLER: 0
; COMPUTE_PGM_RSRC2:TGID_X_EN: 1
; COMPUTE_PGM_RSRC2:TGID_Y_EN: 1
; COMPUTE_PGM_RSRC2:TGID_Z_EN: 0
; COMPUTE_PGM_RSRC2:TIDIG_COMP_CNT: 1
	.section	.text._ZN2at6native12_GLOBAL__N_135GammaBetaBackwardCUDAKernelTemplateIddLj32ELj16ELj128ELb0ELb1ELb1EEEvllPKT_S5_PKT0_S8_PS3_S9_,"axG",@progbits,_ZN2at6native12_GLOBAL__N_135GammaBetaBackwardCUDAKernelTemplateIddLj32ELj16ELj128ELb0ELb1ELb1EEEvllPKT_S5_PKT0_S8_PS3_S9_,comdat
	.globl	_ZN2at6native12_GLOBAL__N_135GammaBetaBackwardCUDAKernelTemplateIddLj32ELj16ELj128ELb0ELb1ELb1EEEvllPKT_S5_PKT0_S8_PS3_S9_ ; -- Begin function _ZN2at6native12_GLOBAL__N_135GammaBetaBackwardCUDAKernelTemplateIddLj32ELj16ELj128ELb0ELb1ELb1EEEvllPKT_S5_PKT0_S8_PS3_S9_
	.p2align	8
	.type	_ZN2at6native12_GLOBAL__N_135GammaBetaBackwardCUDAKernelTemplateIddLj32ELj16ELj128ELb0ELb1ELb1EEEvllPKT_S5_PKT0_S8_PS3_S9_,@function
_ZN2at6native12_GLOBAL__N_135GammaBetaBackwardCUDAKernelTemplateIddLj32ELj16ELj128ELb0ELb1ELb1EEEvllPKT_S5_PKT0_S8_PS3_S9_: ; @_ZN2at6native12_GLOBAL__N_135GammaBetaBackwardCUDAKernelTemplateIddLj32ELj16ELj128ELb0ELb1ELb1EEEvllPKT_S5_PKT0_S8_PS3_S9_
; %bb.0:
	s_load_b128 s[4:7], s[0:1], 0x0
	s_bfe_u32 s2, ttmp6, 0x40010
	s_bfe_u32 s3, ttmp6, 0x40004
	s_add_co_i32 s2, s2, 1
	s_getreg_b32 s20, hwreg(HW_REG_IB_STS2, 6, 4)
	s_mul_i32 s2, ttmp7, s2
	s_mov_b32 s13, 0
	s_add_co_i32 s3, s3, s2
	s_cmp_eq_u32 s20, 0
	v_bfe_u32 v13, v0, 10, 10
	s_cselect_b32 s2, ttmp7, s3
	s_delay_alu instid0(SALU_CYCLE_1)
	s_lshl_b32 s12, s2, 7
	s_wait_kmcnt 0x0
	v_cmp_gt_i64_e64 s2, s[4:5], s[12:13]
	s_and_b32 vcc_lo, exec_lo, s2
	s_cbranch_vccnz .LBB135_2
; %bb.1:
	v_bfe_u32 v1, v0, 10, 10
	s_mov_b32 s2, s13
	v_mov_b64_e32 v[2:3], 0
	v_and_b32_e32 v12, 0x3ff, v0
	s_and_not1_b32 vcc_lo, exec_lo, s2
	s_cbranch_vccz .LBB135_3
	s_branch .LBB135_10
.LBB135_2:
                                        ; implicit-def: $vgpr1
	v_mov_b64_e32 v[2:3], 0
	v_and_b32_e32 v12, 0x3ff, v0
.LBB135_3:
	v_dual_mov_b32 v1, 0 :: v_dual_lshlrev_b32 v0, 3, v13
	s_load_b32 s2, s[0:1], 0x4c
	s_bfe_u32 s14, ttmp6, 0x4000c
	s_clause 0x2
	s_load_b32 s3, s[0:1], 0x44
	s_load_b128 s[8:11], s[0:1], 0x10
	s_load_b64 s[16:17], s[0:1], 0x28
	s_add_co_i32 s14, s14, 1
	v_add_nc_u64_e32 v[2:3], s[12:13], v[0:1]
	s_and_b32 s18, ttmp6, 15
	s_mul_i32 s14, ttmp9, s14
	v_dual_mov_b32 v7, v1 :: v_dual_mov_b32 v11, v1
	s_add_co_i32 s18, s18, s14
	s_mov_b32 s15, 0
	s_delay_alu instid0(VALU_DEP_2)
	v_mul_u64_e32 v[8:9], s[6:7], v[2:3]
	v_dual_mov_b32 v0, 8 :: v_dual_mov_b32 v14, 4
	v_dual_mov_b32 v16, 16 :: v_dual_mov_b32 v17, 20
	;; [unrolled: 1-line block ×3, first 2 shown]
	v_mov_b32_e32 v15, 12
	s_wait_kmcnt 0x0
	s_and_b32 s2, s2, 0xffff
	s_cmp_eq_u32 s20, 0
	v_mad_u32_u24 v4, v13, s2, v12
	s_cselect_b32 s2, ttmp9, s18
	s_lshl_b32 s14, s3, 7
	v_lshl_add_u32 v10, s2, 5, v12
	s_mul_u64 s[18:19], s[6:7], s[14:15]
	v_and_b32_e32 v6, 31, v4
	s_lshl_b64 s[18:19], s[18:19], 3
	s_lshl_b64 s[6:7], s[6:7], 3
	v_lshlrev_b64_e32 v[10:11], 3, v[10:11]
	s_delay_alu instid0(VALU_DEP_2) | instskip(SKIP_2) | instid1(VALU_DEP_3)
	v_add_nc_u64_e32 v[4:5], v[2:3], v[6:7]
	v_mov_b64_e32 v[2:3], 0
	v_cmp_gt_u32_e64 s2, 8, v6
	v_lshl_add_u64 v[6:7], v[4:5], 3, s[16:17]
	s_lshl_b64 s[16:17], s[14:15], 3
	v_lshl_add_u64 v[8:9], v[8:9], 3, v[10:11]
	s_branch .LBB135_6
.LBB135_4:                              ;   in Loop: Header=BB135_6 Depth=1
	s_wait_xcnt 0x0
	s_or_b32 exec_lo, exec_lo, s21
.LBB135_5:                              ;   in Loop: Header=BB135_6 Depth=1
	s_delay_alu instid0(SALU_CYCLE_1)
	s_or_b32 exec_lo, exec_lo, s3
	v_add_nc_u64_e32 v[20:21], s[8:9], v[8:9]
	v_add_nc_u64_e32 v[22:23], s[10:11], v[8:9]
	s_add_nc_u64 s[12:13], s[12:13], s[14:15]
	v_add_nc_u64_e32 v[6:7], s[16:17], v[6:7]
	v_cmp_lt_i64_e64 s3, s[12:13], s[4:5]
	v_add_nc_u64_e32 v[4:5], s[14:15], v[4:5]
	v_add_nc_u64_e32 v[8:9], s[18:19], v[8:9]
	global_load_b64 v[24:25], v[20:21], off
	global_load_b64 v[26:27], v[22:23], off
	s_wait_xcnt 0x1
	v_add_nc_u64_e32 v[20:21], s[6:7], v[20:21]
	s_wait_xcnt 0x0
	v_add_nc_u64_e32 v[22:23], s[6:7], v[22:23]
	global_load_b64 v[28:29], v[20:21], off
	global_load_b64 v[30:31], v[22:23], off
	s_wait_xcnt 0x1
	v_add_nc_u64_e32 v[20:21], s[6:7], v[20:21]
	s_wait_xcnt 0x0
	v_add_nc_u64_e32 v[22:23], s[6:7], v[22:23]
	s_and_b32 vcc_lo, exec_lo, s3
	global_load_b64 v[32:33], v[20:21], off
	global_load_b64 v[34:35], v[22:23], off
	s_wait_xcnt 0x1
	v_add_nc_u64_e32 v[20:21], s[6:7], v[20:21]
	s_wait_xcnt 0x0
	v_add_nc_u64_e32 v[22:23], s[6:7], v[22:23]
	global_load_b64 v[36:37], v[20:21], off
	global_load_b64 v[38:39], v[22:23], off
	s_wait_xcnt 0x1
	v_add_nc_u64_e32 v[20:21], s[6:7], v[20:21]
	s_wait_xcnt 0x0
	v_add_nc_u64_e32 v[22:23], s[6:7], v[22:23]
	;; [unrolled: 6-line block ×5, first 2 shown]
	global_load_b64 v[52:53], v[20:21], off
	global_load_b64 v[54:55], v[22:23], off
	s_wait_loadcnt 0x10
	s_wait_xcnt 0x0
	ds_bpermute_b32 v22, v1, v10
	ds_bpermute_b32 v23, v1, v11
	s_wait_loadcnt 0xe
	v_mul_f64_e32 v[20:21], v[24:25], v[26:27]
	s_wait_loadcnt 0xc
	v_mul_f64_e32 v[24:25], v[28:29], v[30:31]
	s_wait_dscnt 0x0
	s_delay_alu instid0(VALU_DEP_2)
	v_fmac_f64_e32 v[2:3], v[20:21], v[22:23]
	ds_bpermute_b32 v20, v14, v10
	ds_bpermute_b32 v21, v14, v11
	s_wait_loadcnt 0xa
	v_mul_f64_e32 v[22:23], v[32:33], v[34:35]
	s_wait_dscnt 0x0
	v_fmac_f64_e32 v[2:3], v[24:25], v[20:21]
	ds_bpermute_b32 v20, v0, v10
	ds_bpermute_b32 v21, v0, v11
	s_wait_loadcnt 0x8
	v_mul_f64_e32 v[24:25], v[36:37], v[38:39]
	s_wait_dscnt 0x0
	;; [unrolled: 6-line block ×5, first 2 shown]
	v_fmac_f64_e32 v[2:3], v[24:25], v[20:21]
	ds_bpermute_b32 v20, v18, v10
	ds_bpermute_b32 v21, v18, v11
	;; [unrolled: 1-line block ×4, first 2 shown]
	s_wait_dscnt 0x2
	v_fmac_f64_e32 v[2:3], v[22:23], v[20:21]
	s_wait_loadcnt 0x0
	v_mul_f64_e32 v[20:21], v[52:53], v[54:55]
	s_wait_dscnt 0x0
	s_delay_alu instid0(VALU_DEP_1)
	v_fmac_f64_e32 v[2:3], v[20:21], v[10:11]
	s_cbranch_vccz .LBB135_9
.LBB135_6:                              ; =>This Inner Loop Header: Depth=1
	v_mov_b64_e32 v[10:11], 0
	s_and_saveexec_b32 s3, s2
	s_cbranch_execz .LBB135_5
; %bb.7:                                ;   in Loop: Header=BB135_6 Depth=1
	v_mov_b64_e32 v[10:11], 0
	s_mov_b32 s21, exec_lo
	v_cmpx_gt_i64_e64 s[4:5], v[4:5]
	s_cbranch_execz .LBB135_4
; %bb.8:                                ;   in Loop: Header=BB135_6 Depth=1
	global_load_b64 v[10:11], v[6:7], off
	s_branch .LBB135_4
.LBB135_9:
	v_mov_b32_e32 v1, v13
.LBB135_10:
	s_load_b64 s[2:3], s[0:1], 0x30
	s_delay_alu instid0(VALU_DEP_1)
	v_mad_u32_u24 v0, v1, 33, v12
	v_lshrrev_b32_e32 v4, 5, v12
	v_mov_b64_e32 v[6:7], 0
	s_wait_xcnt 0x0
	s_mov_b32 s0, exec_lo
	v_lshl_add_u32 v0, v0, 3, 0
	v_add_nc_u32_e32 v4, v4, v1
	ds_store_b64 v0, v[2:3]
	ds_store_b64 v0, v[6:7] offset:4224
	s_wait_dscnt 0x0
	s_barrier_signal -1
	s_barrier_wait -1
	v_cmpx_gt_u32_e32 32, v4
	s_cbranch_execz .LBB135_20
; %bb.11:
	v_and_b32_e32 v0, 31, v12
	s_delay_alu instid0(VALU_DEP_1)
	v_cmp_gt_u32_e32 vcc_lo, 16, v0
	v_mul_u32_u24_e32 v2, 33, v0
                                        ; implicit-def: $vgpr0_vgpr1
	s_and_saveexec_b32 s0, vcc_lo
; %bb.12:
	s_delay_alu instid0(VALU_DEP_1) | instskip(NEXT) | instid1(VALU_DEP_1)
	v_dual_lshlrev_b32 v0, 3, v4 :: v_dual_lshlrev_b32 v1, 3, v2
	v_add3_u32 v0, 0, v0, v1
	ds_load_b64 v[0:1], v0
; %bb.13:
	s_or_b32 exec_lo, exec_lo, s0
	v_mbcnt_lo_u32_b32 v10, -1, 0
	s_wait_kmcnt 0x0
	s_cmp_lg_u64 s[2:3], 0
	s_cselect_b32 s1, -1, 0
	s_bfe_u32 s4, ttmp6, 0x4000c
	v_xor_b32_e32 v5, 4, v10
	v_xor_b32_e32 v3, 8, v10
	s_add_co_i32 s4, s4, 1
	s_and_b32 s5, ttmp6, 15
	s_mul_i32 s4, ttmp9, s4
	s_delay_alu instid0(VALU_DEP_1) | instskip(NEXT) | instid1(VALU_DEP_1)
	v_cmp_gt_i32_e64 s0, 32, v3
	v_cndmask_b32_e64 v3, v10, v3, s0
	v_cmp_gt_i32_e64 s0, 32, v5
	s_delay_alu instid0(VALU_DEP_1) | instskip(NEXT) | instid1(VALU_DEP_1)
	v_cndmask_b32_e64 v5, v10, v5, s0
	v_dual_lshlrev_b32 v5, 2, v5 :: v_dual_lshlrev_b32 v3, 2, v3
	s_wait_dscnt 0x0
	ds_bpermute_b32 v6, v3, v0
	ds_bpermute_b32 v7, v3, v1
	s_wait_dscnt 0x0
	v_add_f64_e32 v[0:1], v[0:1], v[6:7]
	ds_bpermute_b32 v6, v5, v0
	ds_bpermute_b32 v7, v5, v1
	s_wait_dscnt 0x0
	v_add_f64_e32 v[0:1], v[0:1], v[6:7]
	v_xor_b32_e32 v6, 2, v10
	v_xor_b32_e32 v7, 1, v10
	s_delay_alu instid0(VALU_DEP_2) | instskip(NEXT) | instid1(VALU_DEP_1)
	v_cmp_gt_i32_e64 s0, 32, v6
	v_cndmask_b32_e64 v6, v10, v6, s0
	s_delay_alu instid0(VALU_DEP_3) | instskip(NEXT) | instid1(VALU_DEP_1)
	v_cmp_gt_i32_e64 s0, 32, v7
	v_dual_cndmask_b32 v7, v10, v7, s0 :: v_dual_lshlrev_b32 v6, 2, v6
	v_cmp_eq_u32_e64 s0, 0, v12
	s_delay_alu instid0(VALU_DEP_2)
	v_lshlrev_b32_e32 v7, 2, v7
	s_and_b32 s1, s0, s1
	s_add_co_i32 s0, s5, s4
	s_cmp_eq_u32 s20, 0
	s_mov_b32 s5, 0
	s_cselect_b32 s4, ttmp9, s0
	s_delay_alu instid0(SALU_CYCLE_1)
	s_lshl_b64 s[4:5], s[4:5], 8
	ds_bpermute_b32 v8, v6, v0
	ds_bpermute_b32 v9, v6, v1
	s_add_nc_u64 s[2:3], s[2:3], s[4:5]
	s_wait_dscnt 0x0
	v_add_f64_e32 v[0:1], v[0:1], v[8:9]
	ds_bpermute_b32 v8, v7, v0
	ds_bpermute_b32 v9, v7, v1
	s_wait_dscnt 0x0
	v_add_f64_e32 v[0:1], v[0:1], v[8:9]
	s_and_saveexec_b32 s0, s1
	s_cbranch_execz .LBB135_15
; %bb.14:
	global_store_b64 v4, v[0:1], s[2:3] scale_offset
.LBB135_15:
	s_wait_xcnt 0x0
	s_or_b32 exec_lo, exec_lo, s0
	v_cmp_gt_u32_e64 s0, 16, v4
	s_and_b32 exec_lo, exec_lo, s0
	s_cbranch_execz .LBB135_20
; %bb.16:
	s_and_saveexec_b32 s0, vcc_lo
; %bb.17:
	v_dual_lshlrev_b32 v0, 3, v4 :: v_dual_lshlrev_b32 v1, 3, v2
	s_delay_alu instid0(VALU_DEP_1)
	v_add3_u32 v0, 0, v0, v1
	ds_load_b64 v[0:1], v0 offset:128
; %bb.18:
	s_or_b32 exec_lo, exec_lo, s0
	s_wait_dscnt 0x0
	ds_bpermute_b32 v2, v3, v0
	ds_bpermute_b32 v3, v3, v1
	s_wait_dscnt 0x0
	v_add_f64_e32 v[0:1], v[0:1], v[2:3]
	ds_bpermute_b32 v2, v5, v0
	ds_bpermute_b32 v3, v5, v1
	s_wait_dscnt 0x0
	v_add_f64_e32 v[0:1], v[0:1], v[2:3]
	;; [unrolled: 4-line block ×3, first 2 shown]
	ds_bpermute_b32 v2, v7, v0
	ds_bpermute_b32 v3, v7, v1
	s_and_saveexec_b32 s0, s1
	s_delay_alu instid0(SALU_CYCLE_1)
	s_xor_b32 s0, exec_lo, s0
	s_cbranch_execz .LBB135_20
; %bb.19:
	s_wait_dscnt 0x0
	v_add_f64_e32 v[0:1], v[0:1], v[2:3]
	global_store_b64 v4, v[0:1], s[2:3] offset:128 scale_offset
.LBB135_20:
	s_endpgm
	.section	.rodata,"a",@progbits
	.p2align	6, 0x0
	.amdhsa_kernel _ZN2at6native12_GLOBAL__N_135GammaBetaBackwardCUDAKernelTemplateIddLj32ELj16ELj128ELb0ELb1ELb1EEEvllPKT_S5_PKT0_S8_PS3_S9_
		.amdhsa_group_segment_fixed_size 0
		.amdhsa_private_segment_fixed_size 0
		.amdhsa_kernarg_size 320
		.amdhsa_user_sgpr_count 2
		.amdhsa_user_sgpr_dispatch_ptr 0
		.amdhsa_user_sgpr_queue_ptr 0
		.amdhsa_user_sgpr_kernarg_segment_ptr 1
		.amdhsa_user_sgpr_dispatch_id 0
		.amdhsa_user_sgpr_kernarg_preload_length 0
		.amdhsa_user_sgpr_kernarg_preload_offset 0
		.amdhsa_user_sgpr_private_segment_size 0
		.amdhsa_wavefront_size32 1
		.amdhsa_uses_dynamic_stack 0
		.amdhsa_enable_private_segment 0
		.amdhsa_system_sgpr_workgroup_id_x 1
		.amdhsa_system_sgpr_workgroup_id_y 1
		.amdhsa_system_sgpr_workgroup_id_z 0
		.amdhsa_system_sgpr_workgroup_info 0
		.amdhsa_system_vgpr_workitem_id 1
		.amdhsa_next_free_vgpr 56
		.amdhsa_next_free_sgpr 22
		.amdhsa_named_barrier_count 0
		.amdhsa_reserve_vcc 1
		.amdhsa_float_round_mode_32 0
		.amdhsa_float_round_mode_16_64 0
		.amdhsa_float_denorm_mode_32 3
		.amdhsa_float_denorm_mode_16_64 3
		.amdhsa_fp16_overflow 0
		.amdhsa_memory_ordered 1
		.amdhsa_forward_progress 1
		.amdhsa_inst_pref_size 14
		.amdhsa_round_robin_scheduling 0
		.amdhsa_exception_fp_ieee_invalid_op 0
		.amdhsa_exception_fp_denorm_src 0
		.amdhsa_exception_fp_ieee_div_zero 0
		.amdhsa_exception_fp_ieee_overflow 0
		.amdhsa_exception_fp_ieee_underflow 0
		.amdhsa_exception_fp_ieee_inexact 0
		.amdhsa_exception_int_div_zero 0
	.end_amdhsa_kernel
	.section	.text._ZN2at6native12_GLOBAL__N_135GammaBetaBackwardCUDAKernelTemplateIddLj32ELj16ELj128ELb0ELb1ELb1EEEvllPKT_S5_PKT0_S8_PS3_S9_,"axG",@progbits,_ZN2at6native12_GLOBAL__N_135GammaBetaBackwardCUDAKernelTemplateIddLj32ELj16ELj128ELb0ELb1ELb1EEEvllPKT_S5_PKT0_S8_PS3_S9_,comdat
.Lfunc_end135:
	.size	_ZN2at6native12_GLOBAL__N_135GammaBetaBackwardCUDAKernelTemplateIddLj32ELj16ELj128ELb0ELb1ELb1EEEvllPKT_S5_PKT0_S8_PS3_S9_, .Lfunc_end135-_ZN2at6native12_GLOBAL__N_135GammaBetaBackwardCUDAKernelTemplateIddLj32ELj16ELj128ELb0ELb1ELb1EEEvllPKT_S5_PKT0_S8_PS3_S9_
                                        ; -- End function
	.set _ZN2at6native12_GLOBAL__N_135GammaBetaBackwardCUDAKernelTemplateIddLj32ELj16ELj128ELb0ELb1ELb1EEEvllPKT_S5_PKT0_S8_PS3_S9_.num_vgpr, 56
	.set _ZN2at6native12_GLOBAL__N_135GammaBetaBackwardCUDAKernelTemplateIddLj32ELj16ELj128ELb0ELb1ELb1EEEvllPKT_S5_PKT0_S8_PS3_S9_.num_agpr, 0
	.set _ZN2at6native12_GLOBAL__N_135GammaBetaBackwardCUDAKernelTemplateIddLj32ELj16ELj128ELb0ELb1ELb1EEEvllPKT_S5_PKT0_S8_PS3_S9_.numbered_sgpr, 22
	.set _ZN2at6native12_GLOBAL__N_135GammaBetaBackwardCUDAKernelTemplateIddLj32ELj16ELj128ELb0ELb1ELb1EEEvllPKT_S5_PKT0_S8_PS3_S9_.num_named_barrier, 0
	.set _ZN2at6native12_GLOBAL__N_135GammaBetaBackwardCUDAKernelTemplateIddLj32ELj16ELj128ELb0ELb1ELb1EEEvllPKT_S5_PKT0_S8_PS3_S9_.private_seg_size, 0
	.set _ZN2at6native12_GLOBAL__N_135GammaBetaBackwardCUDAKernelTemplateIddLj32ELj16ELj128ELb0ELb1ELb1EEEvllPKT_S5_PKT0_S8_PS3_S9_.uses_vcc, 1
	.set _ZN2at6native12_GLOBAL__N_135GammaBetaBackwardCUDAKernelTemplateIddLj32ELj16ELj128ELb0ELb1ELb1EEEvllPKT_S5_PKT0_S8_PS3_S9_.uses_flat_scratch, 0
	.set _ZN2at6native12_GLOBAL__N_135GammaBetaBackwardCUDAKernelTemplateIddLj32ELj16ELj128ELb0ELb1ELb1EEEvllPKT_S5_PKT0_S8_PS3_S9_.has_dyn_sized_stack, 0
	.set _ZN2at6native12_GLOBAL__N_135GammaBetaBackwardCUDAKernelTemplateIddLj32ELj16ELj128ELb0ELb1ELb1EEEvllPKT_S5_PKT0_S8_PS3_S9_.has_recursion, 0
	.set _ZN2at6native12_GLOBAL__N_135GammaBetaBackwardCUDAKernelTemplateIddLj32ELj16ELj128ELb0ELb1ELb1EEEvllPKT_S5_PKT0_S8_PS3_S9_.has_indirect_call, 0
	.section	.AMDGPU.csdata,"",@progbits
; Kernel info:
; codeLenInByte = 1708
; TotalNumSgprs: 24
; NumVgprs: 56
; ScratchSize: 0
; MemoryBound: 0
; FloatMode: 240
; IeeeMode: 1
; LDSByteSize: 0 bytes/workgroup (compile time only)
; SGPRBlocks: 0
; VGPRBlocks: 3
; NumSGPRsForWavesPerEU: 24
; NumVGPRsForWavesPerEU: 56
; NamedBarCnt: 0
; Occupancy: 16
; WaveLimiterHint : 0
; COMPUTE_PGM_RSRC2:SCRATCH_EN: 0
; COMPUTE_PGM_RSRC2:USER_SGPR: 2
; COMPUTE_PGM_RSRC2:TRAP_HANDLER: 0
; COMPUTE_PGM_RSRC2:TGID_X_EN: 1
; COMPUTE_PGM_RSRC2:TGID_Y_EN: 1
; COMPUTE_PGM_RSRC2:TGID_Z_EN: 0
; COMPUTE_PGM_RSRC2:TIDIG_COMP_CNT: 1
	.section	.text._ZN2at6native12_GLOBAL__N_135GammaBetaBackwardCUDAKernelTemplateIddLj32ELj16ELj128ELb0ELb0ELb1EEEvllPKT_S5_PKT0_S8_PS3_S9_,"axG",@progbits,_ZN2at6native12_GLOBAL__N_135GammaBetaBackwardCUDAKernelTemplateIddLj32ELj16ELj128ELb0ELb0ELb1EEEvllPKT_S5_PKT0_S8_PS3_S9_,comdat
	.globl	_ZN2at6native12_GLOBAL__N_135GammaBetaBackwardCUDAKernelTemplateIddLj32ELj16ELj128ELb0ELb0ELb1EEEvllPKT_S5_PKT0_S8_PS3_S9_ ; -- Begin function _ZN2at6native12_GLOBAL__N_135GammaBetaBackwardCUDAKernelTemplateIddLj32ELj16ELj128ELb0ELb0ELb1EEEvllPKT_S5_PKT0_S8_PS3_S9_
	.p2align	8
	.type	_ZN2at6native12_GLOBAL__N_135GammaBetaBackwardCUDAKernelTemplateIddLj32ELj16ELj128ELb0ELb0ELb1EEEvllPKT_S5_PKT0_S8_PS3_S9_,@function
_ZN2at6native12_GLOBAL__N_135GammaBetaBackwardCUDAKernelTemplateIddLj32ELj16ELj128ELb0ELb0ELb1EEEvllPKT_S5_PKT0_S8_PS3_S9_: ; @_ZN2at6native12_GLOBAL__N_135GammaBetaBackwardCUDAKernelTemplateIddLj32ELj16ELj128ELb0ELb0ELb1EEEvllPKT_S5_PKT0_S8_PS3_S9_
; %bb.0:
	s_load_b256 s[4:11], s[0:1], 0x0
	s_bfe_u32 s3, ttmp6, 0x4000c
	s_bfe_u32 s12, ttmp6, 0x40010
	s_add_co_i32 s3, s3, 1
	s_add_co_i32 s12, s12, 1
	s_and_b32 s2, ttmp6, 15
	s_bfe_u32 s13, ttmp6, 0x40004
	s_mul_i32 s3, ttmp9, s3
	s_mul_i32 s12, ttmp7, s12
	s_getreg_b32 s14, hwreg(HW_REG_IB_STS2, 6, 4)
	s_add_co_i32 s2, s2, s3
	s_add_co_i32 s13, s13, s12
	s_cmp_eq_u32 s14, 0
	s_mov_b32 s17, 0
	s_cselect_b32 s12, ttmp9, s2
	s_cselect_b32 s2, ttmp7, s13
	s_lshl_b32 s3, s12, 5
	s_load_b64 s[14:15], s[0:1], 0x28
	s_or_b32 s16, s3, 31
	s_wait_kmcnt 0x0
	v_cmp_le_i64_e64 s18, s[6:7], s[16:17]
	s_lshl_b32 s16, s2, 7
	s_delay_alu instid0(SALU_CYCLE_1) | instskip(SKIP_2) | instid1(VALU_DEP_1)
	v_cmp_gt_i64_e64 s13, s[4:5], s[16:17]
	s_and_b32 vcc_lo, exec_lo, s18
	v_cndmask_b32_e64 v1, 0, 1, s13
	v_cmp_ne_u32_e64 s2, 1, v1
	s_cbranch_vccz .LBB136_49
; %bb.1:
	v_mov_b64_e32 v[4:5], 0
	s_and_b32 vcc_lo, exec_lo, s2
	s_cbranch_vccnz .LBB136_50
; %bb.2:
	v_bfe_u32 v1, v0, 10, 10
	v_mov_b32_e32 v2, 0
	v_and_b32_e32 v92, 0x3ff, v0
	s_load_b32 s18, s[0:1], 0x44
	s_mov_b32 s19, 0
	s_delay_alu instid0(VALU_DEP_2) | instskip(NEXT) | instid1(VALU_DEP_2)
	v_dual_mov_b32 v51, v2 :: v_dual_lshlrev_b32 v50, 3, v1
	v_dual_mov_b32 v19, v2 :: v_dual_add_nc_u32 v18, s3, v92
	v_mov_b64_e32 v[86:87], 0
	s_mov_b32 s31, s19
	s_delay_alu instid0(VALU_DEP_3)
	v_add_nc_u64_e32 v[4:5], s[16:17], v[50:51]
	s_mov_b64 s[20:21], 0xffffffffffffff81
	v_cmp_gt_i64_e64 s2, s[6:7], v[18:19]
	v_lshlrev_b64_e32 v[52:53], 3, v[18:19]
	s_mov_b64 s[22:23], 0xffffffffffffff82
	s_mov_b64 s[24:25], 0xffffffffffffff83
	;; [unrolled: 1-line block ×3, first 2 shown]
	v_mul_u64_e32 v[6:7], s[6:7], v[4:5]
	v_add_nc_u64_e32 v[8:9], 7, v[4:5]
	v_add_nc_u64_e32 v[10:11], 6, v[4:5]
	;; [unrolled: 1-line block ×6, first 2 shown]
	s_wait_kmcnt 0x0
	s_lshl_b32 s30, s18, 7
	v_mul_u64_e32 v[8:9], s[6:7], v[8:9]
	v_mul_u64_e32 v[10:11], s[6:7], v[10:11]
	;; [unrolled: 1-line block ×6, first 2 shown]
	s_mul_u64 s[42:43], s[6:7], s[30:31]
	s_mov_b64 s[28:29], 0xffffffffffffff85
	s_mov_b64 s[34:35], 0xffffffffffffff86
	;; [unrolled: 1-line block ×4, first 2 shown]
	s_add_nc_u64 s[40:41], s[0:1], 64
	s_lshl_b64 s[42:43], s[42:43], 3
	s_add_nc_u64 s[44:45], s[16:17], 0x7f
	s_mov_b64 s[46:47], s[16:17]
	v_lshlrev_b64_e32 v[20:21], 3, v[6:7]
	v_add_nc_u64_e32 v[6:7], s[6:7], v[6:7]
	s_delay_alu instid0(VALU_DEP_2)
	v_add_nc_u64_e32 v[54:55], s[8:9], v[20:21]
	v_lshlrev_b64_e32 v[8:9], 3, v[8:9]
	v_lshlrev_b64_e32 v[10:11], 3, v[10:11]
	;; [unrolled: 1-line block ×7, first 2 shown]
	v_add_nc_u64_e32 v[56:57], s[10:11], v[20:21]
	v_add_nc_u64_e32 v[58:59], s[8:9], v[8:9]
	v_add_nc_u64_e32 v[60:61], s[10:11], v[8:9]
	v_add_nc_u64_e32 v[62:63], s[8:9], v[10:11]
	v_add_nc_u64_e32 v[64:65], s[10:11], v[10:11]
	v_add_nc_u64_e32 v[66:67], s[8:9], v[12:13]
	v_add_nc_u64_e32 v[68:69], s[10:11], v[12:13]
	v_add_nc_u64_e32 v[70:71], s[8:9], v[14:15]
	v_add_nc_u64_e32 v[72:73], s[10:11], v[14:15]
	v_add_nc_u64_e32 v[74:75], s[8:9], v[16:17]
	v_add_nc_u64_e32 v[76:77], s[10:11], v[16:17]
	v_add_nc_u64_e32 v[78:79], s[8:9], v[4:5]
	v_add_nc_u64_e32 v[80:81], s[10:11], v[4:5]
	v_add_nc_u64_e32 v[82:83], s[8:9], v[6:7]
	v_add_nc_u64_e32 v[84:85], s[10:11], v[6:7]
.LBB136_3:                              ; =>This Inner Loop Header: Depth=1
	v_cmp_ge_i64_e64 s18, s[44:45], s[4:5]
	v_add_nc_u64_e32 v[88:89], s[44:45], v[50:51]
                                        ; implicit-def: $vgpr4_vgpr5
                                        ; implicit-def: $vgpr18_vgpr19_vgpr20_vgpr21_vgpr22_vgpr23_vgpr24_vgpr25_vgpr26_vgpr27_vgpr28_vgpr29_vgpr30_vgpr31_vgpr32_vgpr33
                                        ; implicit-def: $vgpr34_vgpr35_vgpr36_vgpr37_vgpr38_vgpr39_vgpr40_vgpr41_vgpr42_vgpr43_vgpr44_vgpr45_vgpr46_vgpr47_vgpr48_vgpr49
                                        ; implicit-def: $vgpr6
	s_and_b32 vcc_lo, exec_lo, s18
	s_mov_b32 s18, -1
	s_cbranch_vccz .LBB136_25
; %bb.4:                                ;   in Loop: Header=BB136_3 Depth=1
	s_load_b32 s18, s[40:41], 0xc
	v_mov_b64_e32 v[90:91], 0
	s_wait_kmcnt 0x0
	s_and_b32 s18, s18, 0xffff
	s_delay_alu instid0(SALU_CYCLE_1) | instskip(SKIP_1) | instid1(VALU_DEP_1)
	v_mad_u32_u24 v3, v1, s18, v92
	s_mov_b32 s18, exec_lo
	v_and_b32_e32 v4, 31, v3
	s_delay_alu instid0(VALU_DEP_1)
	v_cmpx_gt_u32_e32 8, v4
	s_cbranch_execz .LBB136_8
; %bb.5:                                ;   in Loop: Header=BB136_3 Depth=1
	v_mov_b32_e32 v5, v2
	v_mov_b64_e32 v[90:91], 0
	s_mov_b32 s33, exec_lo
	s_delay_alu instid0(VALU_DEP_2) | instskip(NEXT) | instid1(VALU_DEP_1)
	v_add_nc_u64_e32 v[4:5], v[88:89], v[4:5]
	v_add_nc_u64_e32 v[4:5], s[20:21], v[4:5]
	s_delay_alu instid0(VALU_DEP_1)
	v_cmpx_gt_i64_e64 s[4:5], v[4:5]
	s_cbranch_execz .LBB136_7
; %bb.6:                                ;   in Loop: Header=BB136_3 Depth=1
	v_lshl_add_u64 v[4:5], v[4:5], 3, s[14:15]
	global_load_b64 v[90:91], v[4:5], off
.LBB136_7:                              ;   in Loop: Header=BB136_3 Depth=1
	s_wait_xcnt 0x0
	s_or_b32 exec_lo, exec_lo, s33
.LBB136_8:                              ;   in Loop: Header=BB136_3 Depth=1
	s_delay_alu instid0(SALU_CYCLE_1)
	s_or_b32 exec_lo, exec_lo, s18
	v_add_nc_u64_e32 v[18:19], s[20:21], v[88:89]
	v_dual_mov_b32 v15, v2 :: v_dual_mov_b32 v16, v2
	v_dual_mov_b32 v17, v2 :: v_dual_mov_b32 v3, v2
	v_dual_mov_b32 v4, v2 :: v_dual_mov_b32 v5, v2
	v_dual_mov_b32 v6, v2 :: v_dual_mov_b32 v7, v2
	v_dual_mov_b32 v8, v2 :: v_dual_mov_b32 v9, v2
	v_dual_mov_b32 v10, v2 :: v_dual_mov_b32 v11, v2
	v_dual_mov_b32 v12, v2 :: v_dual_mov_b32 v13, v2
	v_mov_b32_e32 v14, v2
	v_cmp_gt_i64_e32 vcc_lo, s[4:5], v[18:19]
	v_mov_b64_e32 v[32:33], v[16:17]
	v_mov_b64_e32 v[48:49], v[16:17]
	;; [unrolled: 1-line block ×16, first 2 shown]
	s_and_b32 s33, s2, vcc_lo
	s_delay_alu instid0(SALU_CYCLE_1)
	s_and_saveexec_b32 s18, s33
	s_cbranch_execz .LBB136_10
; %bb.9:                                ;   in Loop: Header=BB136_3 Depth=1
	v_add_nc_u64_e32 v[4:5], v[54:55], v[52:53]
	v_add_nc_u64_e32 v[6:7], v[56:57], v[52:53]
	v_dual_mov_b32 v36, v2 :: v_dual_mov_b32 v37, v2
	v_dual_mov_b32 v38, v2 :: v_dual_mov_b32 v39, v2
	;; [unrolled: 1-line block ×3, first 2 shown]
	global_load_b64 v[34:35], v[4:5], off
	global_load_b64 v[18:19], v[6:7], off
	v_dual_mov_b32 v42, v2 :: v_dual_mov_b32 v43, v2
	v_dual_mov_b32 v44, v2 :: v_dual_mov_b32 v45, v2
	;; [unrolled: 1-line block ×11, first 2 shown]
.LBB136_10:                             ;   in Loop: Header=BB136_3 Depth=1
	s_wait_xcnt 0x0
	s_or_b32 exec_lo, exec_lo, s18
	v_add_nc_u64_e32 v[4:5], s[22:23], v[88:89]
	s_delay_alu instid0(VALU_DEP_1) | instskip(SKIP_1) | instid1(SALU_CYCLE_1)
	v_cmp_gt_i64_e32 vcc_lo, s[4:5], v[4:5]
	s_and_b32 s33, s2, vcc_lo
	s_and_saveexec_b32 s18, s33
	s_cbranch_execz .LBB136_12
; %bb.11:                               ;   in Loop: Header=BB136_3 Depth=1
	v_add_nc_u64_e32 v[4:5], v[82:83], v[52:53]
	v_add_nc_u64_e32 v[6:7], v[84:85], v[52:53]
	global_load_b64 v[36:37], v[4:5], off
	global_load_b64 v[20:21], v[6:7], off
.LBB136_12:                             ;   in Loop: Header=BB136_3 Depth=1
	s_wait_xcnt 0x0
	s_or_b32 exec_lo, exec_lo, s18
	v_add_nc_u64_e32 v[4:5], s[24:25], v[88:89]
	s_delay_alu instid0(VALU_DEP_1) | instskip(SKIP_1) | instid1(SALU_CYCLE_1)
	v_cmp_gt_i64_e32 vcc_lo, s[4:5], v[4:5]
	s_and_b32 s33, s2, vcc_lo
	s_and_saveexec_b32 s18, s33
	s_cbranch_execz .LBB136_14
; %bb.13:                               ;   in Loop: Header=BB136_3 Depth=1
	v_add_nc_u64_e32 v[4:5], v[78:79], v[52:53]
	v_add_nc_u64_e32 v[6:7], v[80:81], v[52:53]
	global_load_b64 v[38:39], v[4:5], off
	global_load_b64 v[22:23], v[6:7], off
.LBB136_14:                             ;   in Loop: Header=BB136_3 Depth=1
	;; [unrolled: 14-line block ×7, first 2 shown]
	s_wait_xcnt 0x0
	s_or_b32 exec_lo, exec_lo, s18
	s_wait_loadcnt 0x0
	v_mul_f64_e32 v[4:5], v[18:19], v[34:35]
	ds_bpermute_b32 v6, v2, v90
	ds_bpermute_b32 v7, v2, v91
	v_mul_f64_e32 v[8:9], v[20:21], v[36:37]
	v_mul_f64_e32 v[10:11], v[22:23], v[38:39]
	s_mov_b32 s18, 0
	s_wait_dscnt 0x0
	v_fma_f64 v[4:5], v[4:5], v[6:7], v[86:87]
	ds_bpermute_b32 v6, v2, v90 offset:4
	ds_bpermute_b32 v7, v2, v91 offset:4
	s_wait_dscnt 0x0
	v_fmac_f64_e32 v[4:5], v[8:9], v[6:7]
	ds_bpermute_b32 v6, v2, v90 offset:8
	ds_bpermute_b32 v7, v2, v91 offset:8
	v_mul_f64_e32 v[8:9], v[24:25], v[40:41]
	s_wait_dscnt 0x0
	v_fmac_f64_e32 v[4:5], v[10:11], v[6:7]
	ds_bpermute_b32 v6, v2, v90 offset:12
	ds_bpermute_b32 v7, v2, v91 offset:12
	v_mul_f64_e32 v[10:11], v[26:27], v[42:43]
	;; [unrolled: 5-line block ×3, first 2 shown]
	s_wait_dscnt 0x0
	v_fmac_f64_e32 v[4:5], v[10:11], v[6:7]
	ds_bpermute_b32 v6, v2, v90 offset:20
	ds_bpermute_b32 v7, v2, v91 offset:20
	s_wait_dscnt 0x0
	v_fmac_f64_e32 v[4:5], v[8:9], v[6:7]
	v_mul_f64_e32 v[6:7], v[30:31], v[46:47]
	ds_bpermute_b32 v8, v2, v90 offset:24
	ds_bpermute_b32 v9, v2, v91 offset:24
	s_wait_dscnt 0x0
	v_fmac_f64_e32 v[4:5], v[6:7], v[8:9]
	ds_bpermute_b32 v6, v2, v90 offset:28
	ds_bpermute_b32 v7, v2, v91 offset:28
.LBB136_25:                             ;   in Loop: Header=BB136_3 Depth=1
	s_and_b32 vcc_lo, exec_lo, s18
	s_cbranch_vccz .LBB136_40
; %bb.26:                               ;   in Loop: Header=BB136_3 Depth=1
	s_load_b32 s18, s[40:41], 0x0
	v_mov_b64_e32 v[90:91], 0
	s_wait_kmcnt 0x0
	s_cmp_lt_u32 s12, s18
	s_cselect_b32 s18, 12, 18
	s_delay_alu instid0(SALU_CYCLE_1) | instskip(SKIP_4) | instid1(VALU_DEP_1)
	s_add_nc_u64 s[48:49], s[40:41], s[18:19]
	s_load_u16 s18, s[48:49], 0x0
	s_wait_kmcnt 0x0
	v_mad_u32_u24 v3, v1, s18, v92
	s_mov_b32 s18, exec_lo
	v_and_b32_e32 v4, 31, v3
	s_delay_alu instid0(VALU_DEP_1)
	v_cmpx_gt_u32_e32 8, v4
	s_cbranch_execz .LBB136_30
; %bb.27:                               ;   in Loop: Header=BB136_3 Depth=1
	v_mov_b32_e32 v5, v2
	v_mov_b64_e32 v[90:91], 0
	s_mov_b32 s33, exec_lo
	s_delay_alu instid0(VALU_DEP_2) | instskip(NEXT) | instid1(VALU_DEP_1)
	v_add_nc_u64_e32 v[4:5], v[88:89], v[4:5]
	v_add_nc_u64_e32 v[4:5], s[20:21], v[4:5]
	s_delay_alu instid0(VALU_DEP_1)
	v_cmpx_gt_i64_e64 s[4:5], v[4:5]
	s_cbranch_execz .LBB136_29
; %bb.28:                               ;   in Loop: Header=BB136_3 Depth=1
	v_lshl_add_u64 v[4:5], v[4:5], 3, s[14:15]
	global_load_b64 v[90:91], v[4:5], off
.LBB136_29:                             ;   in Loop: Header=BB136_3 Depth=1
	s_wait_xcnt 0x0
	s_or_b32 exec_lo, exec_lo, s33
.LBB136_30:                             ;   in Loop: Header=BB136_3 Depth=1
	s_delay_alu instid0(SALU_CYCLE_1)
	s_or_b32 exec_lo, exec_lo, s18
	v_dual_mov_b32 v15, v2 :: v_dual_mov_b32 v16, v2
	v_dual_mov_b32 v17, v2 :: v_dual_mov_b32 v3, v2
	;; [unrolled: 1-line block ×3, first 2 shown]
	s_wait_dscnt 0x0
	v_dual_mov_b32 v6, v2 :: v_dual_mov_b32 v7, v2
	v_dual_mov_b32 v8, v2 :: v_dual_mov_b32 v9, v2
	;; [unrolled: 1-line block ×4, first 2 shown]
	v_mov_b32_e32 v14, v2
	v_mov_b64_e32 v[32:33], v[16:17]
	v_mov_b64_e32 v[48:49], v[16:17]
	;; [unrolled: 1-line block ×16, first 2 shown]
	s_and_saveexec_b32 s18, s2
	s_cbranch_execnz .LBB136_42
; %bb.31:                               ;   in Loop: Header=BB136_3 Depth=1
	s_or_b32 exec_lo, exec_lo, s18
	s_and_saveexec_b32 s18, s2
	s_cbranch_execnz .LBB136_43
.LBB136_32:                             ;   in Loop: Header=BB136_3 Depth=1
	s_or_b32 exec_lo, exec_lo, s18
	s_and_saveexec_b32 s18, s2
	s_cbranch_execnz .LBB136_44
.LBB136_33:                             ;   in Loop: Header=BB136_3 Depth=1
	s_or_b32 exec_lo, exec_lo, s18
	s_and_saveexec_b32 s18, s2
	s_cbranch_execnz .LBB136_45
.LBB136_34:                             ;   in Loop: Header=BB136_3 Depth=1
	s_or_b32 exec_lo, exec_lo, s18
	s_and_saveexec_b32 s18, s2
	s_cbranch_execnz .LBB136_46
.LBB136_35:                             ;   in Loop: Header=BB136_3 Depth=1
	s_or_b32 exec_lo, exec_lo, s18
	s_and_saveexec_b32 s18, s2
	s_cbranch_execnz .LBB136_47
.LBB136_36:                             ;   in Loop: Header=BB136_3 Depth=1
	s_or_b32 exec_lo, exec_lo, s18
	s_and_saveexec_b32 s18, s2
	s_cbranch_execnz .LBB136_48
.LBB136_37:                             ;   in Loop: Header=BB136_3 Depth=1
	s_or_b32 exec_lo, exec_lo, s18
	s_and_saveexec_b32 s18, s2
	s_cbranch_execz .LBB136_39
.LBB136_38:                             ;   in Loop: Header=BB136_3 Depth=1
	v_add_nc_u64_e32 v[4:5], v[58:59], v[52:53]
	v_add_nc_u64_e32 v[6:7], v[60:61], v[52:53]
	global_load_b64 v[48:49], v[4:5], off
	global_load_b64 v[32:33], v[6:7], off
.LBB136_39:                             ;   in Loop: Header=BB136_3 Depth=1
	s_wait_xcnt 0x0
	s_or_b32 exec_lo, exec_lo, s18
	s_wait_loadcnt 0x0
	v_mul_f64_e32 v[4:5], v[18:19], v[34:35]
	ds_bpermute_b32 v6, v2, v90
	ds_bpermute_b32 v7, v2, v91
	v_mul_f64_e32 v[8:9], v[20:21], v[36:37]
	s_wait_dscnt 0x0
	v_fmac_f64_e32 v[86:87], v[4:5], v[6:7]
	ds_bpermute_b32 v4, v2, v90 offset:4
	ds_bpermute_b32 v5, v2, v91 offset:4
	v_mul_f64_e32 v[6:7], v[22:23], v[38:39]
	s_wait_dscnt 0x0
	v_fmac_f64_e32 v[86:87], v[8:9], v[4:5]
	ds_bpermute_b32 v4, v2, v90 offset:8
	ds_bpermute_b32 v5, v2, v91 offset:8
	;; [unrolled: 5-line block ×5, first 2 shown]
	ds_bpermute_b32 v6, v2, v90 offset:24
	ds_bpermute_b32 v7, v2, v91 offset:24
	s_wait_dscnt 0x2
	v_fmac_f64_e32 v[86:87], v[8:9], v[4:5]
	v_mul_f64_e32 v[4:5], v[30:31], v[46:47]
	s_wait_dscnt 0x0
	s_delay_alu instid0(VALU_DEP_1)
	v_fmac_f64_e32 v[86:87], v[4:5], v[6:7]
	ds_bpermute_b32 v6, v2, v90 offset:28
	ds_bpermute_b32 v7, v2, v91 offset:28
	v_mov_b64_e32 v[4:5], v[86:87]
.LBB136_40:                             ;   in Loop: Header=BB136_3 Depth=1
	v_mul_f64_e32 v[8:9], v[48:49], v[32:33]
	s_add_nc_u64 s[46:47], s[46:47], s[30:31]
	v_add_nc_u64_e32 v[54:55], s[42:43], v[54:55]
	v_cmp_lt_i64_e64 s18, s[46:47], s[4:5]
	v_add_nc_u64_e32 v[56:57], s[42:43], v[56:57]
	v_add_nc_u64_e32 v[58:59], s[42:43], v[58:59]
	;; [unrolled: 1-line block ×15, first 2 shown]
	s_and_b32 vcc_lo, exec_lo, s18
	s_add_nc_u64 s[44:45], s[44:45], s[30:31]
	s_wait_dscnt 0x0
	v_fmac_f64_e32 v[4:5], v[8:9], v[6:7]
	s_cbranch_vccz .LBB136_50
; %bb.41:                               ;   in Loop: Header=BB136_3 Depth=1
	s_delay_alu instid0(VALU_DEP_1)
	v_mov_b64_e32 v[86:87], v[4:5]
	s_branch .LBB136_3
.LBB136_42:                             ;   in Loop: Header=BB136_3 Depth=1
	v_add_nc_u64_e32 v[4:5], v[54:55], v[52:53]
	v_add_nc_u64_e32 v[6:7], v[56:57], v[52:53]
	v_dual_mov_b32 v36, v2 :: v_dual_mov_b32 v37, v2
	v_dual_mov_b32 v38, v2 :: v_dual_mov_b32 v39, v2
	;; [unrolled: 1-line block ×3, first 2 shown]
	global_load_b64 v[34:35], v[4:5], off
	global_load_b64 v[18:19], v[6:7], off
	v_dual_mov_b32 v42, v2 :: v_dual_mov_b32 v43, v2
	v_dual_mov_b32 v44, v2 :: v_dual_mov_b32 v45, v2
	;; [unrolled: 1-line block ×11, first 2 shown]
	s_wait_xcnt 0x0
	s_or_b32 exec_lo, exec_lo, s18
	s_and_saveexec_b32 s18, s2
	s_cbranch_execz .LBB136_32
.LBB136_43:                             ;   in Loop: Header=BB136_3 Depth=1
	v_add_nc_u64_e32 v[4:5], v[82:83], v[52:53]
	v_add_nc_u64_e32 v[6:7], v[84:85], v[52:53]
	global_load_b64 v[36:37], v[4:5], off
	global_load_b64 v[20:21], v[6:7], off
	s_wait_xcnt 0x0
	s_or_b32 exec_lo, exec_lo, s18
	s_and_saveexec_b32 s18, s2
	s_cbranch_execz .LBB136_33
.LBB136_44:                             ;   in Loop: Header=BB136_3 Depth=1
	v_add_nc_u64_e32 v[4:5], v[78:79], v[52:53]
	v_add_nc_u64_e32 v[6:7], v[80:81], v[52:53]
	global_load_b64 v[38:39], v[4:5], off
	global_load_b64 v[22:23], v[6:7], off
	s_wait_xcnt 0x0
	s_or_b32 exec_lo, exec_lo, s18
	s_and_saveexec_b32 s18, s2
	s_cbranch_execz .LBB136_34
.LBB136_45:                             ;   in Loop: Header=BB136_3 Depth=1
	v_add_nc_u64_e32 v[4:5], v[74:75], v[52:53]
	v_add_nc_u64_e32 v[6:7], v[76:77], v[52:53]
	global_load_b64 v[40:41], v[4:5], off
	global_load_b64 v[24:25], v[6:7], off
	s_wait_xcnt 0x0
	s_or_b32 exec_lo, exec_lo, s18
	s_and_saveexec_b32 s18, s2
	s_cbranch_execz .LBB136_35
.LBB136_46:                             ;   in Loop: Header=BB136_3 Depth=1
	v_add_nc_u64_e32 v[4:5], v[70:71], v[52:53]
	v_add_nc_u64_e32 v[6:7], v[72:73], v[52:53]
	global_load_b64 v[42:43], v[4:5], off
	global_load_b64 v[26:27], v[6:7], off
	s_wait_xcnt 0x0
	s_or_b32 exec_lo, exec_lo, s18
	s_and_saveexec_b32 s18, s2
	s_cbranch_execz .LBB136_36
.LBB136_47:                             ;   in Loop: Header=BB136_3 Depth=1
	v_add_nc_u64_e32 v[4:5], v[66:67], v[52:53]
	v_add_nc_u64_e32 v[6:7], v[68:69], v[52:53]
	global_load_b64 v[44:45], v[4:5], off
	global_load_b64 v[28:29], v[6:7], off
	s_wait_xcnt 0x0
	s_or_b32 exec_lo, exec_lo, s18
	s_and_saveexec_b32 s18, s2
	s_cbranch_execz .LBB136_37
.LBB136_48:                             ;   in Loop: Header=BB136_3 Depth=1
	v_add_nc_u64_e32 v[4:5], v[62:63], v[52:53]
	v_add_nc_u64_e32 v[6:7], v[64:65], v[52:53]
	global_load_b64 v[46:47], v[4:5], off
	global_load_b64 v[30:31], v[6:7], off
	s_wait_xcnt 0x0
	s_or_b32 exec_lo, exec_lo, s18
	s_and_saveexec_b32 s18, s2
	s_cbranch_execnz .LBB136_38
	s_branch .LBB136_39
.LBB136_49:
                                        ; implicit-def: $vgpr4_vgpr5
	s_branch .LBB136_51
.LBB136_50:
	s_cbranch_execnz .LBB136_83
.LBB136_51:
	v_mov_b64_e32 v[4:5], 0
	s_and_not1_b32 vcc_lo, exec_lo, s13
	s_cbranch_vccnz .LBB136_83
; %bb.52:
	v_bfe_u32 v1, v0, 10, 10
	v_mov_b32_e32 v2, 0
	v_and_b32_e32 v120, 0x3ff, v0
	s_load_b32 s2, s[0:1], 0x44
	v_mov_b64_e32 v[114:115], 0
	s_delay_alu instid0(VALU_DEP_3) | instskip(SKIP_3) | instid1(VALU_DEP_2)
	v_dual_mov_b32 v5, v2 :: v_dual_lshlrev_b32 v4, 6, v1
	v_dual_mov_b32 v51, v2 :: v_dual_lshlrev_b32 v50, 3, v1
	s_mov_b64 s[20:21], 0xffffffffffffff83
	s_mov_b64 s[22:23], 0xffffffffffffff84
	v_lshl_add_u64 v[4:5], s[16:17], 3, v[4:5]
	s_mov_b64 s[24:25], 0xffffffffffffff85
	s_mov_b64 s[26:27], 0xffffffffffffff86
	;; [unrolled: 1-line block ×4, first 2 shown]
	v_add_nc_u64_e32 v[6:7], 8, v[4:5]
	v_add_nc_u64_e32 v[10:11], 16, v[4:5]
	;; [unrolled: 1-line block ×7, first 2 shown]
	v_mad_nc_u64_u32 v[52:53], s6, v6, s[8:9]
	v_mul_lo_u32 v3, s6, v7
	v_mul_lo_u32 v20, s7, v6
	v_mad_nc_u64_u32 v[62:63], s6, v6, s[10:11]
	v_mad_nc_u64_u32 v[56:57], s6, v12, s[8:9]
	v_mul_lo_u32 v26, s6, v13
	v_mad_nc_u64_u32 v[72:73], s6, v4, s[8:9]
	v_mul_lo_u32 v32, s7, v4
	v_mad_nc_u64_u32 v[78:79], s6, v4, s[10:11]
	v_add_nc_u32_e32 v4, s3, v120
	v_add_nc_u64_e32 v[8:9], s[16:17], v[50:51]
	v_mul_lo_u32 v27, s7, v12
	v_mad_nc_u64_u32 v[66:67], s6, v12, s[10:11]
	v_add3_u32 v53, v20, v53, v3
	v_add3_u32 v63, v20, v63, v3
	v_mad_nc_u64_u32 v[54:55], s6, v10, s[8:9]
	v_mul_lo_u32 v24, s6, v11
	v_add_nc_u64_e32 v[6:7], 7, v[8:9]
	v_add_nc_u64_e32 v[12:13], 6, v[8:9]
	;; [unrolled: 1-line block ×3, first 2 shown]
	v_mul_lo_u32 v25, s7, v10
	v_mad_nc_u64_u32 v[58:59], s6, v14, s[8:9]
	v_mul_lo_u32 v28, s6, v15
	v_mul_lo_u32 v29, s7, v14
	v_mul_u64_e32 v[6:7], s[6:7], v[6:7]
	v_mad_nc_u64_u32 v[64:65], s6, v10, s[10:11]
	v_mul_u64_e32 v[10:11], s[6:7], v[8:9]
	v_add_nc_u64_e32 v[22:23], 4, v[8:9]
	v_mad_nc_u64_u32 v[70:71], s6, v14, s[10:11]
	v_mul_u64_e32 v[12:13], s[6:7], v[12:13]
	v_add_nc_u64_e32 v[14:15], 3, v[8:9]
	v_add_nc_u64_e32 v[8:9], 2, v[8:9]
	v_mul_u64_e32 v[20:21], s[6:7], v[20:21]
	v_mad_nc_u64_u32 v[60:61], s6, v16, s[8:9]
	v_mul_u64_e32 v[22:23], s[6:7], v[22:23]
	v_mul_lo_u32 v17, s6, v17
	v_mul_lo_u32 v30, s7, v16
	v_mul_u64_e32 v[14:15], s[6:7], v[14:15]
	v_mul_u64_e32 v[8:9], s[6:7], v[8:9]
	v_mad_nc_u64_u32 v[74:75], s6, v16, s[10:11]
	v_mul_lo_u32 v3, s6, v5
	v_mov_b32_e32 v5, v2
	v_mad_nc_u64_u32 v[68:69], s6, v18, s[8:9]
	v_mul_lo_u32 v19, s6, v19
	v_mul_lo_u32 v31, s7, v18
	v_mad_nc_u64_u32 v[76:77], s6, v18, s[10:11]
	v_lshlrev_b64_e32 v[80:81], 3, v[4:5]
	v_add3_u32 v61, v30, v61, v17
	s_mov_b32 s3, 0
	s_wait_kmcnt 0x0
	s_lshl_b32 s18, s2, 7
	v_add3_u32 v75, v30, v75, v17
	s_mov_b32 s19, s3
	v_add3_u32 v55, v25, v55, v24
	v_add3_u32 v57, v27, v57, v26
	;; [unrolled: 1-line block ×4, first 2 shown]
	v_lshlrev_b64_e32 v[6:7], 3, v[6:7]
	v_add3_u32 v59, v29, v59, v28
	v_lshlrev_b64_e32 v[16:17], 3, v[10:11]
	v_add_nc_u64_e32 v[10:11], s[6:7], v[10:11]
	v_add3_u32 v71, v29, v71, v28
	v_lshlrev_b64_e32 v[4:5], 3, v[12:13]
	v_add3_u32 v69, v31, v69, v19
	v_add_nc_u64_e32 v[86:87], s[8:9], v[6:7]
	v_add_nc_u64_e32 v[88:89], s[10:11], v[6:7]
	v_lshlrev_b64_e32 v[6:7], 3, v[20:21]
	v_lshlrev_b64_e32 v[12:13], 3, v[22:23]
	v_add_nc_u64_e32 v[82:83], s[8:9], v[16:17]
	v_add_nc_u64_e32 v[90:91], s[8:9], v[4:5]
	;; [unrolled: 1-line block ×3, first 2 shown]
	v_lshlrev_b64_e32 v[4:5], 3, v[14:15]
	v_lshlrev_b64_e32 v[8:9], 3, v[8:9]
	v_add_nc_u64_e32 v[94:95], s[8:9], v[6:7]
	v_add_nc_u64_e32 v[96:97], s[10:11], v[6:7]
	v_lshlrev_b64_e32 v[6:7], 3, v[10:11]
	v_add_nc_u64_e32 v[84:85], s[10:11], v[16:17]
	v_add_nc_u64_e32 v[98:99], s[8:9], v[12:13]
	;; [unrolled: 1-line block ×9, first 2 shown]
	v_add3_u32 v73, v32, v73, v3
	v_add3_u32 v77, v31, v77, v19
	;; [unrolled: 1-line block ×3, first 2 shown]
	s_mul_u64 s[36:37], s[6:7], s[18:19]
	s_mov_b64 s[8:9], 0xffffffffffffff81
	s_mov_b64 s[10:11], 0xffffffffffffff82
	s_add_nc_u64 s[34:35], s[0:1], 64
	s_lshl_b64 s[36:37], s[36:37], 3
	s_add_nc_u64 s[38:39], s[16:17], 0x7f
.LBB136_53:                             ; =>This Inner Loop Header: Depth=1
	s_delay_alu instid0(SALU_CYCLE_1)
	v_cmp_ge_i64_e64 s2, s[38:39], s[4:5]
	v_add_nc_u64_e32 v[116:117], s[38:39], v[50:51]
                                        ; implicit-def: $vgpr4_vgpr5
	s_and_b32 vcc_lo, exec_lo, s2
	s_mov_b32 s2, -1
	s_cbranch_vccz .LBB136_75
; %bb.54:                               ;   in Loop: Header=BB136_53 Depth=1
	s_load_b32 s2, s[34:35], 0xc
	v_mov_b64_e32 v[118:119], 0
	s_wait_kmcnt 0x0
	s_and_b32 s2, s2, 0xffff
	s_delay_alu instid0(SALU_CYCLE_1) | instskip(SKIP_1) | instid1(VALU_DEP_1)
	v_mad_u32_u24 v3, v1, s2, v120
	s_mov_b32 s2, exec_lo
	v_and_b32_e32 v4, 31, v3
	s_delay_alu instid0(VALU_DEP_1)
	v_cmpx_gt_u32_e32 8, v4
	s_cbranch_execz .LBB136_58
; %bb.55:                               ;   in Loop: Header=BB136_53 Depth=1
	v_mov_b32_e32 v5, v2
	v_mov_b64_e32 v[118:119], 0
	s_mov_b32 s13, exec_lo
	s_delay_alu instid0(VALU_DEP_2) | instskip(NEXT) | instid1(VALU_DEP_1)
	v_add_nc_u64_e32 v[4:5], v[116:117], v[4:5]
	v_add_nc_u64_e32 v[4:5], s[8:9], v[4:5]
	s_delay_alu instid0(VALU_DEP_1)
	v_cmpx_gt_i64_e64 s[4:5], v[4:5]
	s_cbranch_execz .LBB136_57
; %bb.56:                               ;   in Loop: Header=BB136_53 Depth=1
	v_lshl_add_u64 v[4:5], v[4:5], 3, s[14:15]
	global_load_b64 v[118:119], v[4:5], off
.LBB136_57:                             ;   in Loop: Header=BB136_53 Depth=1
	s_wait_xcnt 0x0
	s_or_b32 exec_lo, exec_lo, s13
.LBB136_58:                             ;   in Loop: Header=BB136_53 Depth=1
	s_delay_alu instid0(SALU_CYCLE_1)
	s_or_b32 exec_lo, exec_lo, s2
	v_add_nc_u64_e32 v[18:19], s[8:9], v[116:117]
	v_dual_mov_b32 v15, v2 :: v_dual_mov_b32 v16, v2
	v_dual_mov_b32 v17, v2 :: v_dual_mov_b32 v3, v2
	;; [unrolled: 1-line block ×7, first 2 shown]
	v_mov_b32_e32 v14, v2
	v_cmp_gt_i64_e32 vcc_lo, s[4:5], v[18:19]
	v_mov_b64_e32 v[32:33], v[16:17]
	v_mov_b64_e32 v[48:49], v[16:17]
	;; [unrolled: 1-line block ×16, first 2 shown]
	s_and_saveexec_b32 s2, vcc_lo
	s_cbranch_execz .LBB136_60
; %bb.59:                               ;   in Loop: Header=BB136_53 Depth=1
	v_add_nc_u64_e32 v[4:5], v[82:83], v[80:81]
	v_add_nc_u64_e32 v[6:7], v[84:85], v[80:81]
	v_dual_mov_b32 v36, v2 :: v_dual_mov_b32 v37, v2
	v_dual_mov_b32 v38, v2 :: v_dual_mov_b32 v39, v2
	;; [unrolled: 1-line block ×3, first 2 shown]
	global_load_b64 v[34:35], v[4:5], off
	global_load_b64 v[18:19], v[6:7], off
	v_dual_mov_b32 v42, v2 :: v_dual_mov_b32 v43, v2
	v_dual_mov_b32 v44, v2 :: v_dual_mov_b32 v45, v2
	;; [unrolled: 1-line block ×11, first 2 shown]
.LBB136_60:                             ;   in Loop: Header=BB136_53 Depth=1
	s_wait_xcnt 0x0
	s_or_b32 exec_lo, exec_lo, s2
	v_add_nc_u64_e32 v[4:5], s[10:11], v[116:117]
	s_mov_b32 s2, exec_lo
	s_delay_alu instid0(VALU_DEP_1)
	v_cmpx_gt_i64_e64 s[4:5], v[4:5]
	s_cbranch_execz .LBB136_62
; %bb.61:                               ;   in Loop: Header=BB136_53 Depth=1
	v_add_nc_u64_e32 v[4:5], v[110:111], v[80:81]
	v_add_nc_u64_e32 v[6:7], v[112:113], v[80:81]
	global_load_b64 v[36:37], v[4:5], off
	global_load_b64 v[20:21], v[6:7], off
.LBB136_62:                             ;   in Loop: Header=BB136_53 Depth=1
	s_wait_xcnt 0x0
	s_or_b32 exec_lo, exec_lo, s2
	v_add_nc_u64_e32 v[4:5], s[20:21], v[116:117]
	s_mov_b32 s2, exec_lo
	s_delay_alu instid0(VALU_DEP_1)
	v_cmpx_gt_i64_e64 s[4:5], v[4:5]
	s_cbranch_execz .LBB136_64
; %bb.63:                               ;   in Loop: Header=BB136_53 Depth=1
	v_add_nc_u64_e32 v[4:5], v[106:107], v[80:81]
	v_add_nc_u64_e32 v[6:7], v[108:109], v[80:81]
	global_load_b64 v[38:39], v[4:5], off
	global_load_b64 v[22:23], v[6:7], off
.LBB136_64:                             ;   in Loop: Header=BB136_53 Depth=1
	;; [unrolled: 13-line block ×7, first 2 shown]
	s_wait_xcnt 0x0
	s_or_b32 exec_lo, exec_lo, s2
	s_wait_loadcnt 0x0
	v_mul_f64_e32 v[4:5], v[18:19], v[34:35]
	ds_bpermute_b32 v6, v2, v118
	ds_bpermute_b32 v7, v2, v119
	v_mul_f64_e32 v[8:9], v[20:21], v[36:37]
	v_mul_f64_e32 v[10:11], v[22:23], v[38:39]
	s_mov_b32 s2, 0
	s_wait_dscnt 0x0
	v_fma_f64 v[4:5], v[4:5], v[6:7], v[114:115]
	ds_bpermute_b32 v6, v2, v118 offset:4
	ds_bpermute_b32 v7, v2, v119 offset:4
	s_wait_dscnt 0x0
	v_fmac_f64_e32 v[4:5], v[8:9], v[6:7]
	ds_bpermute_b32 v6, v2, v118 offset:8
	ds_bpermute_b32 v7, v2, v119 offset:8
	v_mul_f64_e32 v[8:9], v[24:25], v[40:41]
	s_wait_dscnt 0x0
	v_fmac_f64_e32 v[4:5], v[10:11], v[6:7]
	ds_bpermute_b32 v6, v2, v118 offset:12
	ds_bpermute_b32 v7, v2, v119 offset:12
	v_mul_f64_e32 v[10:11], v[26:27], v[42:43]
	;; [unrolled: 5-line block ×4, first 2 shown]
	s_wait_dscnt 0x0
	v_fmac_f64_e32 v[4:5], v[8:9], v[6:7]
	ds_bpermute_b32 v6, v2, v118 offset:24
	ds_bpermute_b32 v7, v2, v119 offset:24
	ds_bpermute_b32 v8, v2, v118 offset:28
	ds_bpermute_b32 v9, v2, v119 offset:28
	s_wait_dscnt 0x2
	v_fmac_f64_e32 v[4:5], v[10:11], v[6:7]
	v_mul_f64_e32 v[6:7], v[32:33], v[48:49]
	s_wait_dscnt 0x0
	s_delay_alu instid0(VALU_DEP_1)
	v_fmac_f64_e32 v[4:5], v[6:7], v[8:9]
.LBB136_75:                             ;   in Loop: Header=BB136_53 Depth=1
	s_and_b32 vcc_lo, exec_lo, s2
	s_cbranch_vccz .LBB136_81
; %bb.76:                               ;   in Loop: Header=BB136_53 Depth=1
	s_load_b32 s2, s[34:35], 0x0
	v_mov_b64_e32 v[4:5], 0
	s_wait_kmcnt 0x0
	s_cmp_lt_u32 s12, s2
	s_cselect_b32 s2, 12, 18
	s_delay_alu instid0(SALU_CYCLE_1) | instskip(SKIP_4) | instid1(VALU_DEP_1)
	s_add_nc_u64 s[40:41], s[34:35], s[2:3]
	s_load_u16 s2, s[40:41], 0x0
	s_wait_kmcnt 0x0
	v_mad_u32_u24 v3, v1, s2, v120
	s_mov_b32 s2, exec_lo
	v_and_b32_e32 v6, 31, v3
	s_delay_alu instid0(VALU_DEP_1)
	v_cmpx_gt_u32_e32 8, v6
	s_cbranch_execz .LBB136_80
; %bb.77:                               ;   in Loop: Header=BB136_53 Depth=1
	v_mov_b32_e32 v7, v2
	s_mov_b32 s13, exec_lo
	s_delay_alu instid0(VALU_DEP_1) | instskip(NEXT) | instid1(VALU_DEP_1)
	v_add_nc_u64_e32 v[4:5], v[116:117], v[6:7]
	v_add_nc_u64_e32 v[6:7], s[8:9], v[4:5]
	v_mov_b64_e32 v[4:5], 0
	s_delay_alu instid0(VALU_DEP_2)
	v_cmpx_gt_i64_e64 s[4:5], v[6:7]
	s_cbranch_execz .LBB136_79
; %bb.78:                               ;   in Loop: Header=BB136_53 Depth=1
	v_lshl_add_u64 v[4:5], v[6:7], 3, s[14:15]
	global_load_b64 v[4:5], v[4:5], off
.LBB136_79:                             ;   in Loop: Header=BB136_53 Depth=1
	s_wait_xcnt 0x0
	s_or_b32 exec_lo, exec_lo, s13
.LBB136_80:                             ;   in Loop: Header=BB136_53 Depth=1
	s_delay_alu instid0(SALU_CYCLE_1)
	s_or_b32 exec_lo, exec_lo, s2
	v_add_nc_u64_e32 v[6:7], v[82:83], v[80:81]
	v_add_nc_u64_e32 v[8:9], v[84:85], v[80:81]
	global_load_b64 v[10:11], v[6:7], off
	global_load_b64 v[12:13], v[8:9], off
	s_wait_xcnt 0x1
	v_add_nc_u64_e32 v[6:7], v[52:53], v[80:81]
	s_wait_xcnt 0x0
	v_add_nc_u64_e32 v[8:9], v[62:63], v[80:81]
	global_load_b64 v[14:15], v[6:7], off
	global_load_b64 v[16:17], v[8:9], off
	s_wait_xcnt 0x1
	v_add_nc_u64_e32 v[6:7], v[54:55], v[80:81]
	s_wait_xcnt 0x0
	;; [unrolled: 6-line block ×7, first 2 shown]
	v_add_nc_u64_e32 v[8:9], v[78:79], v[80:81]
	global_load_b64 v[38:39], v[6:7], off
	global_load_b64 v[40:41], v[8:9], off
	s_wait_loadcnt 0x10
	s_wait_xcnt 0x0
	ds_bpermute_b32 v8, v2, v4
	ds_bpermute_b32 v9, v2, v5
	s_wait_loadcnt 0xe
	v_mul_f64_e32 v[6:7], v[10:11], v[12:13]
	s_wait_loadcnt 0xc
	v_mul_f64_e32 v[10:11], v[14:15], v[16:17]
	s_wait_dscnt 0x0
	s_delay_alu instid0(VALU_DEP_2)
	v_fmac_f64_e32 v[114:115], v[6:7], v[8:9]
	ds_bpermute_b32 v6, v2, v4 offset:4
	ds_bpermute_b32 v7, v2, v5 offset:4
	s_wait_loadcnt 0xa
	v_mul_f64_e32 v[8:9], v[18:19], v[20:21]
	s_wait_dscnt 0x0
	v_fmac_f64_e32 v[114:115], v[10:11], v[6:7]
	ds_bpermute_b32 v6, v2, v4 offset:8
	ds_bpermute_b32 v7, v2, v5 offset:8
	s_wait_loadcnt 0x8
	v_mul_f64_e32 v[10:11], v[22:23], v[24:25]
	s_wait_dscnt 0x0
	;; [unrolled: 6-line block ×5, first 2 shown]
	v_fmac_f64_e32 v[114:115], v[10:11], v[6:7]
	ds_bpermute_b32 v6, v2, v4 offset:24
	ds_bpermute_b32 v7, v2, v5 offset:24
	;; [unrolled: 1-line block ×4, first 2 shown]
	s_wait_dscnt 0x2
	v_fmac_f64_e32 v[114:115], v[8:9], v[6:7]
	s_wait_loadcnt 0x0
	v_mul_f64_e32 v[6:7], v[38:39], v[40:41]
	s_wait_dscnt 0x0
	s_delay_alu instid0(VALU_DEP_1) | instskip(NEXT) | instid1(VALU_DEP_1)
	v_fmac_f64_e32 v[114:115], v[6:7], v[4:5]
	v_mov_b64_e32 v[4:5], v[114:115]
.LBB136_81:                             ;   in Loop: Header=BB136_53 Depth=1
	s_add_nc_u64 s[16:17], s[16:17], s[18:19]
	v_add_nc_u64_e32 v[82:83], s[36:37], v[82:83]
	v_cmp_ge_i64_e64 s2, s[16:17], s[4:5]
	v_add_nc_u64_e32 v[84:85], s[36:37], v[84:85]
	v_add_nc_u64_e32 v[52:53], s[36:37], v[52:53]
	;; [unrolled: 1-line block ×29, first 2 shown]
	s_and_b32 vcc_lo, exec_lo, s2
	s_add_nc_u64 s[38:39], s[38:39], s[18:19]
	s_cbranch_vccnz .LBB136_83
; %bb.82:                               ;   in Loop: Header=BB136_53 Depth=1
	v_mov_b64_e32 v[114:115], v[4:5]
	s_branch .LBB136_53
.LBB136_83:
	v_and_b32_e32 v1, 0x3ff, v0
	v_bfe_u32 v6, v0, 10, 10
	v_bfe_u32 v0, v0, 5, 5
	v_mov_b64_e32 v[2:3], 0
	s_mov_b32 s2, exec_lo
	s_delay_alu instid0(VALU_DEP_3) | instskip(NEXT) | instid1(VALU_DEP_3)
	v_mad_u32_u24 v7, v6, 33, v1
	v_add_nc_u32_e32 v0, v0, v6
	s_delay_alu instid0(VALU_DEP_2)
	v_lshl_add_u32 v6, v7, 3, 0
	ds_store_b64 v6, v[4:5]
	ds_store_b64 v6, v[2:3] offset:4224
	s_wait_dscnt 0x0
	s_barrier_signal -1
	s_barrier_wait -1
	v_cmpx_gt_u32_e32 32, v0
	s_cbranch_execz .LBB136_93
; %bb.84:
	s_load_b64 s[2:3], s[0:1], 0x30
	v_and_b32_e32 v2, 31, v1
	s_delay_alu instid0(VALU_DEP_1)
	v_cmp_gt_u32_e32 vcc_lo, 16, v2
	v_mul_u32_u24_e32 v6, 33, v2
                                        ; implicit-def: $vgpr2_vgpr3
	s_wait_xcnt 0x0
	s_and_saveexec_b32 s0, vcc_lo
; %bb.85:
	s_delay_alu instid0(VALU_DEP_1) | instskip(NEXT) | instid1(VALU_DEP_1)
	v_dual_lshlrev_b32 v2, 3, v0 :: v_dual_lshlrev_b32 v3, 3, v6
	v_add3_u32 v2, 0, v2, v3
	ds_load_b64 v[2:3], v2
; %bb.86:
	s_or_b32 exec_lo, exec_lo, s0
	v_mbcnt_lo_u32_b32 v10, -1, 0
	s_mov_b32 s13, 0
	s_delay_alu instid0(SALU_CYCLE_1) | instskip(SKIP_4) | instid1(VALU_DEP_1)
	s_lshl_b64 s[4:5], s[12:13], 5
	s_wait_kmcnt 0x0
	s_cmp_eq_u64 s[2:3], 0
	v_xor_b32_e32 v4, 8, v10
	s_cselect_b32 s8, -1, 0
	v_cmp_gt_i32_e64 s0, 32, v4
	s_delay_alu instid0(VALU_DEP_1) | instskip(NEXT) | instid1(VALU_DEP_1)
	v_cndmask_b32_e64 v4, v10, v4, s0
	v_lshlrev_b32_e32 v7, 2, v4
	s_wait_dscnt 0x0
	ds_bpermute_b32 v4, v7, v2
	ds_bpermute_b32 v5, v7, v3
	s_wait_dscnt 0x0
	v_dual_add_f64 v[2:3], v[2:3], v[4:5] :: v_dual_bitop2_b32 v4, 4, v10 bitop3:0x14
	s_delay_alu instid0(VALU_DEP_1) | instskip(NEXT) | instid1(VALU_DEP_1)
	v_cmp_gt_i32_e64 s0, 32, v4
	v_cndmask_b32_e64 v4, v10, v4, s0
	s_delay_alu instid0(VALU_DEP_1) | instskip(SKIP_4) | instid1(VALU_DEP_1)
	v_lshlrev_b32_e32 v8, 2, v4
	ds_bpermute_b32 v4, v8, v2
	ds_bpermute_b32 v5, v8, v3
	s_wait_dscnt 0x0
	v_dual_add_f64 v[2:3], v[2:3], v[4:5] :: v_dual_bitop2_b32 v4, 2, v10 bitop3:0x14
	v_cmp_gt_i32_e64 s0, 32, v4
	s_delay_alu instid0(VALU_DEP_1) | instskip(NEXT) | instid1(VALU_DEP_1)
	v_cndmask_b32_e64 v4, v10, v4, s0
	v_lshlrev_b32_e32 v9, 2, v4
	ds_bpermute_b32 v4, v9, v2
	ds_bpermute_b32 v5, v9, v3
	s_wait_dscnt 0x0
	v_dual_add_f64 v[2:3], v[2:3], v[4:5] :: v_dual_bitop2_b32 v4, 1, v10 bitop3:0x14
	s_delay_alu instid0(VALU_DEP_1) | instskip(NEXT) | instid1(VALU_DEP_1)
	v_cmp_gt_i32_e64 s0, 32, v4
	v_cndmask_b32_e64 v4, v10, v4, s0
	v_cmp_ne_u32_e64 s0, 0, v1
	s_delay_alu instid0(VALU_DEP_2)
	v_lshlrev_b32_e32 v10, 2, v4
	ds_bpermute_b32 v4, v10, v2
	ds_bpermute_b32 v5, v10, v3
	s_wait_dscnt 0x0
	v_add_f64_e32 v[2:3], v[2:3], v[4:5]
	v_dual_mov_b32 v5, s5 :: v_dual_bitop2_b32 v4, s4, v0 bitop3:0x54
	s_delay_alu instid0(VALU_DEP_1) | instskip(SKIP_1) | instid1(SALU_CYCLE_1)
	v_cmp_le_i64_e64 s1, s[6:7], v[4:5]
	s_or_b32 s1, s0, s1
	s_nor_b32 s9, s8, s1
	s_delay_alu instid0(SALU_CYCLE_1)
	s_and_saveexec_b32 s1, s9
	s_cbranch_execz .LBB136_88
; %bb.87:
	v_lshl_add_u64 v[4:5], v[4:5], 3, s[2:3]
	global_store_b64 v[4:5], v[2:3], off
.LBB136_88:
	s_wait_xcnt 0x0
	s_or_b32 exec_lo, exec_lo, s1
	v_cmp_gt_u32_e64 s1, 16, v0
	s_and_b32 exec_lo, exec_lo, s1
	s_cbranch_execz .LBB136_93
; %bb.89:
	s_and_saveexec_b32 s1, vcc_lo
; %bb.90:
	v_dual_lshlrev_b32 v1, 3, v0 :: v_dual_lshlrev_b32 v2, 3, v6
	s_delay_alu instid0(VALU_DEP_1)
	v_add3_u32 v1, 0, v1, v2
	ds_load_b64 v[2:3], v1 offset:128
; %bb.91:
	s_or_b32 exec_lo, exec_lo, s1
	s_wait_dscnt 0x0
	ds_bpermute_b32 v4, v7, v2
	ds_bpermute_b32 v5, v7, v3
	v_dual_add_nc_u32 v1, 16, v0 :: v_dual_mov_b32 v7, s5
	s_delay_alu instid0(VALU_DEP_1) | instskip(NEXT) | instid1(VALU_DEP_1)
	v_or_b32_e32 v6, s4, v1
	v_cmp_le_i64_e32 vcc_lo, s[6:7], v[6:7]
	s_or_b32 s0, s0, vcc_lo
	s_wait_dscnt 0x0
	v_add_f64_e32 v[2:3], v[2:3], v[4:5]
	s_nor_b32 s0, s8, s0
	ds_bpermute_b32 v4, v8, v2
	ds_bpermute_b32 v5, v8, v3
	s_wait_dscnt 0x0
	v_add_f64_e32 v[2:3], v[2:3], v[4:5]
	ds_bpermute_b32 v4, v9, v2
	ds_bpermute_b32 v5, v9, v3
	s_wait_dscnt 0x0
	v_add_f64_e32 v[2:3], v[2:3], v[4:5]
	ds_bpermute_b32 v4, v10, v2
	ds_bpermute_b32 v5, v10, v3
	s_and_saveexec_b32 s1, s0
	s_delay_alu instid0(SALU_CYCLE_1)
	s_xor_b32 s1, exec_lo, s1
	s_cbranch_execz .LBB136_93
; %bb.92:
	s_wait_dscnt 0x0
	v_dual_add_f64 v[2:3], v[2:3], v[4:5] :: v_dual_mov_b32 v1, 0
	s_delay_alu instid0(VALU_DEP_1) | instskip(NEXT) | instid1(VALU_DEP_1)
	v_add_nc_u64_e32 v[0:1], s[4:5], v[0:1]
	v_lshl_add_u64 v[0:1], v[0:1], 3, s[2:3]
	global_store_b64 v[0:1], v[2:3], off offset:128
.LBB136_93:
	s_sendmsg sendmsg(MSG_DEALLOC_VGPRS)
	s_endpgm
	.section	.rodata,"a",@progbits
	.p2align	6, 0x0
	.amdhsa_kernel _ZN2at6native12_GLOBAL__N_135GammaBetaBackwardCUDAKernelTemplateIddLj32ELj16ELj128ELb0ELb0ELb1EEEvllPKT_S5_PKT0_S8_PS3_S9_
		.amdhsa_group_segment_fixed_size 0
		.amdhsa_private_segment_fixed_size 0
		.amdhsa_kernarg_size 320
		.amdhsa_user_sgpr_count 2
		.amdhsa_user_sgpr_dispatch_ptr 0
		.amdhsa_user_sgpr_queue_ptr 0
		.amdhsa_user_sgpr_kernarg_segment_ptr 1
		.amdhsa_user_sgpr_dispatch_id 0
		.amdhsa_user_sgpr_kernarg_preload_length 0
		.amdhsa_user_sgpr_kernarg_preload_offset 0
		.amdhsa_user_sgpr_private_segment_size 0
		.amdhsa_wavefront_size32 1
		.amdhsa_uses_dynamic_stack 0
		.amdhsa_enable_private_segment 0
		.amdhsa_system_sgpr_workgroup_id_x 1
		.amdhsa_system_sgpr_workgroup_id_y 1
		.amdhsa_system_sgpr_workgroup_id_z 0
		.amdhsa_system_sgpr_workgroup_info 0
		.amdhsa_system_vgpr_workitem_id 1
		.amdhsa_next_free_vgpr 121
		.amdhsa_next_free_sgpr 50
		.amdhsa_named_barrier_count 0
		.amdhsa_reserve_vcc 1
		.amdhsa_float_round_mode_32 0
		.amdhsa_float_round_mode_16_64 0
		.amdhsa_float_denorm_mode_32 3
		.amdhsa_float_denorm_mode_16_64 3
		.amdhsa_fp16_overflow 0
		.amdhsa_memory_ordered 1
		.amdhsa_forward_progress 1
		.amdhsa_inst_pref_size 50
		.amdhsa_round_robin_scheduling 0
		.amdhsa_exception_fp_ieee_invalid_op 0
		.amdhsa_exception_fp_denorm_src 0
		.amdhsa_exception_fp_ieee_div_zero 0
		.amdhsa_exception_fp_ieee_overflow 0
		.amdhsa_exception_fp_ieee_underflow 0
		.amdhsa_exception_fp_ieee_inexact 0
		.amdhsa_exception_int_div_zero 0
	.end_amdhsa_kernel
	.section	.text._ZN2at6native12_GLOBAL__N_135GammaBetaBackwardCUDAKernelTemplateIddLj32ELj16ELj128ELb0ELb0ELb1EEEvllPKT_S5_PKT0_S8_PS3_S9_,"axG",@progbits,_ZN2at6native12_GLOBAL__N_135GammaBetaBackwardCUDAKernelTemplateIddLj32ELj16ELj128ELb0ELb0ELb1EEEvllPKT_S5_PKT0_S8_PS3_S9_,comdat
.Lfunc_end136:
	.size	_ZN2at6native12_GLOBAL__N_135GammaBetaBackwardCUDAKernelTemplateIddLj32ELj16ELj128ELb0ELb0ELb1EEEvllPKT_S5_PKT0_S8_PS3_S9_, .Lfunc_end136-_ZN2at6native12_GLOBAL__N_135GammaBetaBackwardCUDAKernelTemplateIddLj32ELj16ELj128ELb0ELb0ELb1EEEvllPKT_S5_PKT0_S8_PS3_S9_
                                        ; -- End function
	.set _ZN2at6native12_GLOBAL__N_135GammaBetaBackwardCUDAKernelTemplateIddLj32ELj16ELj128ELb0ELb0ELb1EEEvllPKT_S5_PKT0_S8_PS3_S9_.num_vgpr, 121
	.set _ZN2at6native12_GLOBAL__N_135GammaBetaBackwardCUDAKernelTemplateIddLj32ELj16ELj128ELb0ELb0ELb1EEEvllPKT_S5_PKT0_S8_PS3_S9_.num_agpr, 0
	.set _ZN2at6native12_GLOBAL__N_135GammaBetaBackwardCUDAKernelTemplateIddLj32ELj16ELj128ELb0ELb0ELb1EEEvllPKT_S5_PKT0_S8_PS3_S9_.numbered_sgpr, 50
	.set _ZN2at6native12_GLOBAL__N_135GammaBetaBackwardCUDAKernelTemplateIddLj32ELj16ELj128ELb0ELb0ELb1EEEvllPKT_S5_PKT0_S8_PS3_S9_.num_named_barrier, 0
	.set _ZN2at6native12_GLOBAL__N_135GammaBetaBackwardCUDAKernelTemplateIddLj32ELj16ELj128ELb0ELb0ELb1EEEvllPKT_S5_PKT0_S8_PS3_S9_.private_seg_size, 0
	.set _ZN2at6native12_GLOBAL__N_135GammaBetaBackwardCUDAKernelTemplateIddLj32ELj16ELj128ELb0ELb0ELb1EEEvllPKT_S5_PKT0_S8_PS3_S9_.uses_vcc, 1
	.set _ZN2at6native12_GLOBAL__N_135GammaBetaBackwardCUDAKernelTemplateIddLj32ELj16ELj128ELb0ELb0ELb1EEEvllPKT_S5_PKT0_S8_PS3_S9_.uses_flat_scratch, 0
	.set _ZN2at6native12_GLOBAL__N_135GammaBetaBackwardCUDAKernelTemplateIddLj32ELj16ELj128ELb0ELb0ELb1EEEvllPKT_S5_PKT0_S8_PS3_S9_.has_dyn_sized_stack, 0
	.set _ZN2at6native12_GLOBAL__N_135GammaBetaBackwardCUDAKernelTemplateIddLj32ELj16ELj128ELb0ELb0ELb1EEEvllPKT_S5_PKT0_S8_PS3_S9_.has_recursion, 0
	.set _ZN2at6native12_GLOBAL__N_135GammaBetaBackwardCUDAKernelTemplateIddLj32ELj16ELj128ELb0ELb0ELb1EEEvllPKT_S5_PKT0_S8_PS3_S9_.has_indirect_call, 0
	.section	.AMDGPU.csdata,"",@progbits
; Kernel info:
; codeLenInByte = 6340
; TotalNumSgprs: 52
; NumVgprs: 121
; ScratchSize: 0
; MemoryBound: 1
; FloatMode: 240
; IeeeMode: 1
; LDSByteSize: 0 bytes/workgroup (compile time only)
; SGPRBlocks: 0
; VGPRBlocks: 7
; NumSGPRsForWavesPerEU: 52
; NumVGPRsForWavesPerEU: 121
; NamedBarCnt: 0
; Occupancy: 8
; WaveLimiterHint : 0
; COMPUTE_PGM_RSRC2:SCRATCH_EN: 0
; COMPUTE_PGM_RSRC2:USER_SGPR: 2
; COMPUTE_PGM_RSRC2:TRAP_HANDLER: 0
; COMPUTE_PGM_RSRC2:TGID_X_EN: 1
; COMPUTE_PGM_RSRC2:TGID_Y_EN: 1
; COMPUTE_PGM_RSRC2:TGID_Z_EN: 0
; COMPUTE_PGM_RSRC2:TIDIG_COMP_CNT: 1
	.section	.text._ZN2at6native12_GLOBAL__N_135GammaBetaBackwardCUDAKernelTemplateIddLj32ELj32ELj256ELb0ELb1ELb1EEEvllPKT_S5_PKT0_S8_PS3_S9_,"axG",@progbits,_ZN2at6native12_GLOBAL__N_135GammaBetaBackwardCUDAKernelTemplateIddLj32ELj32ELj256ELb0ELb1ELb1EEEvllPKT_S5_PKT0_S8_PS3_S9_,comdat
	.globl	_ZN2at6native12_GLOBAL__N_135GammaBetaBackwardCUDAKernelTemplateIddLj32ELj32ELj256ELb0ELb1ELb1EEEvllPKT_S5_PKT0_S8_PS3_S9_ ; -- Begin function _ZN2at6native12_GLOBAL__N_135GammaBetaBackwardCUDAKernelTemplateIddLj32ELj32ELj256ELb0ELb1ELb1EEEvllPKT_S5_PKT0_S8_PS3_S9_
	.p2align	8
	.type	_ZN2at6native12_GLOBAL__N_135GammaBetaBackwardCUDAKernelTemplateIddLj32ELj32ELj256ELb0ELb1ELb1EEEvllPKT_S5_PKT0_S8_PS3_S9_,@function
_ZN2at6native12_GLOBAL__N_135GammaBetaBackwardCUDAKernelTemplateIddLj32ELj32ELj256ELb0ELb1ELb1EEEvllPKT_S5_PKT0_S8_PS3_S9_: ; @_ZN2at6native12_GLOBAL__N_135GammaBetaBackwardCUDAKernelTemplateIddLj32ELj32ELj256ELb0ELb1ELb1EEEvllPKT_S5_PKT0_S8_PS3_S9_
; %bb.0:
	s_load_b128 s[4:7], s[0:1], 0x0
	s_bfe_u32 s2, ttmp6, 0x40010
	s_bfe_u32 s8, ttmp6, 0x40004
	s_add_co_i32 s2, s2, 1
	s_getreg_b32 s3, hwreg(HW_REG_IB_STS2, 6, 4)
	s_mul_i32 s2, ttmp7, s2
	s_mov_b32 s13, 0
	s_add_co_i32 s8, s8, s2
	s_cmp_eq_u32 s3, 0
	v_bfe_u32 v13, v0, 10, 10
	s_cselect_b32 s2, ttmp7, s8
	s_delay_alu instid0(SALU_CYCLE_1)
	s_lshl_b32 s12, s2, 8
	s_wait_kmcnt 0x0
	v_cmp_gt_i64_e64 s2, s[4:5], s[12:13]
	s_and_b32 vcc_lo, exec_lo, s2
	s_cbranch_vccnz .LBB137_2
; %bb.1:
	v_bfe_u32 v1, v0, 10, 10
	s_mov_b32 s2, s13
	v_mov_b64_e32 v[2:3], 0
	v_and_b32_e32 v12, 0x3ff, v0
	s_and_not1_b32 vcc_lo, exec_lo, s2
	s_cbranch_vccz .LBB137_3
	s_branch .LBB137_10
.LBB137_2:
                                        ; implicit-def: $vgpr1
	v_mov_b64_e32 v[2:3], 0
	v_and_b32_e32 v12, 0x3ff, v0
.LBB137_3:
	v_dual_mov_b32 v1, 0 :: v_dual_lshlrev_b32 v0, 3, v13
	s_load_b32 s2, s[0:1], 0x4c
	s_bfe_u32 s19, ttmp6, 0x4000c
	s_clause 0x2
	s_load_b32 s14, s[0:1], 0x44
	s_load_b128 s[8:11], s[0:1], 0x10
	s_load_b64 s[16:17], s[0:1], 0x28
	s_add_co_i32 s19, s19, 1
	v_add_nc_u64_e32 v[2:3], s[12:13], v[0:1]
	s_and_b32 s18, ttmp6, 15
	s_mul_i32 s19, ttmp9, s19
	v_dual_mov_b32 v7, v1 :: v_dual_mov_b32 v11, v1
	s_add_co_i32 s18, s18, s19
	s_mov_b32 s15, 0
	s_delay_alu instid0(VALU_DEP_2)
	v_mul_u64_e32 v[8:9], s[6:7], v[2:3]
	v_dual_mov_b32 v0, 4 :: v_dual_mov_b32 v14, 8
	v_dual_mov_b32 v16, 16 :: v_dual_mov_b32 v17, 20
	;; [unrolled: 1-line block ×3, first 2 shown]
	v_mov_b32_e32 v15, 12
	s_wait_kmcnt 0x0
	s_and_b32 s2, s2, 0xffff
	s_cmp_eq_u32 s3, 0
	v_mad_u32_u24 v4, v13, s2, v12
	s_cselect_b32 s2, ttmp9, s18
	s_lshl_b32 s14, s14, 8
	v_lshl_add_u32 v10, s2, 5, v12
	s_mul_u64 s[18:19], s[6:7], s[14:15]
	v_and_b32_e32 v6, 31, v4
	s_lshl_b64 s[18:19], s[18:19], 3
	s_lshl_b64 s[6:7], s[6:7], 3
	v_lshlrev_b64_e32 v[10:11], 3, v[10:11]
	s_delay_alu instid0(VALU_DEP_2) | instskip(SKIP_2) | instid1(VALU_DEP_3)
	v_add_nc_u64_e32 v[4:5], v[2:3], v[6:7]
	v_mov_b64_e32 v[2:3], 0
	v_cmp_gt_u32_e64 s2, 8, v6
	v_lshl_add_u64 v[6:7], v[4:5], 3, s[16:17]
	s_lshl_b64 s[16:17], s[14:15], 3
	v_lshl_add_u64 v[8:9], v[8:9], 3, v[10:11]
	s_branch .LBB137_6
.LBB137_4:                              ;   in Loop: Header=BB137_6 Depth=1
	s_wait_xcnt 0x0
	s_or_b32 exec_lo, exec_lo, s21
.LBB137_5:                              ;   in Loop: Header=BB137_6 Depth=1
	s_delay_alu instid0(SALU_CYCLE_1)
	s_or_b32 exec_lo, exec_lo, s20
	v_add_nc_u64_e32 v[20:21], s[8:9], v[8:9]
	v_add_nc_u64_e32 v[22:23], s[10:11], v[8:9]
	s_add_nc_u64 s[12:13], s[12:13], s[14:15]
	v_add_nc_u64_e32 v[6:7], s[16:17], v[6:7]
	v_cmp_lt_i64_e64 s20, s[12:13], s[4:5]
	v_add_nc_u64_e32 v[4:5], s[14:15], v[4:5]
	v_add_nc_u64_e32 v[8:9], s[18:19], v[8:9]
	global_load_b64 v[24:25], v[20:21], off
	global_load_b64 v[26:27], v[22:23], off
	s_wait_xcnt 0x1
	v_add_nc_u64_e32 v[20:21], s[6:7], v[20:21]
	s_wait_xcnt 0x0
	v_add_nc_u64_e32 v[22:23], s[6:7], v[22:23]
	global_load_b64 v[28:29], v[20:21], off
	global_load_b64 v[30:31], v[22:23], off
	s_wait_xcnt 0x1
	v_add_nc_u64_e32 v[20:21], s[6:7], v[20:21]
	s_wait_xcnt 0x0
	v_add_nc_u64_e32 v[22:23], s[6:7], v[22:23]
	s_and_b32 vcc_lo, exec_lo, s20
	global_load_b64 v[32:33], v[20:21], off
	global_load_b64 v[34:35], v[22:23], off
	s_wait_xcnt 0x1
	v_add_nc_u64_e32 v[20:21], s[6:7], v[20:21]
	s_wait_xcnt 0x0
	v_add_nc_u64_e32 v[22:23], s[6:7], v[22:23]
	global_load_b64 v[36:37], v[20:21], off
	global_load_b64 v[38:39], v[22:23], off
	s_wait_xcnt 0x1
	v_add_nc_u64_e32 v[20:21], s[6:7], v[20:21]
	s_wait_xcnt 0x0
	v_add_nc_u64_e32 v[22:23], s[6:7], v[22:23]
	;; [unrolled: 6-line block ×5, first 2 shown]
	global_load_b64 v[52:53], v[20:21], off
	global_load_b64 v[54:55], v[22:23], off
	s_wait_loadcnt 0x10
	s_wait_xcnt 0x0
	ds_bpermute_b32 v22, v1, v10
	ds_bpermute_b32 v23, v1, v11
	s_wait_loadcnt 0xe
	v_mul_f64_e32 v[20:21], v[24:25], v[26:27]
	s_wait_loadcnt 0xc
	v_mul_f64_e32 v[24:25], v[28:29], v[30:31]
	s_wait_dscnt 0x0
	s_delay_alu instid0(VALU_DEP_2)
	v_fmac_f64_e32 v[2:3], v[20:21], v[22:23]
	ds_bpermute_b32 v20, v0, v10
	ds_bpermute_b32 v21, v0, v11
	s_wait_loadcnt 0xa
	v_mul_f64_e32 v[22:23], v[32:33], v[34:35]
	s_wait_dscnt 0x0
	v_fmac_f64_e32 v[2:3], v[24:25], v[20:21]
	ds_bpermute_b32 v20, v14, v10
	ds_bpermute_b32 v21, v14, v11
	s_wait_loadcnt 0x8
	v_mul_f64_e32 v[24:25], v[36:37], v[38:39]
	s_wait_dscnt 0x0
	;; [unrolled: 6-line block ×5, first 2 shown]
	v_fmac_f64_e32 v[2:3], v[24:25], v[20:21]
	ds_bpermute_b32 v20, v18, v10
	ds_bpermute_b32 v21, v18, v11
	;; [unrolled: 1-line block ×4, first 2 shown]
	s_wait_dscnt 0x2
	v_fmac_f64_e32 v[2:3], v[22:23], v[20:21]
	s_wait_loadcnt 0x0
	v_mul_f64_e32 v[20:21], v[52:53], v[54:55]
	s_wait_dscnt 0x0
	s_delay_alu instid0(VALU_DEP_1)
	v_fmac_f64_e32 v[2:3], v[20:21], v[10:11]
	s_cbranch_vccz .LBB137_9
.LBB137_6:                              ; =>This Inner Loop Header: Depth=1
	v_mov_b64_e32 v[10:11], 0
	s_and_saveexec_b32 s20, s2
	s_cbranch_execz .LBB137_5
; %bb.7:                                ;   in Loop: Header=BB137_6 Depth=1
	v_mov_b64_e32 v[10:11], 0
	s_mov_b32 s21, exec_lo
	v_cmpx_gt_i64_e64 s[4:5], v[4:5]
	s_cbranch_execz .LBB137_4
; %bb.8:                                ;   in Loop: Header=BB137_6 Depth=1
	global_load_b64 v[10:11], v[6:7], off
	s_branch .LBB137_4
.LBB137_9:
	v_mov_b32_e32 v1, v13
.LBB137_10:
	s_load_b64 s[0:1], s[0:1], 0x30
	s_delay_alu instid0(VALU_DEP_1) | instskip(SKIP_3) | instid1(VALU_DEP_3)
	v_mad_u32_u24 v0, v1, 33, v12
	v_lshrrev_b32_e32 v4, 5, v12
	v_mov_b64_e32 v[6:7], 0
	s_mov_b32 s2, exec_lo
	v_lshl_add_u32 v0, v0, 3, 0
	s_delay_alu instid0(VALU_DEP_3)
	v_add_nc_u32_e32 v4, v4, v1
	ds_store_b64 v0, v[2:3]
	ds_store_b64 v0, v[6:7] offset:8448
	s_wait_dscnt 0x0
	s_barrier_signal -1
	s_barrier_wait -1
	v_cmpx_gt_u32_e32 32, v4
	s_cbranch_execz .LBB137_13
; %bb.11:
	v_mbcnt_lo_u32_b32 v5, -1, 0
	v_lshlrev_b32_e32 v1, 3, v4
	s_wait_kmcnt 0x0
	s_cmp_lg_u64 s[0:1], 0
	s_cselect_b32 s2, -1, 0
	v_xor_b32_e32 v2, 16, v5
	s_delay_alu instid0(VALU_DEP_1) | instskip(SKIP_1) | instid1(VALU_DEP_1)
	v_cmp_gt_i32_e32 vcc_lo, 32, v2
	v_dual_cndmask_b32 v2, v5, v2, vcc_lo :: v_dual_bitop2_b32 v0, 31, v12 bitop3:0x40
	v_mul_u32_u24_e32 v0, 0x108, v0
	s_delay_alu instid0(VALU_DEP_2) | instskip(NEXT) | instid1(VALU_DEP_2)
	v_lshlrev_b32_e32 v3, 2, v2
	v_add3_u32 v0, 0, v1, v0
	ds_load_b64 v[0:1], v0
	s_wait_dscnt 0x0
	ds_bpermute_b32 v2, v3, v0
	ds_bpermute_b32 v3, v3, v1
	s_wait_dscnt 0x0
	v_dual_add_f64 v[0:1], v[0:1], v[2:3] :: v_dual_bitop2_b32 v2, 8, v5 bitop3:0x14
	s_delay_alu instid0(VALU_DEP_1) | instskip(SKIP_1) | instid1(VALU_DEP_1)
	v_cmp_gt_i32_e32 vcc_lo, 32, v2
	v_cndmask_b32_e32 v2, v5, v2, vcc_lo
	v_lshlrev_b32_e32 v3, 2, v2
	ds_bpermute_b32 v2, v3, v0
	ds_bpermute_b32 v3, v3, v1
	s_wait_dscnt 0x0
	v_dual_add_f64 v[0:1], v[0:1], v[2:3] :: v_dual_bitop2_b32 v2, 4, v5 bitop3:0x14
	s_delay_alu instid0(VALU_DEP_1) | instskip(SKIP_1) | instid1(VALU_DEP_1)
	v_cmp_gt_i32_e32 vcc_lo, 32, v2
	v_cndmask_b32_e32 v2, v5, v2, vcc_lo
	v_lshlrev_b32_e32 v3, 2, v2
	;; [unrolled: 8-line block ×3, first 2 shown]
	ds_bpermute_b32 v2, v3, v0
	ds_bpermute_b32 v3, v3, v1
	s_wait_dscnt 0x0
	v_dual_add_f64 v[0:1], v[0:1], v[2:3] :: v_dual_bitop2_b32 v2, 1, v5 bitop3:0x14
	s_delay_alu instid0(VALU_DEP_1) | instskip(SKIP_2) | instid1(VALU_DEP_2)
	v_cmp_gt_i32_e32 vcc_lo, 32, v2
	v_cndmask_b32_e32 v2, v5, v2, vcc_lo
	v_cmp_eq_u32_e32 vcc_lo, 0, v12
	v_lshlrev_b32_e32 v3, 2, v2
	s_and_b32 s2, vcc_lo, s2
	ds_bpermute_b32 v2, v3, v0
	ds_bpermute_b32 v3, v3, v1
	s_and_b32 exec_lo, exec_lo, s2
	s_cbranch_execz .LBB137_13
; %bb.12:
	s_wait_dscnt 0x0
	v_add_f64_e32 v[0:1], v[0:1], v[2:3]
	s_bfe_u32 s2, ttmp6, 0x4000c
	s_and_b32 s4, ttmp6, 15
	s_add_co_i32 s2, s2, 1
	s_delay_alu instid0(SALU_CYCLE_1) | instskip(NEXT) | instid1(SALU_CYCLE_1)
	s_mul_i32 s2, ttmp9, s2
	s_add_co_i32 s4, s4, s2
	s_cmp_eq_u32 s3, 0
	s_mov_b32 s3, 0
	s_cselect_b32 s2, ttmp9, s4
	s_delay_alu instid0(SALU_CYCLE_1) | instskip(NEXT) | instid1(SALU_CYCLE_1)
	s_lshl_b64 s[2:3], s[2:3], 8
	s_add_nc_u64 s[0:1], s[0:1], s[2:3]
	global_store_b64 v4, v[0:1], s[0:1] scale_offset
.LBB137_13:
	s_endpgm
	.section	.rodata,"a",@progbits
	.p2align	6, 0x0
	.amdhsa_kernel _ZN2at6native12_GLOBAL__N_135GammaBetaBackwardCUDAKernelTemplateIddLj32ELj32ELj256ELb0ELb1ELb1EEEvllPKT_S5_PKT0_S8_PS3_S9_
		.amdhsa_group_segment_fixed_size 0
		.amdhsa_private_segment_fixed_size 0
		.amdhsa_kernarg_size 320
		.amdhsa_user_sgpr_count 2
		.amdhsa_user_sgpr_dispatch_ptr 0
		.amdhsa_user_sgpr_queue_ptr 0
		.amdhsa_user_sgpr_kernarg_segment_ptr 1
		.amdhsa_user_sgpr_dispatch_id 0
		.amdhsa_user_sgpr_kernarg_preload_length 0
		.amdhsa_user_sgpr_kernarg_preload_offset 0
		.amdhsa_user_sgpr_private_segment_size 0
		.amdhsa_wavefront_size32 1
		.amdhsa_uses_dynamic_stack 0
		.amdhsa_enable_private_segment 0
		.amdhsa_system_sgpr_workgroup_id_x 1
		.amdhsa_system_sgpr_workgroup_id_y 1
		.amdhsa_system_sgpr_workgroup_id_z 0
		.amdhsa_system_sgpr_workgroup_info 0
		.amdhsa_system_vgpr_workitem_id 1
		.amdhsa_next_free_vgpr 56
		.amdhsa_next_free_sgpr 22
		.amdhsa_named_barrier_count 0
		.amdhsa_reserve_vcc 1
		.amdhsa_float_round_mode_32 0
		.amdhsa_float_round_mode_16_64 0
		.amdhsa_float_denorm_mode_32 3
		.amdhsa_float_denorm_mode_16_64 3
		.amdhsa_fp16_overflow 0
		.amdhsa_memory_ordered 1
		.amdhsa_forward_progress 1
		.amdhsa_inst_pref_size 12
		.amdhsa_round_robin_scheduling 0
		.amdhsa_exception_fp_ieee_invalid_op 0
		.amdhsa_exception_fp_denorm_src 0
		.amdhsa_exception_fp_ieee_div_zero 0
		.amdhsa_exception_fp_ieee_overflow 0
		.amdhsa_exception_fp_ieee_underflow 0
		.amdhsa_exception_fp_ieee_inexact 0
		.amdhsa_exception_int_div_zero 0
	.end_amdhsa_kernel
	.section	.text._ZN2at6native12_GLOBAL__N_135GammaBetaBackwardCUDAKernelTemplateIddLj32ELj32ELj256ELb0ELb1ELb1EEEvllPKT_S5_PKT0_S8_PS3_S9_,"axG",@progbits,_ZN2at6native12_GLOBAL__N_135GammaBetaBackwardCUDAKernelTemplateIddLj32ELj32ELj256ELb0ELb1ELb1EEEvllPKT_S5_PKT0_S8_PS3_S9_,comdat
.Lfunc_end137:
	.size	_ZN2at6native12_GLOBAL__N_135GammaBetaBackwardCUDAKernelTemplateIddLj32ELj32ELj256ELb0ELb1ELb1EEEvllPKT_S5_PKT0_S8_PS3_S9_, .Lfunc_end137-_ZN2at6native12_GLOBAL__N_135GammaBetaBackwardCUDAKernelTemplateIddLj32ELj32ELj256ELb0ELb1ELb1EEEvllPKT_S5_PKT0_S8_PS3_S9_
                                        ; -- End function
	.set _ZN2at6native12_GLOBAL__N_135GammaBetaBackwardCUDAKernelTemplateIddLj32ELj32ELj256ELb0ELb1ELb1EEEvllPKT_S5_PKT0_S8_PS3_S9_.num_vgpr, 56
	.set _ZN2at6native12_GLOBAL__N_135GammaBetaBackwardCUDAKernelTemplateIddLj32ELj32ELj256ELb0ELb1ELb1EEEvllPKT_S5_PKT0_S8_PS3_S9_.num_agpr, 0
	.set _ZN2at6native12_GLOBAL__N_135GammaBetaBackwardCUDAKernelTemplateIddLj32ELj32ELj256ELb0ELb1ELb1EEEvllPKT_S5_PKT0_S8_PS3_S9_.numbered_sgpr, 22
	.set _ZN2at6native12_GLOBAL__N_135GammaBetaBackwardCUDAKernelTemplateIddLj32ELj32ELj256ELb0ELb1ELb1EEEvllPKT_S5_PKT0_S8_PS3_S9_.num_named_barrier, 0
	.set _ZN2at6native12_GLOBAL__N_135GammaBetaBackwardCUDAKernelTemplateIddLj32ELj32ELj256ELb0ELb1ELb1EEEvllPKT_S5_PKT0_S8_PS3_S9_.private_seg_size, 0
	.set _ZN2at6native12_GLOBAL__N_135GammaBetaBackwardCUDAKernelTemplateIddLj32ELj32ELj256ELb0ELb1ELb1EEEvllPKT_S5_PKT0_S8_PS3_S9_.uses_vcc, 1
	.set _ZN2at6native12_GLOBAL__N_135GammaBetaBackwardCUDAKernelTemplateIddLj32ELj32ELj256ELb0ELb1ELb1EEEvllPKT_S5_PKT0_S8_PS3_S9_.uses_flat_scratch, 0
	.set _ZN2at6native12_GLOBAL__N_135GammaBetaBackwardCUDAKernelTemplateIddLj32ELj32ELj256ELb0ELb1ELb1EEEvllPKT_S5_PKT0_S8_PS3_S9_.has_dyn_sized_stack, 0
	.set _ZN2at6native12_GLOBAL__N_135GammaBetaBackwardCUDAKernelTemplateIddLj32ELj32ELj256ELb0ELb1ELb1EEEvllPKT_S5_PKT0_S8_PS3_S9_.has_recursion, 0
	.set _ZN2at6native12_GLOBAL__N_135GammaBetaBackwardCUDAKernelTemplateIddLj32ELj32ELj256ELb0ELb1ELb1EEEvllPKT_S5_PKT0_S8_PS3_S9_.has_indirect_call, 0
	.section	.AMDGPU.csdata,"",@progbits
; Kernel info:
; codeLenInByte = 1520
; TotalNumSgprs: 24
; NumVgprs: 56
; ScratchSize: 0
; MemoryBound: 0
; FloatMode: 240
; IeeeMode: 1
; LDSByteSize: 0 bytes/workgroup (compile time only)
; SGPRBlocks: 0
; VGPRBlocks: 3
; NumSGPRsForWavesPerEU: 24
; NumVGPRsForWavesPerEU: 56
; NamedBarCnt: 0
; Occupancy: 16
; WaveLimiterHint : 0
; COMPUTE_PGM_RSRC2:SCRATCH_EN: 0
; COMPUTE_PGM_RSRC2:USER_SGPR: 2
; COMPUTE_PGM_RSRC2:TRAP_HANDLER: 0
; COMPUTE_PGM_RSRC2:TGID_X_EN: 1
; COMPUTE_PGM_RSRC2:TGID_Y_EN: 1
; COMPUTE_PGM_RSRC2:TGID_Z_EN: 0
; COMPUTE_PGM_RSRC2:TIDIG_COMP_CNT: 1
	.section	.text._ZN2at6native12_GLOBAL__N_135GammaBetaBackwardCUDAKernelTemplateIddLj32ELj32ELj256ELb0ELb0ELb1EEEvllPKT_S5_PKT0_S8_PS3_S9_,"axG",@progbits,_ZN2at6native12_GLOBAL__N_135GammaBetaBackwardCUDAKernelTemplateIddLj32ELj32ELj256ELb0ELb0ELb1EEEvllPKT_S5_PKT0_S8_PS3_S9_,comdat
	.globl	_ZN2at6native12_GLOBAL__N_135GammaBetaBackwardCUDAKernelTemplateIddLj32ELj32ELj256ELb0ELb0ELb1EEEvllPKT_S5_PKT0_S8_PS3_S9_ ; -- Begin function _ZN2at6native12_GLOBAL__N_135GammaBetaBackwardCUDAKernelTemplateIddLj32ELj32ELj256ELb0ELb0ELb1EEEvllPKT_S5_PKT0_S8_PS3_S9_
	.p2align	8
	.type	_ZN2at6native12_GLOBAL__N_135GammaBetaBackwardCUDAKernelTemplateIddLj32ELj32ELj256ELb0ELb0ELb1EEEvllPKT_S5_PKT0_S8_PS3_S9_,@function
_ZN2at6native12_GLOBAL__N_135GammaBetaBackwardCUDAKernelTemplateIddLj32ELj32ELj256ELb0ELb0ELb1EEEvllPKT_S5_PKT0_S8_PS3_S9_: ; @_ZN2at6native12_GLOBAL__N_135GammaBetaBackwardCUDAKernelTemplateIddLj32ELj32ELj256ELb0ELb0ELb1EEEvllPKT_S5_PKT0_S8_PS3_S9_
; %bb.0:
	s_load_b256 s[4:11], s[0:1], 0x0
	s_bfe_u32 s3, ttmp6, 0x4000c
	s_bfe_u32 s12, ttmp6, 0x40010
	s_add_co_i32 s3, s3, 1
	s_add_co_i32 s12, s12, 1
	s_and_b32 s2, ttmp6, 15
	s_bfe_u32 s13, ttmp6, 0x40004
	s_mul_i32 s3, ttmp9, s3
	s_mul_i32 s12, ttmp7, s12
	s_getreg_b32 s14, hwreg(HW_REG_IB_STS2, 6, 4)
	s_add_co_i32 s2, s2, s3
	s_add_co_i32 s13, s13, s12
	s_cmp_eq_u32 s14, 0
	s_mov_b32 s17, 0
	s_cselect_b32 s12, ttmp9, s2
	s_cselect_b32 s2, ttmp7, s13
	s_lshl_b32 s3, s12, 5
	s_load_b64 s[14:15], s[0:1], 0x28
	s_or_b32 s16, s3, 31
	s_wait_kmcnt 0x0
	v_cmp_le_i64_e64 s18, s[6:7], s[16:17]
	s_lshl_b32 s16, s2, 8
	s_delay_alu instid0(SALU_CYCLE_1) | instskip(SKIP_2) | instid1(VALU_DEP_1)
	v_cmp_gt_i64_e64 s13, s[4:5], s[16:17]
	s_and_b32 vcc_lo, exec_lo, s18
	v_cndmask_b32_e64 v1, 0, 1, s13
	v_cmp_ne_u32_e64 s2, 1, v1
	s_cbranch_vccz .LBB138_49
; %bb.1:
	v_mov_b64_e32 v[4:5], 0
	s_and_b32 vcc_lo, exec_lo, s2
	s_cbranch_vccnz .LBB138_50
; %bb.2:
	v_bfe_u32 v1, v0, 10, 10
	v_mov_b32_e32 v2, 0
	v_and_b32_e32 v92, 0x3ff, v0
	s_load_b32 s18, s[0:1], 0x44
	s_mov_b32 s19, 0
	s_delay_alu instid0(VALU_DEP_2) | instskip(NEXT) | instid1(VALU_DEP_2)
	v_dual_mov_b32 v51, v2 :: v_dual_lshlrev_b32 v50, 3, v1
	v_dual_mov_b32 v19, v2 :: v_dual_add_nc_u32 v18, s3, v92
	v_mov_b64_e32 v[86:87], 0
	s_mov_b32 s31, s19
	s_delay_alu instid0(VALU_DEP_3)
	v_add_nc_u64_e32 v[4:5], s[16:17], v[50:51]
	s_mov_b64 s[20:21], 0xffffffffffffff01
	v_cmp_gt_i64_e64 s2, s[6:7], v[18:19]
	v_lshlrev_b64_e32 v[52:53], 3, v[18:19]
	s_mov_b64 s[22:23], 0xffffffffffffff02
	s_mov_b64 s[24:25], 0xffffffffffffff03
	;; [unrolled: 1-line block ×3, first 2 shown]
	v_mul_u64_e32 v[6:7], s[6:7], v[4:5]
	v_add_nc_u64_e32 v[8:9], 7, v[4:5]
	v_add_nc_u64_e32 v[10:11], 6, v[4:5]
	;; [unrolled: 1-line block ×6, first 2 shown]
	s_wait_kmcnt 0x0
	s_lshl_b32 s30, s18, 8
	v_mul_u64_e32 v[8:9], s[6:7], v[8:9]
	v_mul_u64_e32 v[10:11], s[6:7], v[10:11]
	;; [unrolled: 1-line block ×6, first 2 shown]
	s_mul_u64 s[42:43], s[6:7], s[30:31]
	s_mov_b64 s[28:29], 0xffffffffffffff05
	s_mov_b64 s[34:35], 0xffffffffffffff06
	;; [unrolled: 1-line block ×4, first 2 shown]
	s_add_nc_u64 s[40:41], s[0:1], 64
	s_lshl_b64 s[42:43], s[42:43], 3
	s_add_nc_u64 s[44:45], s[16:17], 0xff
	s_mov_b64 s[46:47], s[16:17]
	v_lshlrev_b64_e32 v[20:21], 3, v[6:7]
	v_add_nc_u64_e32 v[6:7], s[6:7], v[6:7]
	s_delay_alu instid0(VALU_DEP_2)
	v_add_nc_u64_e32 v[54:55], s[8:9], v[20:21]
	v_lshlrev_b64_e32 v[8:9], 3, v[8:9]
	v_lshlrev_b64_e32 v[10:11], 3, v[10:11]
	;; [unrolled: 1-line block ×7, first 2 shown]
	v_add_nc_u64_e32 v[56:57], s[10:11], v[20:21]
	v_add_nc_u64_e32 v[58:59], s[8:9], v[8:9]
	;; [unrolled: 1-line block ×15, first 2 shown]
.LBB138_3:                              ; =>This Inner Loop Header: Depth=1
	v_cmp_ge_i64_e64 s18, s[44:45], s[4:5]
	v_add_nc_u64_e32 v[88:89], s[44:45], v[50:51]
                                        ; implicit-def: $vgpr4_vgpr5
                                        ; implicit-def: $vgpr18_vgpr19_vgpr20_vgpr21_vgpr22_vgpr23_vgpr24_vgpr25_vgpr26_vgpr27_vgpr28_vgpr29_vgpr30_vgpr31_vgpr32_vgpr33
                                        ; implicit-def: $vgpr34_vgpr35_vgpr36_vgpr37_vgpr38_vgpr39_vgpr40_vgpr41_vgpr42_vgpr43_vgpr44_vgpr45_vgpr46_vgpr47_vgpr48_vgpr49
                                        ; implicit-def: $vgpr6
	s_and_b32 vcc_lo, exec_lo, s18
	s_mov_b32 s18, -1
	s_cbranch_vccz .LBB138_25
; %bb.4:                                ;   in Loop: Header=BB138_3 Depth=1
	s_load_b32 s18, s[40:41], 0xc
	v_mov_b64_e32 v[90:91], 0
	s_wait_kmcnt 0x0
	s_and_b32 s18, s18, 0xffff
	s_delay_alu instid0(SALU_CYCLE_1) | instskip(SKIP_1) | instid1(VALU_DEP_1)
	v_mad_u32_u24 v3, v1, s18, v92
	s_mov_b32 s18, exec_lo
	v_and_b32_e32 v4, 31, v3
	s_delay_alu instid0(VALU_DEP_1)
	v_cmpx_gt_u32_e32 8, v4
	s_cbranch_execz .LBB138_8
; %bb.5:                                ;   in Loop: Header=BB138_3 Depth=1
	v_mov_b32_e32 v5, v2
	v_mov_b64_e32 v[90:91], 0
	s_mov_b32 s33, exec_lo
	s_delay_alu instid0(VALU_DEP_2) | instskip(NEXT) | instid1(VALU_DEP_1)
	v_add_nc_u64_e32 v[4:5], v[88:89], v[4:5]
	v_add_nc_u64_e32 v[4:5], s[20:21], v[4:5]
	s_delay_alu instid0(VALU_DEP_1)
	v_cmpx_gt_i64_e64 s[4:5], v[4:5]
	s_cbranch_execz .LBB138_7
; %bb.6:                                ;   in Loop: Header=BB138_3 Depth=1
	v_lshl_add_u64 v[4:5], v[4:5], 3, s[14:15]
	global_load_b64 v[90:91], v[4:5], off
.LBB138_7:                              ;   in Loop: Header=BB138_3 Depth=1
	s_wait_xcnt 0x0
	s_or_b32 exec_lo, exec_lo, s33
.LBB138_8:                              ;   in Loop: Header=BB138_3 Depth=1
	s_delay_alu instid0(SALU_CYCLE_1)
	s_or_b32 exec_lo, exec_lo, s18
	v_add_nc_u64_e32 v[18:19], s[20:21], v[88:89]
	v_dual_mov_b32 v15, v2 :: v_dual_mov_b32 v16, v2
	v_dual_mov_b32 v17, v2 :: v_dual_mov_b32 v3, v2
	;; [unrolled: 1-line block ×7, first 2 shown]
	v_mov_b32_e32 v14, v2
	v_cmp_gt_i64_e32 vcc_lo, s[4:5], v[18:19]
	v_mov_b64_e32 v[32:33], v[16:17]
	v_mov_b64_e32 v[48:49], v[16:17]
	;; [unrolled: 1-line block ×16, first 2 shown]
	s_and_b32 s33, s2, vcc_lo
	s_delay_alu instid0(SALU_CYCLE_1)
	s_and_saveexec_b32 s18, s33
	s_cbranch_execz .LBB138_10
; %bb.9:                                ;   in Loop: Header=BB138_3 Depth=1
	v_add_nc_u64_e32 v[4:5], v[54:55], v[52:53]
	v_add_nc_u64_e32 v[6:7], v[56:57], v[52:53]
	v_dual_mov_b32 v36, v2 :: v_dual_mov_b32 v37, v2
	v_dual_mov_b32 v38, v2 :: v_dual_mov_b32 v39, v2
	;; [unrolled: 1-line block ×3, first 2 shown]
	global_load_b64 v[34:35], v[4:5], off
	global_load_b64 v[18:19], v[6:7], off
	v_dual_mov_b32 v42, v2 :: v_dual_mov_b32 v43, v2
	v_dual_mov_b32 v44, v2 :: v_dual_mov_b32 v45, v2
	;; [unrolled: 1-line block ×11, first 2 shown]
.LBB138_10:                             ;   in Loop: Header=BB138_3 Depth=1
	s_wait_xcnt 0x0
	s_or_b32 exec_lo, exec_lo, s18
	v_add_nc_u64_e32 v[4:5], s[22:23], v[88:89]
	s_delay_alu instid0(VALU_DEP_1) | instskip(SKIP_1) | instid1(SALU_CYCLE_1)
	v_cmp_gt_i64_e32 vcc_lo, s[4:5], v[4:5]
	s_and_b32 s33, s2, vcc_lo
	s_and_saveexec_b32 s18, s33
	s_cbranch_execz .LBB138_12
; %bb.11:                               ;   in Loop: Header=BB138_3 Depth=1
	v_add_nc_u64_e32 v[4:5], v[82:83], v[52:53]
	v_add_nc_u64_e32 v[6:7], v[84:85], v[52:53]
	global_load_b64 v[36:37], v[4:5], off
	global_load_b64 v[20:21], v[6:7], off
.LBB138_12:                             ;   in Loop: Header=BB138_3 Depth=1
	s_wait_xcnt 0x0
	s_or_b32 exec_lo, exec_lo, s18
	v_add_nc_u64_e32 v[4:5], s[24:25], v[88:89]
	s_delay_alu instid0(VALU_DEP_1) | instskip(SKIP_1) | instid1(SALU_CYCLE_1)
	v_cmp_gt_i64_e32 vcc_lo, s[4:5], v[4:5]
	s_and_b32 s33, s2, vcc_lo
	s_and_saveexec_b32 s18, s33
	s_cbranch_execz .LBB138_14
; %bb.13:                               ;   in Loop: Header=BB138_3 Depth=1
	v_add_nc_u64_e32 v[4:5], v[78:79], v[52:53]
	v_add_nc_u64_e32 v[6:7], v[80:81], v[52:53]
	global_load_b64 v[38:39], v[4:5], off
	global_load_b64 v[22:23], v[6:7], off
.LBB138_14:                             ;   in Loop: Header=BB138_3 Depth=1
	s_wait_xcnt 0x0
	s_or_b32 exec_lo, exec_lo, s18
	v_add_nc_u64_e32 v[4:5], s[26:27], v[88:89]
	s_delay_alu instid0(VALU_DEP_1) | instskip(SKIP_1) | instid1(SALU_CYCLE_1)
	v_cmp_gt_i64_e32 vcc_lo, s[4:5], v[4:5]
	s_and_b32 s33, s2, vcc_lo
	s_and_saveexec_b32 s18, s33
	s_cbranch_execz .LBB138_16
; %bb.15:                               ;   in Loop: Header=BB138_3 Depth=1
	v_add_nc_u64_e32 v[4:5], v[74:75], v[52:53]
	v_add_nc_u64_e32 v[6:7], v[76:77], v[52:53]
	global_load_b64 v[40:41], v[4:5], off
	global_load_b64 v[24:25], v[6:7], off
.LBB138_16:                             ;   in Loop: Header=BB138_3 Depth=1
	s_wait_xcnt 0x0
	s_or_b32 exec_lo, exec_lo, s18
	v_add_nc_u64_e32 v[4:5], s[28:29], v[88:89]
	s_delay_alu instid0(VALU_DEP_1) | instskip(SKIP_1) | instid1(SALU_CYCLE_1)
	v_cmp_gt_i64_e32 vcc_lo, s[4:5], v[4:5]
	s_and_b32 s33, s2, vcc_lo
	s_and_saveexec_b32 s18, s33
	s_cbranch_execz .LBB138_18
; %bb.17:                               ;   in Loop: Header=BB138_3 Depth=1
	v_add_nc_u64_e32 v[4:5], v[70:71], v[52:53]
	v_add_nc_u64_e32 v[6:7], v[72:73], v[52:53]
	global_load_b64 v[42:43], v[4:5], off
	global_load_b64 v[26:27], v[6:7], off
.LBB138_18:                             ;   in Loop: Header=BB138_3 Depth=1
	s_wait_xcnt 0x0
	s_or_b32 exec_lo, exec_lo, s18
	v_add_nc_u64_e32 v[4:5], s[34:35], v[88:89]
	s_delay_alu instid0(VALU_DEP_1) | instskip(SKIP_1) | instid1(SALU_CYCLE_1)
	v_cmp_gt_i64_e32 vcc_lo, s[4:5], v[4:5]
	s_and_b32 s33, s2, vcc_lo
	s_and_saveexec_b32 s18, s33
	s_cbranch_execz .LBB138_20
; %bb.19:                               ;   in Loop: Header=BB138_3 Depth=1
	v_add_nc_u64_e32 v[4:5], v[66:67], v[52:53]
	v_add_nc_u64_e32 v[6:7], v[68:69], v[52:53]
	global_load_b64 v[44:45], v[4:5], off
	global_load_b64 v[28:29], v[6:7], off
.LBB138_20:                             ;   in Loop: Header=BB138_3 Depth=1
	s_wait_xcnt 0x0
	s_or_b32 exec_lo, exec_lo, s18
	v_add_nc_u64_e32 v[4:5], s[36:37], v[88:89]
	s_delay_alu instid0(VALU_DEP_1) | instskip(SKIP_1) | instid1(SALU_CYCLE_1)
	v_cmp_gt_i64_e32 vcc_lo, s[4:5], v[4:5]
	s_and_b32 s33, s2, vcc_lo
	s_and_saveexec_b32 s18, s33
	s_cbranch_execz .LBB138_22
; %bb.21:                               ;   in Loop: Header=BB138_3 Depth=1
	v_add_nc_u64_e32 v[4:5], v[62:63], v[52:53]
	v_add_nc_u64_e32 v[6:7], v[64:65], v[52:53]
	global_load_b64 v[46:47], v[4:5], off
	global_load_b64 v[30:31], v[6:7], off
.LBB138_22:                             ;   in Loop: Header=BB138_3 Depth=1
	s_wait_xcnt 0x0
	s_or_b32 exec_lo, exec_lo, s18
	v_add_nc_u64_e32 v[4:5], s[38:39], v[88:89]
	s_delay_alu instid0(VALU_DEP_1) | instskip(SKIP_1) | instid1(SALU_CYCLE_1)
	v_cmp_gt_i64_e32 vcc_lo, s[4:5], v[4:5]
	s_and_b32 s33, s2, vcc_lo
	s_and_saveexec_b32 s18, s33
	s_cbranch_execz .LBB138_24
; %bb.23:                               ;   in Loop: Header=BB138_3 Depth=1
	v_add_nc_u64_e32 v[4:5], v[58:59], v[52:53]
	v_add_nc_u64_e32 v[6:7], v[60:61], v[52:53]
	global_load_b64 v[48:49], v[4:5], off
	global_load_b64 v[32:33], v[6:7], off
.LBB138_24:                             ;   in Loop: Header=BB138_3 Depth=1
	s_wait_xcnt 0x0
	s_or_b32 exec_lo, exec_lo, s18
	s_wait_loadcnt 0x0
	v_mul_f64_e32 v[4:5], v[18:19], v[34:35]
	ds_bpermute_b32 v6, v2, v90
	ds_bpermute_b32 v7, v2, v91
	v_mul_f64_e32 v[8:9], v[20:21], v[36:37]
	v_mul_f64_e32 v[10:11], v[22:23], v[38:39]
	s_mov_b32 s18, 0
	s_wait_dscnt 0x0
	v_fma_f64 v[4:5], v[4:5], v[6:7], v[86:87]
	ds_bpermute_b32 v6, v2, v90 offset:4
	ds_bpermute_b32 v7, v2, v91 offset:4
	s_wait_dscnt 0x0
	v_fmac_f64_e32 v[4:5], v[8:9], v[6:7]
	ds_bpermute_b32 v6, v2, v90 offset:8
	ds_bpermute_b32 v7, v2, v91 offset:8
	v_mul_f64_e32 v[8:9], v[24:25], v[40:41]
	s_wait_dscnt 0x0
	v_fmac_f64_e32 v[4:5], v[10:11], v[6:7]
	ds_bpermute_b32 v6, v2, v90 offset:12
	ds_bpermute_b32 v7, v2, v91 offset:12
	v_mul_f64_e32 v[10:11], v[26:27], v[42:43]
	;; [unrolled: 5-line block ×3, first 2 shown]
	s_wait_dscnt 0x0
	v_fmac_f64_e32 v[4:5], v[10:11], v[6:7]
	ds_bpermute_b32 v6, v2, v90 offset:20
	ds_bpermute_b32 v7, v2, v91 offset:20
	s_wait_dscnt 0x0
	v_fmac_f64_e32 v[4:5], v[8:9], v[6:7]
	v_mul_f64_e32 v[6:7], v[30:31], v[46:47]
	ds_bpermute_b32 v8, v2, v90 offset:24
	ds_bpermute_b32 v9, v2, v91 offset:24
	s_wait_dscnt 0x0
	v_fmac_f64_e32 v[4:5], v[6:7], v[8:9]
	ds_bpermute_b32 v6, v2, v90 offset:28
	ds_bpermute_b32 v7, v2, v91 offset:28
.LBB138_25:                             ;   in Loop: Header=BB138_3 Depth=1
	s_and_b32 vcc_lo, exec_lo, s18
	s_cbranch_vccz .LBB138_40
; %bb.26:                               ;   in Loop: Header=BB138_3 Depth=1
	s_load_b32 s18, s[40:41], 0x0
	v_mov_b64_e32 v[90:91], 0
	s_wait_kmcnt 0x0
	s_cmp_lt_u32 s12, s18
	s_cselect_b32 s18, 12, 18
	s_delay_alu instid0(SALU_CYCLE_1) | instskip(SKIP_4) | instid1(VALU_DEP_1)
	s_add_nc_u64 s[48:49], s[40:41], s[18:19]
	s_load_u16 s18, s[48:49], 0x0
	s_wait_kmcnt 0x0
	v_mad_u32_u24 v3, v1, s18, v92
	s_mov_b32 s18, exec_lo
	v_and_b32_e32 v4, 31, v3
	s_delay_alu instid0(VALU_DEP_1)
	v_cmpx_gt_u32_e32 8, v4
	s_cbranch_execz .LBB138_30
; %bb.27:                               ;   in Loop: Header=BB138_3 Depth=1
	v_mov_b32_e32 v5, v2
	v_mov_b64_e32 v[90:91], 0
	s_mov_b32 s33, exec_lo
	s_delay_alu instid0(VALU_DEP_2) | instskip(NEXT) | instid1(VALU_DEP_1)
	v_add_nc_u64_e32 v[4:5], v[88:89], v[4:5]
	v_add_nc_u64_e32 v[4:5], s[20:21], v[4:5]
	s_delay_alu instid0(VALU_DEP_1)
	v_cmpx_gt_i64_e64 s[4:5], v[4:5]
	s_cbranch_execz .LBB138_29
; %bb.28:                               ;   in Loop: Header=BB138_3 Depth=1
	v_lshl_add_u64 v[4:5], v[4:5], 3, s[14:15]
	global_load_b64 v[90:91], v[4:5], off
.LBB138_29:                             ;   in Loop: Header=BB138_3 Depth=1
	s_wait_xcnt 0x0
	s_or_b32 exec_lo, exec_lo, s33
.LBB138_30:                             ;   in Loop: Header=BB138_3 Depth=1
	s_delay_alu instid0(SALU_CYCLE_1)
	s_or_b32 exec_lo, exec_lo, s18
	v_dual_mov_b32 v15, v2 :: v_dual_mov_b32 v16, v2
	v_dual_mov_b32 v17, v2 :: v_dual_mov_b32 v3, v2
	;; [unrolled: 1-line block ×3, first 2 shown]
	s_wait_dscnt 0x0
	v_dual_mov_b32 v6, v2 :: v_dual_mov_b32 v7, v2
	v_dual_mov_b32 v8, v2 :: v_dual_mov_b32 v9, v2
	;; [unrolled: 1-line block ×4, first 2 shown]
	v_mov_b32_e32 v14, v2
	v_mov_b64_e32 v[32:33], v[16:17]
	v_mov_b64_e32 v[48:49], v[16:17]
	v_mov_b64_e32 v[26:27], v[10:11]
	v_mov_b64_e32 v[28:29], v[12:13]
	v_mov_b64_e32 v[30:31], v[14:15]
	v_mov_b64_e32 v[24:25], v[8:9]
	v_mov_b64_e32 v[22:23], v[6:7]
	v_mov_b64_e32 v[20:21], v[4:5]
	v_mov_b64_e32 v[18:19], v[2:3]
	v_mov_b64_e32 v[46:47], v[14:15]
	v_mov_b64_e32 v[44:45], v[12:13]
	v_mov_b64_e32 v[42:43], v[10:11]
	v_mov_b64_e32 v[40:41], v[8:9]
	v_mov_b64_e32 v[38:39], v[6:7]
	v_mov_b64_e32 v[36:37], v[4:5]
	v_mov_b64_e32 v[34:35], v[2:3]
	s_and_saveexec_b32 s18, s2
	s_cbranch_execnz .LBB138_42
; %bb.31:                               ;   in Loop: Header=BB138_3 Depth=1
	s_or_b32 exec_lo, exec_lo, s18
	s_and_saveexec_b32 s18, s2
	s_cbranch_execnz .LBB138_43
.LBB138_32:                             ;   in Loop: Header=BB138_3 Depth=1
	s_or_b32 exec_lo, exec_lo, s18
	s_and_saveexec_b32 s18, s2
	s_cbranch_execnz .LBB138_44
.LBB138_33:                             ;   in Loop: Header=BB138_3 Depth=1
	s_or_b32 exec_lo, exec_lo, s18
	s_and_saveexec_b32 s18, s2
	s_cbranch_execnz .LBB138_45
.LBB138_34:                             ;   in Loop: Header=BB138_3 Depth=1
	s_or_b32 exec_lo, exec_lo, s18
	s_and_saveexec_b32 s18, s2
	s_cbranch_execnz .LBB138_46
.LBB138_35:                             ;   in Loop: Header=BB138_3 Depth=1
	s_or_b32 exec_lo, exec_lo, s18
	s_and_saveexec_b32 s18, s2
	s_cbranch_execnz .LBB138_47
.LBB138_36:                             ;   in Loop: Header=BB138_3 Depth=1
	s_or_b32 exec_lo, exec_lo, s18
	s_and_saveexec_b32 s18, s2
	s_cbranch_execnz .LBB138_48
.LBB138_37:                             ;   in Loop: Header=BB138_3 Depth=1
	s_or_b32 exec_lo, exec_lo, s18
	s_and_saveexec_b32 s18, s2
	s_cbranch_execz .LBB138_39
.LBB138_38:                             ;   in Loop: Header=BB138_3 Depth=1
	v_add_nc_u64_e32 v[4:5], v[58:59], v[52:53]
	v_add_nc_u64_e32 v[6:7], v[60:61], v[52:53]
	global_load_b64 v[48:49], v[4:5], off
	global_load_b64 v[32:33], v[6:7], off
.LBB138_39:                             ;   in Loop: Header=BB138_3 Depth=1
	s_wait_xcnt 0x0
	s_or_b32 exec_lo, exec_lo, s18
	s_wait_loadcnt 0x0
	v_mul_f64_e32 v[4:5], v[18:19], v[34:35]
	ds_bpermute_b32 v6, v2, v90
	ds_bpermute_b32 v7, v2, v91
	v_mul_f64_e32 v[8:9], v[20:21], v[36:37]
	s_wait_dscnt 0x0
	v_fmac_f64_e32 v[86:87], v[4:5], v[6:7]
	ds_bpermute_b32 v4, v2, v90 offset:4
	ds_bpermute_b32 v5, v2, v91 offset:4
	v_mul_f64_e32 v[6:7], v[22:23], v[38:39]
	s_wait_dscnt 0x0
	v_fmac_f64_e32 v[86:87], v[8:9], v[4:5]
	ds_bpermute_b32 v4, v2, v90 offset:8
	ds_bpermute_b32 v5, v2, v91 offset:8
	;; [unrolled: 5-line block ×5, first 2 shown]
	ds_bpermute_b32 v6, v2, v90 offset:24
	ds_bpermute_b32 v7, v2, v91 offset:24
	s_wait_dscnt 0x2
	v_fmac_f64_e32 v[86:87], v[8:9], v[4:5]
	v_mul_f64_e32 v[4:5], v[30:31], v[46:47]
	s_wait_dscnt 0x0
	s_delay_alu instid0(VALU_DEP_1)
	v_fmac_f64_e32 v[86:87], v[4:5], v[6:7]
	ds_bpermute_b32 v6, v2, v90 offset:28
	ds_bpermute_b32 v7, v2, v91 offset:28
	v_mov_b64_e32 v[4:5], v[86:87]
.LBB138_40:                             ;   in Loop: Header=BB138_3 Depth=1
	v_mul_f64_e32 v[8:9], v[48:49], v[32:33]
	s_add_nc_u64 s[46:47], s[46:47], s[30:31]
	v_add_nc_u64_e32 v[54:55], s[42:43], v[54:55]
	v_cmp_lt_i64_e64 s18, s[46:47], s[4:5]
	v_add_nc_u64_e32 v[56:57], s[42:43], v[56:57]
	v_add_nc_u64_e32 v[58:59], s[42:43], v[58:59]
	;; [unrolled: 1-line block ×15, first 2 shown]
	s_and_b32 vcc_lo, exec_lo, s18
	s_add_nc_u64 s[44:45], s[44:45], s[30:31]
	s_wait_dscnt 0x0
	v_fmac_f64_e32 v[4:5], v[8:9], v[6:7]
	s_cbranch_vccz .LBB138_50
; %bb.41:                               ;   in Loop: Header=BB138_3 Depth=1
	s_delay_alu instid0(VALU_DEP_1)
	v_mov_b64_e32 v[86:87], v[4:5]
	s_branch .LBB138_3
.LBB138_42:                             ;   in Loop: Header=BB138_3 Depth=1
	v_add_nc_u64_e32 v[4:5], v[54:55], v[52:53]
	v_add_nc_u64_e32 v[6:7], v[56:57], v[52:53]
	v_dual_mov_b32 v36, v2 :: v_dual_mov_b32 v37, v2
	v_dual_mov_b32 v38, v2 :: v_dual_mov_b32 v39, v2
	v_dual_mov_b32 v40, v2 :: v_dual_mov_b32 v41, v2
	global_load_b64 v[34:35], v[4:5], off
	global_load_b64 v[18:19], v[6:7], off
	v_dual_mov_b32 v42, v2 :: v_dual_mov_b32 v43, v2
	v_dual_mov_b32 v44, v2 :: v_dual_mov_b32 v45, v2
	;; [unrolled: 1-line block ×11, first 2 shown]
	s_wait_xcnt 0x0
	s_or_b32 exec_lo, exec_lo, s18
	s_and_saveexec_b32 s18, s2
	s_cbranch_execz .LBB138_32
.LBB138_43:                             ;   in Loop: Header=BB138_3 Depth=1
	v_add_nc_u64_e32 v[4:5], v[82:83], v[52:53]
	v_add_nc_u64_e32 v[6:7], v[84:85], v[52:53]
	global_load_b64 v[36:37], v[4:5], off
	global_load_b64 v[20:21], v[6:7], off
	s_wait_xcnt 0x0
	s_or_b32 exec_lo, exec_lo, s18
	s_and_saveexec_b32 s18, s2
	s_cbranch_execz .LBB138_33
.LBB138_44:                             ;   in Loop: Header=BB138_3 Depth=1
	v_add_nc_u64_e32 v[4:5], v[78:79], v[52:53]
	v_add_nc_u64_e32 v[6:7], v[80:81], v[52:53]
	global_load_b64 v[38:39], v[4:5], off
	global_load_b64 v[22:23], v[6:7], off
	s_wait_xcnt 0x0
	s_or_b32 exec_lo, exec_lo, s18
	s_and_saveexec_b32 s18, s2
	s_cbranch_execz .LBB138_34
.LBB138_45:                             ;   in Loop: Header=BB138_3 Depth=1
	v_add_nc_u64_e32 v[4:5], v[74:75], v[52:53]
	v_add_nc_u64_e32 v[6:7], v[76:77], v[52:53]
	global_load_b64 v[40:41], v[4:5], off
	global_load_b64 v[24:25], v[6:7], off
	s_wait_xcnt 0x0
	s_or_b32 exec_lo, exec_lo, s18
	s_and_saveexec_b32 s18, s2
	s_cbranch_execz .LBB138_35
.LBB138_46:                             ;   in Loop: Header=BB138_3 Depth=1
	v_add_nc_u64_e32 v[4:5], v[70:71], v[52:53]
	v_add_nc_u64_e32 v[6:7], v[72:73], v[52:53]
	global_load_b64 v[42:43], v[4:5], off
	global_load_b64 v[26:27], v[6:7], off
	s_wait_xcnt 0x0
	s_or_b32 exec_lo, exec_lo, s18
	s_and_saveexec_b32 s18, s2
	s_cbranch_execz .LBB138_36
.LBB138_47:                             ;   in Loop: Header=BB138_3 Depth=1
	v_add_nc_u64_e32 v[4:5], v[66:67], v[52:53]
	v_add_nc_u64_e32 v[6:7], v[68:69], v[52:53]
	global_load_b64 v[44:45], v[4:5], off
	global_load_b64 v[28:29], v[6:7], off
	s_wait_xcnt 0x0
	s_or_b32 exec_lo, exec_lo, s18
	s_and_saveexec_b32 s18, s2
	s_cbranch_execz .LBB138_37
.LBB138_48:                             ;   in Loop: Header=BB138_3 Depth=1
	v_add_nc_u64_e32 v[4:5], v[62:63], v[52:53]
	v_add_nc_u64_e32 v[6:7], v[64:65], v[52:53]
	global_load_b64 v[46:47], v[4:5], off
	global_load_b64 v[30:31], v[6:7], off
	s_wait_xcnt 0x0
	s_or_b32 exec_lo, exec_lo, s18
	s_and_saveexec_b32 s18, s2
	s_cbranch_execnz .LBB138_38
	s_branch .LBB138_39
.LBB138_49:
                                        ; implicit-def: $vgpr4_vgpr5
	s_branch .LBB138_51
.LBB138_50:
	s_cbranch_execnz .LBB138_83
.LBB138_51:
	v_mov_b64_e32 v[4:5], 0
	s_and_not1_b32 vcc_lo, exec_lo, s13
	s_cbranch_vccnz .LBB138_83
; %bb.52:
	v_bfe_u32 v1, v0, 10, 10
	v_mov_b32_e32 v2, 0
	v_and_b32_e32 v120, 0x3ff, v0
	s_load_b32 s2, s[0:1], 0x44
	v_mov_b64_e32 v[114:115], 0
	s_delay_alu instid0(VALU_DEP_3) | instskip(SKIP_3) | instid1(VALU_DEP_2)
	v_dual_mov_b32 v5, v2 :: v_dual_lshlrev_b32 v4, 6, v1
	v_dual_mov_b32 v51, v2 :: v_dual_lshlrev_b32 v50, 3, v1
	s_mov_b64 s[20:21], 0xffffffffffffff03
	s_mov_b64 s[22:23], 0xffffffffffffff04
	v_lshl_add_u64 v[8:9], s[16:17], 3, v[4:5]
	s_mov_b64 s[24:25], 0xffffffffffffff05
	s_mov_b64 s[26:27], 0xffffffffffffff06
	;; [unrolled: 1-line block ×4, first 2 shown]
	v_add_nc_u64_e32 v[10:11], 8, v[8:9]
	v_add_nc_u64_e32 v[12:13], 16, v[8:9]
	;; [unrolled: 1-line block ×7, first 2 shown]
	v_mad_nc_u64_u32 v[52:53], s6, v10, s[8:9]
	v_mul_lo_u32 v3, s6, v11
	v_mul_lo_u32 v20, s7, v10
	v_mad_nc_u64_u32 v[62:63], s6, v10, s[10:11]
	v_mad_nc_u64_u32 v[56:57], s6, v14, s[8:9]
	v_mul_lo_u32 v26, s6, v15
	v_mad_nc_u64_u32 v[72:73], s6, v8, s[8:9]
	v_mul_lo_u32 v33, s7, v8
	v_mad_nc_u64_u32 v[78:79], s6, v8, s[10:11]
	v_add_nc_u32_e32 v8, s3, v120
	v_add_nc_u64_e32 v[4:5], s[16:17], v[50:51]
	v_mul_lo_u32 v27, s7, v14
	v_mad_nc_u64_u32 v[66:67], s6, v14, s[10:11]
	v_mad_nc_u64_u32 v[54:55], s6, v12, s[8:9]
	v_mul_lo_u32 v24, s6, v13
	v_mul_lo_u32 v25, s7, v12
	v_mad_nc_u64_u32 v[58:59], s6, v16, s[8:9]
	v_add_nc_u64_e32 v[10:11], 7, v[4:5]
	v_add_nc_u64_e32 v[14:15], 6, v[4:5]
	v_mul_lo_u32 v28, s6, v17
	v_mul_lo_u32 v29, s7, v16
	v_mad_nc_u64_u32 v[64:65], s6, v12, s[10:11]
	v_add3_u32 v53, v20, v53, v3
	v_mul_u64_e32 v[12:13], s[6:7], v[4:5]
	v_mul_u64_e32 v[10:11], s[6:7], v[10:11]
	v_add3_u32 v63, v20, v63, v3
	v_add_nc_u64_e32 v[20:21], 5, v[4:5]
	v_add_nc_u64_e32 v[22:23], 4, v[4:5]
	v_mad_nc_u64_u32 v[70:71], s6, v16, s[10:11]
	v_mul_u64_e32 v[14:15], s[6:7], v[14:15]
	v_add_nc_u64_e32 v[16:17], 3, v[4:5]
	v_add_nc_u64_e32 v[4:5], 2, v[4:5]
	v_mad_nc_u64_u32 v[60:61], s6, v6, s[8:9]
	v_mul_lo_u32 v30, s6, v7
	v_mul_lo_u32 v31, s7, v6
	v_mul_u64_e32 v[20:21], s[6:7], v[20:21]
	v_mul_u64_e32 v[22:23], s[6:7], v[22:23]
	v_mad_nc_u64_u32 v[74:75], s6, v6, s[10:11]
	v_mul_u64_e32 v[6:7], s[6:7], v[16:17]
	v_mul_u64_e32 v[4:5], s[6:7], v[4:5]
	v_mul_lo_u32 v3, s6, v9
	v_mov_b32_e32 v9, v2
	v_mad_nc_u64_u32 v[68:69], s6, v18, s[8:9]
	v_mul_lo_u32 v19, s6, v19
	v_mul_lo_u32 v32, s7, v18
	v_mad_nc_u64_u32 v[76:77], s6, v18, s[10:11]
	v_lshlrev_b64_e32 v[80:81], 3, v[8:9]
	s_mov_b32 s3, 0
	s_wait_kmcnt 0x0
	s_lshl_b32 s18, s2, 8
	s_mov_b32 s19, s3
	v_add3_u32 v55, v25, v55, v24
	v_add3_u32 v57, v27, v57, v26
	;; [unrolled: 1-line block ×5, first 2 shown]
	v_lshlrev_b64_e32 v[16:17], 3, v[12:13]
	v_lshlrev_b64_e32 v[10:11], 3, v[10:11]
	v_add_nc_u64_e32 v[12:13], s[6:7], v[12:13]
	v_add3_u32 v71, v29, v71, v28
	v_add3_u32 v61, v31, v61, v30
	;; [unrolled: 1-line block ×3, first 2 shown]
	v_lshlrev_b64_e32 v[8:9], 3, v[14:15]
	v_add_nc_u64_e32 v[82:83], s[8:9], v[16:17]
	v_add_nc_u64_e32 v[86:87], s[8:9], v[10:11]
	;; [unrolled: 1-line block ×4, first 2 shown]
	v_add3_u32 v69, v32, v69, v19
	v_lshlrev_b64_e32 v[10:11], 3, v[20:21]
	v_lshlrev_b64_e32 v[14:15], 3, v[22:23]
	v_add_nc_u64_e32 v[90:91], s[8:9], v[8:9]
	v_add_nc_u64_e32 v[92:93], s[10:11], v[8:9]
	v_lshlrev_b64_e32 v[6:7], 3, v[6:7]
	v_lshlrev_b64_e32 v[4:5], 3, v[4:5]
	;; [unrolled: 1-line block ×3, first 2 shown]
	v_add_nc_u64_e32 v[94:95], s[8:9], v[10:11]
	v_add_nc_u64_e32 v[96:97], s[10:11], v[10:11]
	;; [unrolled: 1-line block ×10, first 2 shown]
	v_add3_u32 v73, v33, v73, v3
	v_add3_u32 v77, v32, v77, v19
	v_add3_u32 v79, v33, v79, v3
	s_mul_u64 s[36:37], s[6:7], s[18:19]
	s_mov_b64 s[8:9], 0xffffffffffffff01
	s_mov_b64 s[10:11], 0xffffffffffffff02
	s_add_nc_u64 s[34:35], s[0:1], 64
	s_lshl_b64 s[36:37], s[36:37], 3
	s_add_nc_u64 s[38:39], s[16:17], 0xff
.LBB138_53:                             ; =>This Inner Loop Header: Depth=1
	s_delay_alu instid0(SALU_CYCLE_1)
	v_cmp_ge_i64_e64 s2, s[38:39], s[4:5]
	v_add_nc_u64_e32 v[116:117], s[38:39], v[50:51]
                                        ; implicit-def: $vgpr4_vgpr5
	s_and_b32 vcc_lo, exec_lo, s2
	s_mov_b32 s2, -1
	s_cbranch_vccz .LBB138_75
; %bb.54:                               ;   in Loop: Header=BB138_53 Depth=1
	s_load_b32 s2, s[34:35], 0xc
	v_mov_b64_e32 v[118:119], 0
	s_wait_kmcnt 0x0
	s_and_b32 s2, s2, 0xffff
	s_delay_alu instid0(SALU_CYCLE_1) | instskip(SKIP_1) | instid1(VALU_DEP_1)
	v_mad_u32_u24 v3, v1, s2, v120
	s_mov_b32 s2, exec_lo
	v_and_b32_e32 v4, 31, v3
	s_delay_alu instid0(VALU_DEP_1)
	v_cmpx_gt_u32_e32 8, v4
	s_cbranch_execz .LBB138_58
; %bb.55:                               ;   in Loop: Header=BB138_53 Depth=1
	v_mov_b32_e32 v5, v2
	v_mov_b64_e32 v[118:119], 0
	s_mov_b32 s13, exec_lo
	s_delay_alu instid0(VALU_DEP_2) | instskip(NEXT) | instid1(VALU_DEP_1)
	v_add_nc_u64_e32 v[4:5], v[116:117], v[4:5]
	v_add_nc_u64_e32 v[4:5], s[8:9], v[4:5]
	s_delay_alu instid0(VALU_DEP_1)
	v_cmpx_gt_i64_e64 s[4:5], v[4:5]
	s_cbranch_execz .LBB138_57
; %bb.56:                               ;   in Loop: Header=BB138_53 Depth=1
	v_lshl_add_u64 v[4:5], v[4:5], 3, s[14:15]
	global_load_b64 v[118:119], v[4:5], off
.LBB138_57:                             ;   in Loop: Header=BB138_53 Depth=1
	s_wait_xcnt 0x0
	s_or_b32 exec_lo, exec_lo, s13
.LBB138_58:                             ;   in Loop: Header=BB138_53 Depth=1
	s_delay_alu instid0(SALU_CYCLE_1)
	s_or_b32 exec_lo, exec_lo, s2
	v_add_nc_u64_e32 v[18:19], s[8:9], v[116:117]
	v_dual_mov_b32 v15, v2 :: v_dual_mov_b32 v16, v2
	v_dual_mov_b32 v17, v2 :: v_dual_mov_b32 v3, v2
	v_dual_mov_b32 v4, v2 :: v_dual_mov_b32 v5, v2
	v_dual_mov_b32 v6, v2 :: v_dual_mov_b32 v7, v2
	v_dual_mov_b32 v8, v2 :: v_dual_mov_b32 v9, v2
	v_dual_mov_b32 v10, v2 :: v_dual_mov_b32 v11, v2
	v_dual_mov_b32 v12, v2 :: v_dual_mov_b32 v13, v2
	v_mov_b32_e32 v14, v2
	v_cmp_gt_i64_e32 vcc_lo, s[4:5], v[18:19]
	v_mov_b64_e32 v[32:33], v[16:17]
	v_mov_b64_e32 v[48:49], v[16:17]
	;; [unrolled: 1-line block ×16, first 2 shown]
	s_and_saveexec_b32 s2, vcc_lo
	s_cbranch_execz .LBB138_60
; %bb.59:                               ;   in Loop: Header=BB138_53 Depth=1
	v_add_nc_u64_e32 v[4:5], v[82:83], v[80:81]
	v_add_nc_u64_e32 v[6:7], v[84:85], v[80:81]
	v_dual_mov_b32 v36, v2 :: v_dual_mov_b32 v37, v2
	v_dual_mov_b32 v38, v2 :: v_dual_mov_b32 v39, v2
	;; [unrolled: 1-line block ×3, first 2 shown]
	global_load_b64 v[34:35], v[4:5], off
	global_load_b64 v[18:19], v[6:7], off
	v_dual_mov_b32 v42, v2 :: v_dual_mov_b32 v43, v2
	v_dual_mov_b32 v44, v2 :: v_dual_mov_b32 v45, v2
	;; [unrolled: 1-line block ×11, first 2 shown]
.LBB138_60:                             ;   in Loop: Header=BB138_53 Depth=1
	s_wait_xcnt 0x0
	s_or_b32 exec_lo, exec_lo, s2
	v_add_nc_u64_e32 v[4:5], s[10:11], v[116:117]
	s_mov_b32 s2, exec_lo
	s_delay_alu instid0(VALU_DEP_1)
	v_cmpx_gt_i64_e64 s[4:5], v[4:5]
	s_cbranch_execz .LBB138_62
; %bb.61:                               ;   in Loop: Header=BB138_53 Depth=1
	v_add_nc_u64_e32 v[4:5], v[110:111], v[80:81]
	v_add_nc_u64_e32 v[6:7], v[112:113], v[80:81]
	global_load_b64 v[36:37], v[4:5], off
	global_load_b64 v[20:21], v[6:7], off
.LBB138_62:                             ;   in Loop: Header=BB138_53 Depth=1
	s_wait_xcnt 0x0
	s_or_b32 exec_lo, exec_lo, s2
	v_add_nc_u64_e32 v[4:5], s[20:21], v[116:117]
	s_mov_b32 s2, exec_lo
	s_delay_alu instid0(VALU_DEP_1)
	v_cmpx_gt_i64_e64 s[4:5], v[4:5]
	s_cbranch_execz .LBB138_64
; %bb.63:                               ;   in Loop: Header=BB138_53 Depth=1
	v_add_nc_u64_e32 v[4:5], v[106:107], v[80:81]
	v_add_nc_u64_e32 v[6:7], v[108:109], v[80:81]
	global_load_b64 v[38:39], v[4:5], off
	global_load_b64 v[22:23], v[6:7], off
.LBB138_64:                             ;   in Loop: Header=BB138_53 Depth=1
	;; [unrolled: 13-line block ×7, first 2 shown]
	s_wait_xcnt 0x0
	s_or_b32 exec_lo, exec_lo, s2
	s_wait_loadcnt 0x0
	v_mul_f64_e32 v[4:5], v[18:19], v[34:35]
	ds_bpermute_b32 v6, v2, v118
	ds_bpermute_b32 v7, v2, v119
	v_mul_f64_e32 v[8:9], v[20:21], v[36:37]
	v_mul_f64_e32 v[10:11], v[22:23], v[38:39]
	s_mov_b32 s2, 0
	s_wait_dscnt 0x0
	v_fma_f64 v[4:5], v[4:5], v[6:7], v[114:115]
	ds_bpermute_b32 v6, v2, v118 offset:4
	ds_bpermute_b32 v7, v2, v119 offset:4
	s_wait_dscnt 0x0
	v_fmac_f64_e32 v[4:5], v[8:9], v[6:7]
	ds_bpermute_b32 v6, v2, v118 offset:8
	ds_bpermute_b32 v7, v2, v119 offset:8
	v_mul_f64_e32 v[8:9], v[24:25], v[40:41]
	s_wait_dscnt 0x0
	v_fmac_f64_e32 v[4:5], v[10:11], v[6:7]
	ds_bpermute_b32 v6, v2, v118 offset:12
	ds_bpermute_b32 v7, v2, v119 offset:12
	v_mul_f64_e32 v[10:11], v[26:27], v[42:43]
	;; [unrolled: 5-line block ×4, first 2 shown]
	s_wait_dscnt 0x0
	v_fmac_f64_e32 v[4:5], v[8:9], v[6:7]
	ds_bpermute_b32 v6, v2, v118 offset:24
	ds_bpermute_b32 v7, v2, v119 offset:24
	ds_bpermute_b32 v8, v2, v118 offset:28
	ds_bpermute_b32 v9, v2, v119 offset:28
	s_wait_dscnt 0x2
	v_fmac_f64_e32 v[4:5], v[10:11], v[6:7]
	v_mul_f64_e32 v[6:7], v[32:33], v[48:49]
	s_wait_dscnt 0x0
	s_delay_alu instid0(VALU_DEP_1)
	v_fmac_f64_e32 v[4:5], v[6:7], v[8:9]
.LBB138_75:                             ;   in Loop: Header=BB138_53 Depth=1
	s_and_b32 vcc_lo, exec_lo, s2
	s_cbranch_vccz .LBB138_81
; %bb.76:                               ;   in Loop: Header=BB138_53 Depth=1
	s_load_b32 s2, s[34:35], 0x0
	v_mov_b64_e32 v[4:5], 0
	s_wait_kmcnt 0x0
	s_cmp_lt_u32 s12, s2
	s_cselect_b32 s2, 12, 18
	s_delay_alu instid0(SALU_CYCLE_1) | instskip(SKIP_4) | instid1(VALU_DEP_1)
	s_add_nc_u64 s[40:41], s[34:35], s[2:3]
	s_load_u16 s2, s[40:41], 0x0
	s_wait_kmcnt 0x0
	v_mad_u32_u24 v3, v1, s2, v120
	s_mov_b32 s2, exec_lo
	v_and_b32_e32 v6, 31, v3
	s_delay_alu instid0(VALU_DEP_1)
	v_cmpx_gt_u32_e32 8, v6
	s_cbranch_execz .LBB138_80
; %bb.77:                               ;   in Loop: Header=BB138_53 Depth=1
	v_mov_b32_e32 v7, v2
	s_mov_b32 s13, exec_lo
	s_delay_alu instid0(VALU_DEP_1) | instskip(NEXT) | instid1(VALU_DEP_1)
	v_add_nc_u64_e32 v[4:5], v[116:117], v[6:7]
	v_add_nc_u64_e32 v[6:7], s[8:9], v[4:5]
	v_mov_b64_e32 v[4:5], 0
	s_delay_alu instid0(VALU_DEP_2)
	v_cmpx_gt_i64_e64 s[4:5], v[6:7]
	s_cbranch_execz .LBB138_79
; %bb.78:                               ;   in Loop: Header=BB138_53 Depth=1
	v_lshl_add_u64 v[4:5], v[6:7], 3, s[14:15]
	global_load_b64 v[4:5], v[4:5], off
.LBB138_79:                             ;   in Loop: Header=BB138_53 Depth=1
	s_wait_xcnt 0x0
	s_or_b32 exec_lo, exec_lo, s13
.LBB138_80:                             ;   in Loop: Header=BB138_53 Depth=1
	s_delay_alu instid0(SALU_CYCLE_1)
	s_or_b32 exec_lo, exec_lo, s2
	v_add_nc_u64_e32 v[6:7], v[82:83], v[80:81]
	v_add_nc_u64_e32 v[8:9], v[84:85], v[80:81]
	;; [unrolled: 1-line block ×7, first 2 shown]
	global_load_b64 v[6:7], v[6:7], off
	global_load_b64 v[8:9], v[8:9], off
	;; [unrolled: 1-line block ×6, first 2 shown]
	v_add_nc_u64_e32 v[20:21], v[66:67], v[80:81]
	global_load_b64 v[18:19], v[18:19], off
	global_load_b64 v[20:21], v[20:21], off
	v_add_nc_u64_e32 v[22:23], v[58:59], v[80:81]
	v_add_nc_u64_e32 v[24:25], v[70:71], v[80:81]
	global_load_b64 v[22:23], v[22:23], off
	global_load_b64 v[24:25], v[24:25], off
	v_add_nc_u64_e32 v[26:27], v[60:61], v[80:81]
	v_add_nc_u64_e32 v[28:29], v[74:75], v[80:81]
	global_load_b64 v[26:27], v[26:27], off
	global_load_b64 v[28:29], v[28:29], off
	v_add_nc_u64_e32 v[30:31], v[68:69], v[80:81]
	v_add_nc_u64_e32 v[32:33], v[76:77], v[80:81]
	global_load_b64 v[30:31], v[30:31], off
	global_load_b64 v[32:33], v[32:33], off
	v_add_nc_u64_e32 v[34:35], v[72:73], v[80:81]
	v_add_nc_u64_e32 v[36:37], v[78:79], v[80:81]
	global_load_b64 v[34:35], v[34:35], off
	global_load_b64 v[36:37], v[36:37], off
	s_wait_loadcnt 0xe
	s_wait_xcnt 0xf
	v_mul_f64_e32 v[6:7], v[6:7], v[8:9]
	ds_bpermute_b32 v8, v2, v4
	ds_bpermute_b32 v9, v2, v5
	s_wait_loadcnt 0xc
	s_wait_xcnt 0xd
	v_mul_f64_e32 v[10:11], v[10:11], v[12:13]
	s_wait_dscnt 0x0
	v_fmac_f64_e32 v[114:115], v[6:7], v[8:9]
	ds_bpermute_b32 v6, v2, v4 offset:4
	ds_bpermute_b32 v7, v2, v5 offset:4
	s_wait_loadcnt 0xa
	v_mul_f64_e32 v[8:9], v[14:15], v[16:17]
	s_wait_dscnt 0x0
	v_fmac_f64_e32 v[114:115], v[10:11], v[6:7]
	ds_bpermute_b32 v6, v2, v4 offset:8
	ds_bpermute_b32 v7, v2, v5 offset:8
	s_wait_loadcnt 0x8
	;; [unrolled: 6-line block ×5, first 2 shown]
	v_mul_f64_e32 v[8:9], v[30:31], v[32:33]
	s_wait_dscnt 0x0
	v_fmac_f64_e32 v[114:115], v[10:11], v[6:7]
	ds_bpermute_b32 v6, v2, v4 offset:24
	ds_bpermute_b32 v7, v2, v5 offset:24
	;; [unrolled: 1-line block ×4, first 2 shown]
	s_wait_dscnt 0x2
	v_fmac_f64_e32 v[114:115], v[8:9], v[6:7]
	s_wait_loadcnt 0x0
	v_mul_f64_e32 v[6:7], v[34:35], v[36:37]
	s_wait_dscnt 0x0
	s_delay_alu instid0(VALU_DEP_1) | instskip(NEXT) | instid1(VALU_DEP_1)
	v_fmac_f64_e32 v[114:115], v[6:7], v[4:5]
	v_mov_b64_e32 v[4:5], v[114:115]
.LBB138_81:                             ;   in Loop: Header=BB138_53 Depth=1
	s_add_nc_u64 s[16:17], s[16:17], s[18:19]
	v_add_nc_u64_e32 v[82:83], s[36:37], v[82:83]
	v_cmp_ge_i64_e64 s2, s[16:17], s[4:5]
	v_add_nc_u64_e32 v[84:85], s[36:37], v[84:85]
	v_add_nc_u64_e32 v[52:53], s[36:37], v[52:53]
	;; [unrolled: 1-line block ×29, first 2 shown]
	s_and_b32 vcc_lo, exec_lo, s2
	s_add_nc_u64 s[38:39], s[38:39], s[18:19]
	s_cbranch_vccnz .LBB138_83
; %bb.82:                               ;   in Loop: Header=BB138_53 Depth=1
	v_mov_b64_e32 v[114:115], v[4:5]
	s_branch .LBB138_53
.LBB138_83:
	v_and_b32_e32 v6, 0x3ff, v0
	v_bfe_u32 v2, v0, 10, 10
	v_bfe_u32 v3, v0, 5, 5
	v_mov_b64_e32 v[0:1], 0
	s_mov_b32 s13, 0
	s_mov_b32 s2, exec_lo
	v_mad_u32_u24 v8, v2, 33, v6
	v_add_nc_u32_e32 v7, v3, v2
	s_delay_alu instid0(VALU_DEP_2)
	v_lshl_add_u32 v2, v8, 3, 0
	ds_store_b64 v2, v[4:5]
	ds_store_b64 v2, v[0:1] offset:8448
	s_wait_dscnt 0x0
	s_barrier_signal -1
	s_barrier_wait -1
	v_cmpx_gt_u32_e32 32, v7
	s_cbranch_execz .LBB138_86
; %bb.84:
	v_dual_lshlrev_b32 v1, 3, v7 :: v_dual_bitop2_b32 v0, 31, v6 bitop3:0x40
	v_mbcnt_lo_u32_b32 v4, -1, 0
	s_load_b64 s[2:3], s[0:1], 0x30
	s_wait_xcnt 0x0
	s_lshl_b64 s[0:1], s[12:13], 5
	v_mul_u32_u24_e32 v0, 0x108, v0
	v_dual_mov_b32 v5, s1 :: v_dual_bitop2_b32 v2, 16, v4 bitop3:0x14
	s_delay_alu instid0(VALU_DEP_2) | instskip(NEXT) | instid1(VALU_DEP_2)
	v_add3_u32 v0, 0, v1, v0
	v_cmp_gt_i32_e32 vcc_lo, 32, v2
	ds_load_b64 v[0:1], v0
	v_cndmask_b32_e32 v2, v4, v2, vcc_lo
	s_delay_alu instid0(VALU_DEP_1)
	v_lshlrev_b32_e32 v3, 2, v2
	s_wait_kmcnt 0x0
	s_cmp_lg_u64 s[2:3], 0
	s_cselect_b32 s1, -1, 0
	s_wait_dscnt 0x0
	ds_bpermute_b32 v2, v3, v0
	ds_bpermute_b32 v3, v3, v1
	s_wait_dscnt 0x0
	v_dual_add_f64 v[0:1], v[0:1], v[2:3] :: v_dual_bitop2_b32 v2, 8, v4 bitop3:0x14
	s_delay_alu instid0(VALU_DEP_1) | instskip(SKIP_1) | instid1(VALU_DEP_1)
	v_cmp_gt_i32_e32 vcc_lo, 32, v2
	v_cndmask_b32_e32 v2, v4, v2, vcc_lo
	v_lshlrev_b32_e32 v3, 2, v2
	ds_bpermute_b32 v2, v3, v0
	ds_bpermute_b32 v3, v3, v1
	s_wait_dscnt 0x0
	v_dual_add_f64 v[0:1], v[0:1], v[2:3] :: v_dual_bitop2_b32 v2, 4, v4 bitop3:0x14
	s_delay_alu instid0(VALU_DEP_1) | instskip(SKIP_1) | instid1(VALU_DEP_1)
	v_cmp_gt_i32_e32 vcc_lo, 32, v2
	v_cndmask_b32_e32 v2, v4, v2, vcc_lo
	v_lshlrev_b32_e32 v3, 2, v2
	;; [unrolled: 8-line block ×3, first 2 shown]
	ds_bpermute_b32 v2, v3, v0
	ds_bpermute_b32 v3, v3, v1
	s_wait_dscnt 0x0
	v_dual_add_f64 v[0:1], v[0:1], v[2:3] :: v_dual_bitop2_b32 v2, 1, v4 bitop3:0x14
	s_delay_alu instid0(VALU_DEP_1) | instskip(SKIP_2) | instid1(VALU_DEP_2)
	v_cmp_gt_i32_e32 vcc_lo, 32, v2
	v_dual_cndmask_b32 v2, v4, v2, vcc_lo :: v_dual_bitop2_b32 v4, s0, v7 bitop3:0x54
	v_cmp_eq_u32_e64 s0, 0, v6
	v_lshlrev_b32_e32 v3, 2, v2
	s_delay_alu instid0(VALU_DEP_3) | instskip(SKIP_1) | instid1(SALU_CYCLE_1)
	v_cmp_gt_i64_e32 vcc_lo, s[6:7], v[4:5]
	s_and_b32 s0, s0, vcc_lo
	s_and_b32 s0, s1, s0
	ds_bpermute_b32 v2, v3, v0
	ds_bpermute_b32 v3, v3, v1
	s_and_b32 exec_lo, exec_lo, s0
	s_cbranch_execz .LBB138_86
; %bb.85:
	s_wait_dscnt 0x0
	v_add_f64_e32 v[0:1], v[0:1], v[2:3]
	v_lshl_add_u64 v[2:3], v[4:5], 3, s[2:3]
	global_store_b64 v[2:3], v[0:1], off
.LBB138_86:
	s_sendmsg sendmsg(MSG_DEALLOC_VGPRS)
	s_endpgm
	.section	.rodata,"a",@progbits
	.p2align	6, 0x0
	.amdhsa_kernel _ZN2at6native12_GLOBAL__N_135GammaBetaBackwardCUDAKernelTemplateIddLj32ELj32ELj256ELb0ELb0ELb1EEEvllPKT_S5_PKT0_S8_PS3_S9_
		.amdhsa_group_segment_fixed_size 0
		.amdhsa_private_segment_fixed_size 0
		.amdhsa_kernarg_size 320
		.amdhsa_user_sgpr_count 2
		.amdhsa_user_sgpr_dispatch_ptr 0
		.amdhsa_user_sgpr_queue_ptr 0
		.amdhsa_user_sgpr_kernarg_segment_ptr 1
		.amdhsa_user_sgpr_dispatch_id 0
		.amdhsa_user_sgpr_kernarg_preload_length 0
		.amdhsa_user_sgpr_kernarg_preload_offset 0
		.amdhsa_user_sgpr_private_segment_size 0
		.amdhsa_wavefront_size32 1
		.amdhsa_uses_dynamic_stack 0
		.amdhsa_enable_private_segment 0
		.amdhsa_system_sgpr_workgroup_id_x 1
		.amdhsa_system_sgpr_workgroup_id_y 1
		.amdhsa_system_sgpr_workgroup_id_z 0
		.amdhsa_system_sgpr_workgroup_info 0
		.amdhsa_system_vgpr_workitem_id 1
		.amdhsa_next_free_vgpr 121
		.amdhsa_next_free_sgpr 50
		.amdhsa_named_barrier_count 0
		.amdhsa_reserve_vcc 1
		.amdhsa_float_round_mode_32 0
		.amdhsa_float_round_mode_16_64 0
		.amdhsa_float_denorm_mode_32 3
		.amdhsa_float_denorm_mode_16_64 3
		.amdhsa_fp16_overflow 0
		.amdhsa_memory_ordered 1
		.amdhsa_forward_progress 1
		.amdhsa_inst_pref_size 47
		.amdhsa_round_robin_scheduling 0
		.amdhsa_exception_fp_ieee_invalid_op 0
		.amdhsa_exception_fp_denorm_src 0
		.amdhsa_exception_fp_ieee_div_zero 0
		.amdhsa_exception_fp_ieee_overflow 0
		.amdhsa_exception_fp_ieee_underflow 0
		.amdhsa_exception_fp_ieee_inexact 0
		.amdhsa_exception_int_div_zero 0
	.end_amdhsa_kernel
	.section	.text._ZN2at6native12_GLOBAL__N_135GammaBetaBackwardCUDAKernelTemplateIddLj32ELj32ELj256ELb0ELb0ELb1EEEvllPKT_S5_PKT0_S8_PS3_S9_,"axG",@progbits,_ZN2at6native12_GLOBAL__N_135GammaBetaBackwardCUDAKernelTemplateIddLj32ELj32ELj256ELb0ELb0ELb1EEEvllPKT_S5_PKT0_S8_PS3_S9_,comdat
.Lfunc_end138:
	.size	_ZN2at6native12_GLOBAL__N_135GammaBetaBackwardCUDAKernelTemplateIddLj32ELj32ELj256ELb0ELb0ELb1EEEvllPKT_S5_PKT0_S8_PS3_S9_, .Lfunc_end138-_ZN2at6native12_GLOBAL__N_135GammaBetaBackwardCUDAKernelTemplateIddLj32ELj32ELj256ELb0ELb0ELb1EEEvllPKT_S5_PKT0_S8_PS3_S9_
                                        ; -- End function
	.set _ZN2at6native12_GLOBAL__N_135GammaBetaBackwardCUDAKernelTemplateIddLj32ELj32ELj256ELb0ELb0ELb1EEEvllPKT_S5_PKT0_S8_PS3_S9_.num_vgpr, 121
	.set _ZN2at6native12_GLOBAL__N_135GammaBetaBackwardCUDAKernelTemplateIddLj32ELj32ELj256ELb0ELb0ELb1EEEvllPKT_S5_PKT0_S8_PS3_S9_.num_agpr, 0
	.set _ZN2at6native12_GLOBAL__N_135GammaBetaBackwardCUDAKernelTemplateIddLj32ELj32ELj256ELb0ELb0ELb1EEEvllPKT_S5_PKT0_S8_PS3_S9_.numbered_sgpr, 50
	.set _ZN2at6native12_GLOBAL__N_135GammaBetaBackwardCUDAKernelTemplateIddLj32ELj32ELj256ELb0ELb0ELb1EEEvllPKT_S5_PKT0_S8_PS3_S9_.num_named_barrier, 0
	.set _ZN2at6native12_GLOBAL__N_135GammaBetaBackwardCUDAKernelTemplateIddLj32ELj32ELj256ELb0ELb0ELb1EEEvllPKT_S5_PKT0_S8_PS3_S9_.private_seg_size, 0
	.set _ZN2at6native12_GLOBAL__N_135GammaBetaBackwardCUDAKernelTemplateIddLj32ELj32ELj256ELb0ELb0ELb1EEEvllPKT_S5_PKT0_S8_PS3_S9_.uses_vcc, 1
	.set _ZN2at6native12_GLOBAL__N_135GammaBetaBackwardCUDAKernelTemplateIddLj32ELj32ELj256ELb0ELb0ELb1EEEvllPKT_S5_PKT0_S8_PS3_S9_.uses_flat_scratch, 0
	.set _ZN2at6native12_GLOBAL__N_135GammaBetaBackwardCUDAKernelTemplateIddLj32ELj32ELj256ELb0ELb0ELb1EEEvllPKT_S5_PKT0_S8_PS3_S9_.has_dyn_sized_stack, 0
	.set _ZN2at6native12_GLOBAL__N_135GammaBetaBackwardCUDAKernelTemplateIddLj32ELj32ELj256ELb0ELb0ELb1EEEvllPKT_S5_PKT0_S8_PS3_S9_.has_recursion, 0
	.set _ZN2at6native12_GLOBAL__N_135GammaBetaBackwardCUDAKernelTemplateIddLj32ELj32ELj256ELb0ELb0ELb1EEEvllPKT_S5_PKT0_S8_PS3_S9_.has_indirect_call, 0
	.section	.AMDGPU.csdata,"",@progbits
; Kernel info:
; codeLenInByte = 6012
; TotalNumSgprs: 52
; NumVgprs: 121
; ScratchSize: 0
; MemoryBound: 1
; FloatMode: 240
; IeeeMode: 1
; LDSByteSize: 0 bytes/workgroup (compile time only)
; SGPRBlocks: 0
; VGPRBlocks: 7
; NumSGPRsForWavesPerEU: 52
; NumVGPRsForWavesPerEU: 121
; NamedBarCnt: 0
; Occupancy: 8
; WaveLimiterHint : 0
; COMPUTE_PGM_RSRC2:SCRATCH_EN: 0
; COMPUTE_PGM_RSRC2:USER_SGPR: 2
; COMPUTE_PGM_RSRC2:TRAP_HANDLER: 0
; COMPUTE_PGM_RSRC2:TGID_X_EN: 1
; COMPUTE_PGM_RSRC2:TGID_Y_EN: 1
; COMPUTE_PGM_RSRC2:TGID_Z_EN: 0
; COMPUTE_PGM_RSRC2:TIDIG_COMP_CNT: 1
	.section	.text._ZN2at6native12_GLOBAL__N_118cuComputeGradInputIffLb1EEEvPKT_S5_llPKT0_S8_S5_PS3_,"axG",@progbits,_ZN2at6native12_GLOBAL__N_118cuComputeGradInputIffLb1EEEvPKT_S5_llPKT0_S8_S5_PS3_,comdat
	.globl	_ZN2at6native12_GLOBAL__N_118cuComputeGradInputIffLb1EEEvPKT_S5_llPKT0_S8_S5_PS3_ ; -- Begin function _ZN2at6native12_GLOBAL__N_118cuComputeGradInputIffLb1EEEvPKT_S5_llPKT0_S8_S5_PS3_
	.p2align	8
	.type	_ZN2at6native12_GLOBAL__N_118cuComputeGradInputIffLb1EEEvPKT_S5_llPKT0_S8_S5_PS3_,@function
_ZN2at6native12_GLOBAL__N_118cuComputeGradInputIffLb1EEEvPKT_S5_llPKT0_S8_S5_PS3_: ; @_ZN2at6native12_GLOBAL__N_118cuComputeGradInputIffLb1EEEvPKT_S5_llPKT0_S8_S5_PS3_
; %bb.0:
	s_load_b128 s[8:11], s[0:1], 0x10
	s_bfe_u32 s2, ttmp6, 0x40010
	s_bfe_u32 s3, ttmp6, 0x40004
	s_add_co_i32 s2, s2, 1
	s_getreg_b32 s4, hwreg(HW_REG_IB_STS2, 6, 4)
	s_mul_i32 s2, ttmp7, s2
	s_delay_alu instid0(SALU_CYCLE_1) | instskip(SKIP_2) | instid1(SALU_CYCLE_1)
	s_add_co_i32 s3, s3, s2
	s_cmp_eq_u32 s4, 0
	s_cselect_b32 s6, ttmp7, s3
	s_ashr_i32 s7, s6, 31
	s_wait_kmcnt 0x0
	v_cmp_le_i64_e64 s2, s[8:9], s[6:7]
	s_and_b32 vcc_lo, exec_lo, s2
	s_cbranch_vccnz .LBB139_47
; %bb.1:
	s_clause 0x2
	s_load_b32 s2, s[0:1], 0x4c
	s_load_b128 s[12:15], s[0:1], 0x30
	s_load_b32 s30, s[0:1], 0x44
	s_cls_i32 s3, s11
	v_and_b32_e32 v12, 0x3ff, v0
	v_bfe_u32 v13, v0, 10, 10
	s_clause 0x1
	s_load_b128 s[16:19], s[0:1], 0x0
	s_load_b64 s[20:21], s[0:1], 0x28
	v_cmp_gt_i64_e64 s37, s[10:11], 0
	v_mbcnt_lo_u32_b32 v15, -1, 0
	v_lshlrev_b32_e32 v8, 3, v12
	s_wait_xcnt 0x0
	v_cmp_eq_u32_e64 s0, 0, v13
	v_cmp_ne_u32_e64 s1, 0, v13
	v_cndmask_b32_e64 v14, 0, 1, s37
	v_add_nc_u32_e32 v18, 0, v8
	s_wait_kmcnt 0x0
	s_lshr_b32 s31, s2, 16
	s_and_b32 s33, s2, 0xffff
	s_cmp_lg_u64 s[12:13], 0
	v_mad_u32_u24 v0, v13, s33, v12
	s_cselect_b32 s34, -1, 0
	s_cmp_gt_u32 s33, 1
	s_mul_i32 s22, s31, s33
	s_cselect_b32 s35, -1, 0
	s_cmp_gt_u32 s31, 1
	v_lshlrev_b32_e32 v9, 3, v0
	s_cselect_b32 s36, -1, 0
	s_xor_b32 s2, s10, s11
	s_add_co_i32 s3, s3, -1
	s_ashr_i32 s2, s2, 31
	s_ashr_i32 s23, s22, 31
	s_add_co_i32 s2, s2, 32
	v_add_nc_u32_e32 v16, 0, v9
	s_min_u32 s4, s3, s2
	s_delay_alu instid0(SALU_CYCLE_1) | instskip(NEXT) | instid1(SALU_CYCLE_1)
	s_lshl_b64 s[2:3], s[10:11], s4
	s_min_u32 s2, s2, 1
	s_delay_alu instid0(SALU_CYCLE_1) | instskip(SKIP_2) | instid1(SALU_CYCLE_3)
	s_or_b32 s2, s3, s2
	s_sub_co_i32 s3, 32, s4
	s_cvt_f32_i32 s2, s2
	v_ldexp_f32 v2, s2, s3
	s_delay_alu instid0(VALU_DEP_1) | instskip(SKIP_1) | instid1(VALU_DEP_2)
	v_div_scale_f32 v1, null, v2, v2, 1.0
	v_div_scale_f32 v6, vcc_lo, 1.0, v2, 1.0
	v_rcp_f32_e32 v3, v1
	v_xor_b32_e32 v5, 0x80000000, v1
	s_delay_alu instid0(TRANS32_DEP_1) | instid1(VALU_DEP_1)
	v_fma_f32 v1, v5, v3, 1.0
	s_delay_alu instid0(VALU_DEP_1) | instskip(NEXT) | instid1(VALU_DEP_1)
	v_dual_fmac_f32 v3, v1, v3 :: v_dual_mov_b32 v1, 0
	v_mul_f32_e32 v7, v6, v3
	s_delay_alu instid0(VALU_DEP_2) | instskip(NEXT) | instid1(VALU_DEP_2)
	v_cmp_gt_i64_e64 s2, s[10:11], v[0:1]
	v_fma_f32 v4, v5, v7, v6
	s_delay_alu instid0(VALU_DEP_1) | instskip(NEXT) | instid1(VALU_DEP_1)
	v_dual_fmac_f32 v7, v4, v3 :: v_dual_add_nc_u32 v4, s22, v0
	v_dual_fmac_f32 v6, v5, v7 :: v_dual_ashrrev_i32 v5, 31, v4
	s_delay_alu instid0(VALU_DEP_1) | instskip(NEXT) | instid1(VALU_DEP_2)
	v_div_fmas_f32 v3, v6, v3, v7
	v_sub_nc_u64_e64 v[4:5], v[4:5], s[22:23]
	s_delay_alu instid0(VALU_DEP_2)
	v_div_fixup_f32 v17, v3, v2, 1.0
	s_branch .LBB139_4
.LBB139_2:                              ;   in Loop: Header=BB139_4 Depth=1
	s_or_b32 exec_lo, exec_lo, s3
.LBB139_3:                              ;   in Loop: Header=BB139_4 Depth=1
	s_add_co_i32 s6, s30, s6
	s_wait_storecnt_dscnt 0x0
	s_ashr_i32 s7, s6, 31
	s_barrier_signal -1
	v_cmp_le_i64_e64 s3, s[8:9], s[6:7]
	s_barrier_wait -1
	s_and_b32 vcc_lo, exec_lo, s3
	s_cbranch_vccnz .LBB139_47
.LBB139_4:                              ; =>This Loop Header: Depth=1
                                        ;     Child Loop BB139_8 Depth 2
                                        ;     Child Loop BB139_19 Depth 2
	;; [unrolled: 1-line block ×6, first 2 shown]
	s_lshl_b64 s[4:5], s[6:7], 2
	v_cmp_ne_u32_e64 s3, 1, v14
	s_add_nc_u64 s[4:5], s[20:21], s[4:5]
	s_and_not1_b32 vcc_lo, exec_lo, s34
	s_load_b32 s38, s[4:5], 0x0
	s_wait_xcnt 0x0
	s_mul_u64 s[4:5], s[6:7], s[10:11]
                                        ; implicit-def: $vgpr7
	s_delay_alu instid0(SALU_CYCLE_1)
	s_lshl_b64 s[28:29], s[4:5], 2
	s_mov_b32 s4, -1
	s_add_nc_u64 s[24:25], s[18:19], s[28:29]
	s_add_nc_u64 s[26:27], s[16:17], s[28:29]
	s_cbranch_vccnz .LBB139_15
; %bb.5:                                ;   in Loop: Header=BB139_4 Depth=1
	v_mov_b32_e32 v7, 0
	s_and_b32 vcc_lo, exec_lo, s3
	s_cbranch_vccnz .LBB139_14
; %bb.6:                                ;   in Loop: Header=BB139_4 Depth=1
	s_mov_b32 s4, 0
	s_branch .LBB139_8
.LBB139_7:                              ;   in Loop: Header=BB139_8 Depth=2
	s_wait_xcnt 0x0
	s_or_b32 exec_lo, exec_lo, s3
	s_wait_loadcnt 0x0
	v_mul_f32_e32 v3, v3, v10
	s_add_co_i32 s4, s4, s22
	s_delay_alu instid0(SALU_CYCLE_1) | instskip(NEXT) | instid1(SALU_CYCLE_1)
	s_ashr_i32 s5, s4, 31
	v_cmp_le_i64_e64 s3, s[10:11], s[4:5]
	s_delay_alu instid0(VALU_DEP_2) | instskip(SKIP_1) | instid1(VALU_DEP_1)
	v_mul_f32_e32 v3, v6, v3
	s_wait_kmcnt 0x0
	v_fmac_f32_e32 v7, s38, v3
	s_and_b32 vcc_lo, exec_lo, s3
	s_cbranch_vccnz .LBB139_14
.LBB139_8:                              ;   Parent Loop BB139_4 Depth=1
                                        ; =>  This Inner Loop Header: Depth=2
	v_dual_mov_b32 v3, 0 :: v_dual_add_nc_u32 v8, s4, v0
	s_delay_alu instid0(VALU_DEP_1) | instskip(NEXT) | instid1(VALU_DEP_1)
	v_ashrrev_i32_e32 v9, 31, v8
	v_cmp_gt_i64_e32 vcc_lo, s[10:11], v[8:9]
	s_and_saveexec_b32 s3, vcc_lo
	s_cbranch_execz .LBB139_10
; %bb.9:                                ;   in Loop: Header=BB139_8 Depth=2
	v_lshl_add_u64 v[10:11], v[8:9], 2, s[12:13]
	global_load_b32 v3, v[10:11], off
.LBB139_10:                             ;   in Loop: Header=BB139_8 Depth=2
	s_wait_xcnt 0x0
	s_or_b32 exec_lo, exec_lo, s3
	v_dual_mov_b32 v10, 0 :: v_dual_mov_b32 v6, 0
	s_and_saveexec_b32 s3, vcc_lo
	s_cbranch_execz .LBB139_12
; %bb.11:                               ;   in Loop: Header=BB139_8 Depth=2
	v_lshl_add_u64 v[20:21], v[8:9], 2, s[24:25]
	global_load_b32 v6, v[20:21], off
.LBB139_12:                             ;   in Loop: Header=BB139_8 Depth=2
	s_wait_xcnt 0x0
	s_or_b32 exec_lo, exec_lo, s3
	s_and_saveexec_b32 s3, vcc_lo
	s_cbranch_execz .LBB139_7
; %bb.13:                               ;   in Loop: Header=BB139_8 Depth=2
	v_lshl_add_u64 v[8:9], v[8:9], 2, s[26:27]
	global_load_b32 v10, v[8:9], off
	s_branch .LBB139_7
.LBB139_14:                             ;   in Loop: Header=BB139_4 Depth=1
	s_mov_b32 s4, 0
.LBB139_15:                             ;   in Loop: Header=BB139_4 Depth=1
	s_delay_alu instid0(SALU_CYCLE_1)
	s_and_not1_b32 vcc_lo, exec_lo, s4
	s_cbranch_vccnz .LBB139_23
; %bb.16:                               ;   in Loop: Header=BB139_4 Depth=1
	v_mov_b32_e32 v7, 0
	s_and_not1_b32 vcc_lo, exec_lo, s37
	s_cbranch_vccnz .LBB139_23
; %bb.17:                               ;   in Loop: Header=BB139_4 Depth=1
	s_mov_b32 s4, 0
	s_branch .LBB139_19
.LBB139_18:                             ;   in Loop: Header=BB139_19 Depth=2
	s_wait_xcnt 0x0
	s_or_b32 exec_lo, exec_lo, s3
	s_add_co_i32 s4, s4, s22
	s_wait_loadcnt 0x0
	v_mul_f32_e32 v3, v3, v6
	s_ashr_i32 s5, s4, 31
	s_delay_alu instid0(SALU_CYCLE_1) | instskip(SKIP_1) | instid1(VALU_DEP_2)
	v_cmp_le_i64_e64 s3, s[10:11], s[4:5]
	s_wait_kmcnt 0x0
	v_fmac_f32_e32 v7, s38, v3
	s_and_b32 vcc_lo, exec_lo, s3
	s_cbranch_vccnz .LBB139_23
.LBB139_19:                             ;   Parent Loop BB139_4 Depth=1
                                        ; =>  This Inner Loop Header: Depth=2
	v_dual_mov_b32 v3, 0 :: v_dual_add_nc_u32 v8, s4, v0
	s_delay_alu instid0(VALU_DEP_1) | instskip(NEXT) | instid1(VALU_DEP_1)
	v_ashrrev_i32_e32 v9, 31, v8
	v_cmp_gt_i64_e32 vcc_lo, s[10:11], v[8:9]
	s_and_saveexec_b32 s3, vcc_lo
	s_cbranch_execz .LBB139_21
; %bb.20:                               ;   in Loop: Header=BB139_19 Depth=2
	v_lshl_add_u64 v[10:11], v[8:9], 2, s[24:25]
	global_load_b32 v3, v[10:11], off
.LBB139_21:                             ;   in Loop: Header=BB139_19 Depth=2
	s_wait_xcnt 0x0
	s_or_b32 exec_lo, exec_lo, s3
	v_mov_b32_e32 v6, 0
	s_and_saveexec_b32 s3, vcc_lo
	s_cbranch_execz .LBB139_18
; %bb.22:                               ;   in Loop: Header=BB139_19 Depth=2
	v_lshl_add_u64 v[8:9], v[8:9], 2, s[26:27]
	global_load_b32 v6, v[8:9], off
	s_branch .LBB139_18
.LBB139_23:                             ;   in Loop: Header=BB139_4 Depth=1
	s_and_not1_b32 vcc_lo, exec_lo, s35
	s_cbranch_vccnz .LBB139_26
; %bb.24:                               ;   in Loop: Header=BB139_4 Depth=1
	s_mov_b32 s3, s33
.LBB139_25:                             ;   Parent Loop BB139_4 Depth=1
                                        ; =>  This Inner Loop Header: Depth=2
	s_delay_alu instid0(SALU_CYCLE_1) | instskip(SKIP_3) | instid1(VALU_DEP_1)
	s_lshr_b32 s4, s3, 1
	s_cmp_lt_u32 s3, 4
	v_xor_b32_e32 v3, s4, v15
	s_mov_b32 s3, s4
	v_cmp_gt_i32_e32 vcc_lo, 32, v3
	v_cndmask_b32_e32 v3, v15, v3, vcc_lo
	s_delay_alu instid0(VALU_DEP_1)
	v_lshlrev_b32_e32 v3, 2, v3
	ds_bpermute_b32 v3, v3, v7
	s_wait_dscnt 0x0
	v_add_f32_e32 v7, v7, v3
	s_cbranch_scc0 .LBB139_25
.LBB139_26:                             ;   in Loop: Header=BB139_4 Depth=1
	s_and_not1_b32 vcc_lo, exec_lo, s36
	s_mov_b32 s5, s31
	s_cbranch_vccnz .LBB139_38
.LBB139_27:                             ;   Parent Loop BB139_4 Depth=1
                                        ; =>  This Inner Loop Header: Depth=2
	s_lshr_b32 s7, s5, 1
	s_and_b32 s4, s5, 0xfffe
	v_cmp_le_u32_e64 s3, s7, v13
	v_cmp_gt_u32_e64 s4, s4, v13
	v_cmp_gt_u32_e32 vcc_lo, s7, v13
	s_and_b32 s4, s3, s4
	s_delay_alu instid0(SALU_CYCLE_1)
	s_and_saveexec_b32 s3, s4
	s_cbranch_execz .LBB139_29
; %bb.28:                               ;   in Loop: Header=BB139_27 Depth=2
	v_subrev_nc_u32_e32 v3, s7, v13
	s_delay_alu instid0(VALU_DEP_1) | instskip(NEXT) | instid1(VALU_DEP_1)
	v_mad_u32_u24 v3, v3, s33, v12
	v_lshl_add_u32 v3, v3, 3, 0
	ds_store_b32 v3, v7 offset:4
.LBB139_29:                             ;   in Loop: Header=BB139_27 Depth=2
	s_or_b32 exec_lo, exec_lo, s3
	s_wait_dscnt 0x0
	s_barrier_signal -1
	s_barrier_wait -1
	s_and_saveexec_b32 s3, vcc_lo
	s_cbranch_execz .LBB139_31
; %bb.30:                               ;   in Loop: Header=BB139_27 Depth=2
	ds_load_b32 v3, v16 offset:4
	s_wait_dscnt 0x0
	v_add_f32_e32 v7, v7, v3
.LBB139_31:                             ;   in Loop: Header=BB139_27 Depth=2
	s_or_b32 exec_lo, exec_lo, s3
	s_cmp_lt_u32 s5, 4
	s_barrier_signal -1
	s_barrier_wait -1
	s_cbranch_scc1 .LBB139_33
; %bb.32:                               ;   in Loop: Header=BB139_27 Depth=2
	s_mov_b32 s5, s7
	s_branch .LBB139_27
.LBB139_33:                             ;   in Loop: Header=BB139_4 Depth=1
	s_and_saveexec_b32 s3, s0
; %bb.34:                               ;   in Loop: Header=BB139_4 Depth=1
	ds_store_b32 v18, v7 offset:4
; %bb.35:                               ;   in Loop: Header=BB139_4 Depth=1
	s_or_b32 exec_lo, exec_lo, s3
	s_wait_dscnt 0x0
	s_barrier_signal -1
	s_barrier_wait -1
	s_and_saveexec_b32 s3, s1
; %bb.36:                               ;   in Loop: Header=BB139_4 Depth=1
	ds_load_b32 v7, v18 offset:4
; %bb.37:                               ;   in Loop: Header=BB139_4 Depth=1
	s_or_b32 exec_lo, exec_lo, s3
.LBB139_38:                             ;   in Loop: Header=BB139_4 Depth=1
	s_wait_kmcnt 0x0
	v_mul_f32_e32 v19, s38, v17
	s_and_not1_b32 vcc_lo, exec_lo, s34
	s_add_nc_u64 s[4:5], s[14:15], s[28:29]
	s_cbranch_vccnz .LBB139_43
; %bb.39:                               ;   in Loop: Header=BB139_4 Depth=1
	s_and_saveexec_b32 s3, s2
	s_cbranch_execz .LBB139_42
; %bb.40:                               ;   in Loop: Header=BB139_4 Depth=1
	v_mov_b64_e32 v[8:9], v[4:5]
	v_mov_b64_e32 v[10:11], v[0:1]
	s_mov_b32 s7, 0
.LBB139_41:                             ;   Parent Loop BB139_4 Depth=1
                                        ; =>  This Inner Loop Header: Depth=2
	s_delay_alu instid0(VALU_DEP_1) | instskip(SKIP_1) | instid1(VALU_DEP_4)
	v_lshlrev_b64_e32 v[10:11], 2, v[10:11]
	v_mov_b32_e32 v27, s38
	v_add_nc_u64_e32 v[8:9], s[22:23], v[8:9]
	s_delay_alu instid0(VALU_DEP_3) | instskip(SKIP_2) | instid1(VALU_DEP_4)
	v_add_nc_u64_e32 v[20:21], s[24:25], v[10:11]
	v_add_nc_u64_e32 v[22:23], s[26:27], v[10:11]
	v_add_nc_u64_e32 v[24:25], s[12:13], v[10:11]
	v_cmp_le_i64_e32 vcc_lo, s[10:11], v[8:9]
	global_load_b32 v3, v[20:21], off
	global_load_b32 v26, v[22:23], off
	global_load_b32 v6, v[24:25], off
	s_or_b32 s7, vcc_lo, s7
	s_wait_loadcnt 0x1
	s_wait_xcnt 0x2
	v_pk_mul_f32 v[20:21], v[26:27], v[2:3]
	s_wait_loadcnt_dscnt 0x0
	s_delay_alu instid0(VALU_DEP_1) | instskip(NEXT) | instid1(VALU_DEP_1)
	v_pk_mul_f32 v[20:21], v[20:21], v[6:7]
	v_sub_f32_e32 v3, v20, v21
	v_add_nc_u64_e32 v[20:21], s[4:5], v[10:11]
	v_dual_mov_b32 v10, v8 :: v_dual_ashrrev_i32 v11, 31, v8
	s_delay_alu instid0(VALU_DEP_3)
	v_mul_f32_e32 v3, v19, v3
	global_store_b32 v[20:21], v3, off
	s_wait_xcnt 0x0
	s_and_not1_b32 exec_lo, exec_lo, s7
	s_cbranch_execnz .LBB139_41
.LBB139_42:                             ;   in Loop: Header=BB139_4 Depth=1
	s_or_b32 exec_lo, exec_lo, s3
	s_cbranch_execnz .LBB139_3
	s_branch .LBB139_44
.LBB139_43:                             ;   in Loop: Header=BB139_4 Depth=1
.LBB139_44:                             ;   in Loop: Header=BB139_4 Depth=1
	s_and_saveexec_b32 s3, s2
	s_cbranch_execz .LBB139_2
; %bb.45:                               ;   in Loop: Header=BB139_4 Depth=1
	v_mov_b64_e32 v[8:9], v[4:5]
	v_mov_b64_e32 v[10:11], v[0:1]
	s_mov_b32 s7, 0
.LBB139_46:                             ;   Parent Loop BB139_4 Depth=1
                                        ; =>  This Inner Loop Header: Depth=2
	s_delay_alu instid0(VALU_DEP_1) | instskip(NEXT) | instid1(VALU_DEP_3)
	v_lshlrev_b64_e32 v[10:11], 2, v[10:11]
	v_add_nc_u64_e32 v[8:9], s[22:23], v[8:9]
	s_delay_alu instid0(VALU_DEP_2) | instskip(SKIP_1) | instid1(VALU_DEP_3)
	v_add_nc_u64_e32 v[20:21], s[24:25], v[10:11]
	v_add_nc_u64_e32 v[22:23], s[26:27], v[10:11]
	v_cmp_le_i64_e32 vcc_lo, s[10:11], v[8:9]
	global_load_b32 v3, v[20:21], off
	global_load_b32 v6, v[22:23], off
	s_or_b32 s7, vcc_lo, s7
	s_wait_loadcnt 0x1
	v_mul_f32_e32 v3, s38, v3
	s_wait_loadcnt_dscnt 0x0
	s_wait_xcnt 0x1
	s_delay_alu instid0(VALU_DEP_1) | instskip(NEXT) | instid1(VALU_DEP_1)
	v_pk_mul_f32 v[20:21], v[6:7], v[2:3]
	v_sub_f32_e32 v3, v20, v21
	v_add_nc_u64_e32 v[20:21], s[4:5], v[10:11]
	v_dual_mov_b32 v10, v8 :: v_dual_ashrrev_i32 v11, 31, v8
	s_delay_alu instid0(VALU_DEP_3)
	v_mul_f32_e32 v3, v19, v3
	global_store_b32 v[20:21], v3, off
	s_wait_xcnt 0x0
	s_and_not1_b32 exec_lo, exec_lo, s7
	s_cbranch_execnz .LBB139_46
	s_branch .LBB139_2
.LBB139_47:
	s_endpgm
	.section	.rodata,"a",@progbits
	.p2align	6, 0x0
	.amdhsa_kernel _ZN2at6native12_GLOBAL__N_118cuComputeGradInputIffLb1EEEvPKT_S5_llPKT0_S8_S5_PS3_
		.amdhsa_group_segment_fixed_size 0
		.amdhsa_private_segment_fixed_size 0
		.amdhsa_kernarg_size 320
		.amdhsa_user_sgpr_count 2
		.amdhsa_user_sgpr_dispatch_ptr 0
		.amdhsa_user_sgpr_queue_ptr 0
		.amdhsa_user_sgpr_kernarg_segment_ptr 1
		.amdhsa_user_sgpr_dispatch_id 0
		.amdhsa_user_sgpr_kernarg_preload_length 0
		.amdhsa_user_sgpr_kernarg_preload_offset 0
		.amdhsa_user_sgpr_private_segment_size 0
		.amdhsa_wavefront_size32 1
		.amdhsa_uses_dynamic_stack 0
		.amdhsa_enable_private_segment 0
		.amdhsa_system_sgpr_workgroup_id_x 1
		.amdhsa_system_sgpr_workgroup_id_y 1
		.amdhsa_system_sgpr_workgroup_id_z 0
		.amdhsa_system_sgpr_workgroup_info 0
		.amdhsa_system_vgpr_workitem_id 1
		.amdhsa_next_free_vgpr 28
		.amdhsa_next_free_sgpr 39
		.amdhsa_named_barrier_count 0
		.amdhsa_reserve_vcc 1
		.amdhsa_float_round_mode_32 0
		.amdhsa_float_round_mode_16_64 0
		.amdhsa_float_denorm_mode_32 3
		.amdhsa_float_denorm_mode_16_64 3
		.amdhsa_fp16_overflow 0
		.amdhsa_memory_ordered 1
		.amdhsa_forward_progress 1
		.amdhsa_inst_pref_size 13
		.amdhsa_round_robin_scheduling 0
		.amdhsa_exception_fp_ieee_invalid_op 0
		.amdhsa_exception_fp_denorm_src 0
		.amdhsa_exception_fp_ieee_div_zero 0
		.amdhsa_exception_fp_ieee_overflow 0
		.amdhsa_exception_fp_ieee_underflow 0
		.amdhsa_exception_fp_ieee_inexact 0
		.amdhsa_exception_int_div_zero 0
	.end_amdhsa_kernel
	.section	.text._ZN2at6native12_GLOBAL__N_118cuComputeGradInputIffLb1EEEvPKT_S5_llPKT0_S8_S5_PS3_,"axG",@progbits,_ZN2at6native12_GLOBAL__N_118cuComputeGradInputIffLb1EEEvPKT_S5_llPKT0_S8_S5_PS3_,comdat
.Lfunc_end139:
	.size	_ZN2at6native12_GLOBAL__N_118cuComputeGradInputIffLb1EEEvPKT_S5_llPKT0_S8_S5_PS3_, .Lfunc_end139-_ZN2at6native12_GLOBAL__N_118cuComputeGradInputIffLb1EEEvPKT_S5_llPKT0_S8_S5_PS3_
                                        ; -- End function
	.set _ZN2at6native12_GLOBAL__N_118cuComputeGradInputIffLb1EEEvPKT_S5_llPKT0_S8_S5_PS3_.num_vgpr, 28
	.set _ZN2at6native12_GLOBAL__N_118cuComputeGradInputIffLb1EEEvPKT_S5_llPKT0_S8_S5_PS3_.num_agpr, 0
	.set _ZN2at6native12_GLOBAL__N_118cuComputeGradInputIffLb1EEEvPKT_S5_llPKT0_S8_S5_PS3_.numbered_sgpr, 39
	.set _ZN2at6native12_GLOBAL__N_118cuComputeGradInputIffLb1EEEvPKT_S5_llPKT0_S8_S5_PS3_.num_named_barrier, 0
	.set _ZN2at6native12_GLOBAL__N_118cuComputeGradInputIffLb1EEEvPKT_S5_llPKT0_S8_S5_PS3_.private_seg_size, 0
	.set _ZN2at6native12_GLOBAL__N_118cuComputeGradInputIffLb1EEEvPKT_S5_llPKT0_S8_S5_PS3_.uses_vcc, 1
	.set _ZN2at6native12_GLOBAL__N_118cuComputeGradInputIffLb1EEEvPKT_S5_llPKT0_S8_S5_PS3_.uses_flat_scratch, 0
	.set _ZN2at6native12_GLOBAL__N_118cuComputeGradInputIffLb1EEEvPKT_S5_llPKT0_S8_S5_PS3_.has_dyn_sized_stack, 0
	.set _ZN2at6native12_GLOBAL__N_118cuComputeGradInputIffLb1EEEvPKT_S5_llPKT0_S8_S5_PS3_.has_recursion, 0
	.set _ZN2at6native12_GLOBAL__N_118cuComputeGradInputIffLb1EEEvPKT_S5_llPKT0_S8_S5_PS3_.has_indirect_call, 0
	.section	.AMDGPU.csdata,"",@progbits
; Kernel info:
; codeLenInByte = 1592
; TotalNumSgprs: 41
; NumVgprs: 28
; ScratchSize: 0
; MemoryBound: 0
; FloatMode: 240
; IeeeMode: 1
; LDSByteSize: 0 bytes/workgroup (compile time only)
; SGPRBlocks: 0
; VGPRBlocks: 1
; NumSGPRsForWavesPerEU: 41
; NumVGPRsForWavesPerEU: 28
; NamedBarCnt: 0
; Occupancy: 16
; WaveLimiterHint : 0
; COMPUTE_PGM_RSRC2:SCRATCH_EN: 0
; COMPUTE_PGM_RSRC2:USER_SGPR: 2
; COMPUTE_PGM_RSRC2:TRAP_HANDLER: 0
; COMPUTE_PGM_RSRC2:TGID_X_EN: 1
; COMPUTE_PGM_RSRC2:TGID_Y_EN: 1
; COMPUTE_PGM_RSRC2:TGID_Z_EN: 0
; COMPUTE_PGM_RSRC2:TIDIG_COMP_CNT: 1
	.section	.text._ZN2at6native12_GLOBAL__N_128layer_norm_grad_input_kernelIffLb1EEEvPKT_S5_PKT0_S8_S5_PS3_i,"axG",@progbits,_ZN2at6native12_GLOBAL__N_128layer_norm_grad_input_kernelIffLb1EEEvPKT_S5_PKT0_S8_S5_PS3_i,comdat
	.globl	_ZN2at6native12_GLOBAL__N_128layer_norm_grad_input_kernelIffLb1EEEvPKT_S5_PKT0_S8_S5_PS3_i ; -- Begin function _ZN2at6native12_GLOBAL__N_128layer_norm_grad_input_kernelIffLb1EEEvPKT_S5_PKT0_S8_S5_PS3_i
	.p2align	8
	.type	_ZN2at6native12_GLOBAL__N_128layer_norm_grad_input_kernelIffLb1EEEvPKT_S5_PKT0_S8_S5_PS3_i,@function
_ZN2at6native12_GLOBAL__N_128layer_norm_grad_input_kernelIffLb1EEEvPKT_S5_PKT0_S8_S5_PS3_i: ; @_ZN2at6native12_GLOBAL__N_128layer_norm_grad_input_kernelIffLb1EEEvPKT_S5_PKT0_S8_S5_PS3_i
; %bb.0:
	s_clause 0x1
	s_load_b128 s[4:7], s[0:1], 0x18
	s_load_b32 s2, s[0:1], 0x30
	s_bfe_u32 s3, ttmp6, 0x4000c
	s_and_b32 s8, ttmp6, 15
	s_add_co_i32 s3, s3, 1
	s_getreg_b32 s9, hwreg(HW_REG_IB_STS2, 6, 4)
	s_mul_i32 s3, ttmp9, s3
	v_lshlrev_b32_e32 v2, 2, v0
	s_add_co_i32 s3, s8, s3
	s_cmp_eq_u32 s9, 0
	s_load_b128 s[8:11], s[0:1], 0x0
	s_cselect_b32 s18, ttmp9, s3
	v_or_b32_e32 v1, 3, v2
	s_mov_b32 s19, 0
	s_wait_kmcnt 0x0
	s_load_b32 s20, s[4:5], s18 offset:0x0 scale_offset
	s_ashr_i32 s3, s2, 31
	v_cmp_gt_u32_e32 vcc_lo, s2, v1
	s_mul_u64 s[16:17], s[2:3], s[18:19]
	v_mov_b32_e32 v1, 0
	s_lshl_b64 s[14:15], s[16:17], 2
	s_wait_xcnt 0x0
	s_add_nc_u64 s[4:5], s[10:11], s[14:15]
	s_add_nc_u64 s[12:13], s[8:9], s[14:15]
	s_and_saveexec_b32 s3, vcc_lo
	s_cbranch_execz .LBB140_12
; %bb.1:
	s_load_b32 s21, s[0:1], 0x44
	s_cmp_lg_u64 s[6:7], 0
	v_dual_mov_b32 v3, 0 :: v_dual_mov_b32 v1, 0
	s_cselect_b32 s18, -1, 0
	s_wait_kmcnt 0x0
	s_and_b32 s21, s21, 0xffff
	s_delay_alu instid0(SALU_CYCLE_1)
	s_lshl_b32 s21, s21, 2
	s_branch .LBB140_3
.LBB140_2:                              ;   in Loop: Header=BB140_3 Depth=1
	global_load_b32 v8, v[6:7], off offset:12
	global_load_b32 v9, v[4:5], off offset:12
	s_wait_loadcnt 0x4
	s_wait_xcnt 0x0
	v_dual_mul_f32 v4, v11, v13 :: v_dual_mul_f32 v5, v10, v16
	s_delay_alu instid0(VALU_DEP_1) | instskip(NEXT) | instid1(VALU_DEP_1)
	v_mul_f32_e32 v4, v12, v4
	v_dual_fmac_f32 v1, s20, v4 :: v_dual_mul_f32 v4, v15, v5
	s_wait_loadcnt 0x2
	v_dual_mul_f32 v5, v18, v19 :: v_dual_add_nc_u32 v2, s21, v2
	s_delay_alu instid0(VALU_DEP_1) | instskip(SKIP_1) | instid1(VALU_DEP_2)
	v_dual_fmac_f32 v1, s20, v4 :: v_dual_mul_f32 v4, v17, v5
	s_wait_loadcnt 0x1
	v_dual_mul_f32 v5, v14, v8 :: v_dual_add_nc_u32 v6, 3, v2
	s_wait_loadcnt 0x0
	s_delay_alu instid0(VALU_DEP_1) | instskip(NEXT) | instid1(VALU_DEP_2)
	v_dual_fmac_f32 v1, s20, v4 :: v_dual_mul_f32 v4, v9, v5
	v_cmp_le_u32_e32 vcc_lo, s2, v6
	s_delay_alu instid0(VALU_DEP_2) | instskip(SKIP_1) | instid1(SALU_CYCLE_1)
	v_fmac_f32_e32 v1, s20, v4
	s_or_b32 s19, vcc_lo, s19
	s_and_not1_b32 exec_lo, exec_lo, s19
	s_cbranch_execz .LBB140_11
.LBB140_3:                              ; =>This Inner Loop Header: Depth=1
	v_dual_mov_b32 v10, 1.0 :: v_dual_mov_b32 v11, 1.0
	v_lshl_add_u64 v[8:9], v[2:3], 2, s[6:7]
	s_and_b32 vcc_lo, exec_lo, s18
	s_cbranch_vccz .LBB140_5
; %bb.4:                                ;   in Loop: Header=BB140_3 Depth=1
	global_load_b32 v11, v[8:9], off
.LBB140_5:                              ;   in Loop: Header=BB140_3 Depth=1
	v_lshlrev_b64_e32 v[6:7], 2, v[2:3]
	s_and_not1_b32 vcc_lo, exec_lo, s18
	s_delay_alu instid0(VALU_DEP_1)
	v_add_nc_u64_e32 v[4:5], s[4:5], v[6:7]
	v_add_nc_u64_e32 v[6:7], s[12:13], v[6:7]
	global_load_b32 v12, v[4:5], off
	global_load_b32 v13, v[6:7], off
	s_cbranch_vccnz .LBB140_7
; %bb.6:                                ;   in Loop: Header=BB140_3 Depth=1
	global_load_b32 v10, v[8:9], off offset:4
.LBB140_7:                              ;   in Loop: Header=BB140_3 Depth=1
	global_load_b32 v15, v[4:5], off offset:4
	global_load_b32 v16, v[6:7], off offset:4
	v_dual_mov_b32 v14, 1.0 :: v_dual_mov_b32 v18, 1.0
	s_and_not1_b32 vcc_lo, exec_lo, s18
	s_cbranch_vccnz .LBB140_9
; %bb.8:                                ;   in Loop: Header=BB140_3 Depth=1
	global_load_b32 v18, v[8:9], off offset:8
.LBB140_9:                              ;   in Loop: Header=BB140_3 Depth=1
	global_load_b32 v17, v[4:5], off offset:8
	global_load_b32 v19, v[6:7], off offset:8
	s_and_not1_b32 vcc_lo, exec_lo, s18
	s_cbranch_vccnz .LBB140_2
; %bb.10:                               ;   in Loop: Header=BB140_3 Depth=1
	global_load_b32 v14, v[8:9], off offset:12
	s_branch .LBB140_2
.LBB140_11:
	s_or_b32 exec_lo, exec_lo, s19
.LBB140_12:
	s_delay_alu instid0(SALU_CYCLE_1) | instskip(NEXT) | instid1(SALU_CYCLE_1)
	s_or_b32 exec_lo, exec_lo, s3
	s_mov_b32 s3, exec_lo
	v_cmpx_gt_u32_e64 s2, v2
	s_cbranch_execz .LBB140_19
; %bb.13:
	v_mov_b32_e32 v3, 0
	s_cmp_lg_u64 s[6:7], 0
	s_delay_alu instid0(VALU_DEP_1) | instskip(NEXT) | instid1(VALU_DEP_1)
	v_lshlrev_b64_e32 v[4:5], 2, v[2:3]
	v_lshl_add_u64 v[8:9], s[16:17], 2, v[4:5]
	v_add_nc_u64_e32 v[4:5], s[6:7], v[4:5]
	s_delay_alu instid0(VALU_DEP_2)
	v_add_nc_u64_e32 v[6:7], s[10:11], v[8:9]
	v_add_nc_u64_e32 v[8:9], s[8:9], v[8:9]
	s_cselect_b32 s8, -1, 0
	s_mov_b32 s9, 0
	s_branch .LBB140_16
.LBB140_14:                             ;   in Loop: Header=BB140_16 Depth=1
	global_load_b32 v3, v[4:5], off
.LBB140_15:                             ;   in Loop: Header=BB140_16 Depth=1
	global_load_b32 v10, v[8:9], off
	global_load_b32 v11, v[6:7], off
	s_wait_xcnt 0x2
	v_add_nc_u64_e32 v[4:5], 4, v[4:5]
	s_wait_xcnt 0x0
	v_add_nc_u64_e32 v[6:7], 4, v[6:7]
	v_add_nc_u64_e32 v[8:9], 4, v[8:9]
	s_wait_loadcnt 0x1
	v_mul_f32_e32 v3, v3, v10
	s_wait_loadcnt 0x0
	s_delay_alu instid0(VALU_DEP_1) | instskip(NEXT) | instid1(VALU_DEP_1)
	v_dual_mul_f32 v3, v11, v3 :: v_dual_add_nc_u32 v2, 1, v2
	v_cmp_le_u32_e32 vcc_lo, s2, v2
	s_wait_kmcnt 0x0
	s_delay_alu instid0(VALU_DEP_2) | instskip(SKIP_1) | instid1(SALU_CYCLE_1)
	v_fmac_f32_e32 v1, s20, v3
	s_or_b32 s9, vcc_lo, s9
	s_and_not1_b32 exec_lo, exec_lo, s9
	s_cbranch_execz .LBB140_18
.LBB140_16:                             ; =>This Inner Loop Header: Depth=1
	s_and_not1_b32 vcc_lo, exec_lo, s8
	s_cbranch_vccz .LBB140_14
; %bb.17:                               ;   in Loop: Header=BB140_16 Depth=1
	v_mov_b32_e32 v3, 1.0
	s_branch .LBB140_15
.LBB140_18:
	s_or_b32 exec_lo, exec_lo, s9
.LBB140_19:
	s_delay_alu instid0(SALU_CYCLE_1) | instskip(SKIP_4) | instid1(VALU_DEP_1)
	s_or_b32 exec_lo, exec_lo, s3
	v_mbcnt_lo_u32_b32 v5, -1, 0
	s_mov_b32 s3, exec_lo
	s_barrier_signal -1
	s_barrier_wait -1
	v_lshl_or_b32 v2, v5, 2, 64
	v_cmp_gt_u32_e32 vcc_lo, 24, v5
	ds_bpermute_b32 v4, v2, v1
	v_cndmask_b32_e64 v3, 0, 8, vcc_lo
	v_cmp_gt_u32_e32 vcc_lo, 28, v5
	s_delay_alu instid0(VALU_DEP_2)
	v_add_lshl_u32 v3, v3, v5, 2
	s_wait_dscnt 0x0
	v_add_f32_e32 v4, v1, v4
	v_cndmask_b32_e64 v1, 0, 4, vcc_lo
	v_cmp_gt_u32_e32 vcc_lo, 30, v5
	ds_bpermute_b32 v6, v3, v4
	v_add_lshl_u32 v1, v1, v5, 2
	s_wait_dscnt 0x0
	v_add_f32_e32 v6, v4, v6
	v_cndmask_b32_e64 v4, 0, 2, vcc_lo
	v_cmp_ne_u32_e32 vcc_lo, 31, v5
	s_delay_alu instid0(VALU_DEP_2) | instskip(SKIP_1) | instid1(VALU_DEP_1)
	v_add_lshl_u32 v4, v4, v5, 2
	v_add_co_ci_u32_e64 v5, null, 0, v5, vcc_lo
	v_lshlrev_b32_e32 v5, 2, v5
	ds_bpermute_b32 v7, v1, v6
	s_wait_dscnt 0x0
	v_add_f32_e32 v6, v6, v7
	ds_bpermute_b32 v7, v4, v6
	s_wait_dscnt 0x0
	v_dual_add_f32 v7, v6, v7 :: v_dual_bitop2_b32 v6, 31, v0 bitop3:0x40
	ds_bpermute_b32 v8, v5, v7
	v_cmpx_eq_u32_e32 0, v6
	s_cbranch_execz .LBB140_21
; %bb.20:
	v_lshrrev_b32_e32 v9, 3, v0
	s_wait_dscnt 0x0
	s_delay_alu instid0(VALU_DEP_1)
	v_dual_add_f32 v7, v7, v8 :: v_dual_add_nc_u32 v9, 0, v9
	ds_store_b32 v9, v7
.LBB140_21:
	s_or_b32 exec_lo, exec_lo, s3
	s_wait_dscnt 0x0
	s_barrier_signal -1
	s_barrier_wait -1
	s_load_b32 s3, s[0:1], 0x44
	v_mov_b32_e32 v7, 0
	s_wait_kmcnt 0x0
	s_bfe_u32 s8, s3, 0xb0005
	s_delay_alu instid0(SALU_CYCLE_1)
	v_cmp_gt_u32_e32 vcc_lo, s8, v0
	s_and_saveexec_b32 s8, vcc_lo
; %bb.22:
	v_lshl_add_u32 v6, v6, 2, 0
	ds_load_b32 v7, v6
; %bb.23:
	s_or_b32 exec_lo, exec_lo, s8
	s_delay_alu instid0(SALU_CYCLE_1)
	s_mov_b32 s8, exec_lo
	v_cmpx_gt_u32_e32 32, v0
	s_cbranch_execz .LBB140_25
; %bb.24:
	s_wait_dscnt 0x0
	ds_bpermute_b32 v2, v2, v7
	s_wait_dscnt 0x0
	v_add_f32_e32 v2, v7, v2
	ds_bpermute_b32 v3, v3, v2
	s_wait_dscnt 0x0
	v_add_f32_e32 v2, v2, v3
	;; [unrolled: 3-line block ×5, first 2 shown]
.LBB140_25:
	s_or_b32 exec_lo, exec_lo, s8
	s_delay_alu instid0(SALU_CYCLE_1)
	s_mov_b32 s8, exec_lo
	v_cmpx_eq_u32_e32 0, v0
	s_cbranch_execz .LBB140_27
; %bb.26:
	v_mov_b32_e32 v1, 0
	s_wait_dscnt 0x0
	ds_store_b32 v1, v7 offset:4
.LBB140_27:
	s_or_b32 exec_lo, exec_lo, s8
	s_wait_dscnt 0x0
	s_barrier_signal -1
	s_barrier_wait -1
	s_mov_b32 s8, exec_lo
	v_cmpx_gt_i32_e64 s2, v0
	s_cbranch_execz .LBB140_33
; %bb.28:
	s_cvt_f32_i32 s8, s2
	s_load_b64 s[0:1], s[0:1], 0x28
	s_and_b32 s3, 0xffff, s3
	s_cmp_lg_u64 s[6:7], 0
	v_div_scale_f32 v1, null, s8, s8, 1.0
	v_div_scale_f32 v4, vcc_lo, 1.0, s8, 1.0
	s_cselect_b32 s9, -1, 0
	v_rcp_f32_e32 v2, v1
	v_nop
	v_xor_b32_e32 v1, 0x80000000, v1
	s_mov_b32 s10, 0
	s_delay_alu instid0(TRANS32_DEP_1) | instid1(VALU_DEP_1)
	v_fma_f32 v3, v1, v2, 1.0
	s_wait_kmcnt 0x0
	s_add_nc_u64 s[0:1], s[0:1], s[14:15]
	s_delay_alu instid0(VALU_DEP_1) | instskip(NEXT) | instid1(VALU_DEP_1)
	v_fmac_f32_e32 v2, v3, v2
	v_mul_f32_e32 v5, v4, v2
	s_delay_alu instid0(VALU_DEP_1) | instskip(NEXT) | instid1(VALU_DEP_1)
	v_fma_f32 v3, v1, v5, v4
	v_dual_fmac_f32 v5, v3, v2 :: v_dual_mov_b32 v3, 0
	s_delay_alu instid0(VALU_DEP_1) | instskip(SKIP_2) | instid1(VALU_DEP_1)
	v_fmac_f32_e32 v4, v1, v5
	ds_load_b32 v3, v3 offset:4
	v_div_fmas_f32 v1, v4, v2, v5
	v_div_fixup_f32 v1, v1, s8, 1.0
	s_delay_alu instid0(VALU_DEP_1)
	v_mul_f32_e32 v8, s20, v1
	s_branch .LBB140_31
.LBB140_29:                             ;   in Loop: Header=BB140_31 Depth=1
	s_delay_alu instid0(VALU_DEP_1)
	v_lshl_add_u64 v[6:7], v[0:1], 2, s[6:7]
	global_load_b32 v6, v[6:7], off
.LBB140_30:                             ;   in Loop: Header=BB140_31 Depth=1
	s_wait_xcnt 0x0
	v_dual_mov_b32 v7, s20 :: v_dual_mov_b32 v4, s8
	s_wait_loadcnt 0x0
	s_delay_alu instid0(VALU_DEP_1) | instskip(SKIP_2) | instid1(VALU_DEP_2)
	v_pk_mul_f32 v[4:5], v[6:7], v[4:5]
	v_lshl_add_u64 v[6:7], v[0:1], 2, s[0:1]
	s_wait_dscnt 0x0
	v_pk_mul_f32 v[4:5], v[2:3], v[4:5]
	s_delay_alu instid0(VALU_DEP_1) | instskip(NEXT) | instid1(VALU_DEP_1)
	v_dual_sub_f32 v1, v4, v5 :: v_dual_add_nc_u32 v0, s3, v0
	v_cmp_le_i32_e32 vcc_lo, s2, v0
	s_delay_alu instid0(VALU_DEP_2)
	v_mul_f32_e32 v1, v8, v1
	s_or_b32 s10, vcc_lo, s10
	global_store_b32 v[6:7], v1, off
	s_wait_xcnt 0x0
	s_and_not1_b32 exec_lo, exec_lo, s10
	s_cbranch_execz .LBB140_33
.LBB140_31:                             ; =>This Inner Loop Header: Depth=1
	s_clause 0x1
	global_load_b32 v5, v0, s[4:5] scale_offset
	global_load_b32 v2, v0, s[12:13] scale_offset
	v_ashrrev_i32_e32 v1, 31, v0
	s_and_not1_b32 vcc_lo, exec_lo, s9
	s_cbranch_vccz .LBB140_29
; %bb.32:                               ;   in Loop: Header=BB140_31 Depth=1
	v_mov_b32_e32 v6, 1.0
	s_branch .LBB140_30
.LBB140_33:
	s_endpgm
	.section	.rodata,"a",@progbits
	.p2align	6, 0x0
	.amdhsa_kernel _ZN2at6native12_GLOBAL__N_128layer_norm_grad_input_kernelIffLb1EEEvPKT_S5_PKT0_S8_S5_PS3_i
		.amdhsa_group_segment_fixed_size 0
		.amdhsa_private_segment_fixed_size 0
		.amdhsa_kernarg_size 312
		.amdhsa_user_sgpr_count 2
		.amdhsa_user_sgpr_dispatch_ptr 0
		.amdhsa_user_sgpr_queue_ptr 0
		.amdhsa_user_sgpr_kernarg_segment_ptr 1
		.amdhsa_user_sgpr_dispatch_id 0
		.amdhsa_user_sgpr_kernarg_preload_length 0
		.amdhsa_user_sgpr_kernarg_preload_offset 0
		.amdhsa_user_sgpr_private_segment_size 0
		.amdhsa_wavefront_size32 1
		.amdhsa_uses_dynamic_stack 0
		.amdhsa_enable_private_segment 0
		.amdhsa_system_sgpr_workgroup_id_x 1
		.amdhsa_system_sgpr_workgroup_id_y 0
		.amdhsa_system_sgpr_workgroup_id_z 0
		.amdhsa_system_sgpr_workgroup_info 0
		.amdhsa_system_vgpr_workitem_id 0
		.amdhsa_next_free_vgpr 20
		.amdhsa_next_free_sgpr 22
		.amdhsa_named_barrier_count 0
		.amdhsa_reserve_vcc 1
		.amdhsa_float_round_mode_32 0
		.amdhsa_float_round_mode_16_64 0
		.amdhsa_float_denorm_mode_32 3
		.amdhsa_float_denorm_mode_16_64 3
		.amdhsa_fp16_overflow 0
		.amdhsa_memory_ordered 1
		.amdhsa_forward_progress 1
		.amdhsa_inst_pref_size 13
		.amdhsa_round_robin_scheduling 0
		.amdhsa_exception_fp_ieee_invalid_op 0
		.amdhsa_exception_fp_denorm_src 0
		.amdhsa_exception_fp_ieee_div_zero 0
		.amdhsa_exception_fp_ieee_overflow 0
		.amdhsa_exception_fp_ieee_underflow 0
		.amdhsa_exception_fp_ieee_inexact 0
		.amdhsa_exception_int_div_zero 0
	.end_amdhsa_kernel
	.section	.text._ZN2at6native12_GLOBAL__N_128layer_norm_grad_input_kernelIffLb1EEEvPKT_S5_PKT0_S8_S5_PS3_i,"axG",@progbits,_ZN2at6native12_GLOBAL__N_128layer_norm_grad_input_kernelIffLb1EEEvPKT_S5_PKT0_S8_S5_PS3_i,comdat
.Lfunc_end140:
	.size	_ZN2at6native12_GLOBAL__N_128layer_norm_grad_input_kernelIffLb1EEEvPKT_S5_PKT0_S8_S5_PS3_i, .Lfunc_end140-_ZN2at6native12_GLOBAL__N_128layer_norm_grad_input_kernelIffLb1EEEvPKT_S5_PKT0_S8_S5_PS3_i
                                        ; -- End function
	.set _ZN2at6native12_GLOBAL__N_128layer_norm_grad_input_kernelIffLb1EEEvPKT_S5_PKT0_S8_S5_PS3_i.num_vgpr, 20
	.set _ZN2at6native12_GLOBAL__N_128layer_norm_grad_input_kernelIffLb1EEEvPKT_S5_PKT0_S8_S5_PS3_i.num_agpr, 0
	.set _ZN2at6native12_GLOBAL__N_128layer_norm_grad_input_kernelIffLb1EEEvPKT_S5_PKT0_S8_S5_PS3_i.numbered_sgpr, 22
	.set _ZN2at6native12_GLOBAL__N_128layer_norm_grad_input_kernelIffLb1EEEvPKT_S5_PKT0_S8_S5_PS3_i.num_named_barrier, 0
	.set _ZN2at6native12_GLOBAL__N_128layer_norm_grad_input_kernelIffLb1EEEvPKT_S5_PKT0_S8_S5_PS3_i.private_seg_size, 0
	.set _ZN2at6native12_GLOBAL__N_128layer_norm_grad_input_kernelIffLb1EEEvPKT_S5_PKT0_S8_S5_PS3_i.uses_vcc, 1
	.set _ZN2at6native12_GLOBAL__N_128layer_norm_grad_input_kernelIffLb1EEEvPKT_S5_PKT0_S8_S5_PS3_i.uses_flat_scratch, 0
	.set _ZN2at6native12_GLOBAL__N_128layer_norm_grad_input_kernelIffLb1EEEvPKT_S5_PKT0_S8_S5_PS3_i.has_dyn_sized_stack, 0
	.set _ZN2at6native12_GLOBAL__N_128layer_norm_grad_input_kernelIffLb1EEEvPKT_S5_PKT0_S8_S5_PS3_i.has_recursion, 0
	.set _ZN2at6native12_GLOBAL__N_128layer_norm_grad_input_kernelIffLb1EEEvPKT_S5_PKT0_S8_S5_PS3_i.has_indirect_call, 0
	.section	.AMDGPU.csdata,"",@progbits
; Kernel info:
; codeLenInByte = 1540
; TotalNumSgprs: 24
; NumVgprs: 20
; ScratchSize: 0
; MemoryBound: 0
; FloatMode: 240
; IeeeMode: 1
; LDSByteSize: 0 bytes/workgroup (compile time only)
; SGPRBlocks: 0
; VGPRBlocks: 1
; NumSGPRsForWavesPerEU: 24
; NumVGPRsForWavesPerEU: 20
; NamedBarCnt: 0
; Occupancy: 16
; WaveLimiterHint : 0
; COMPUTE_PGM_RSRC2:SCRATCH_EN: 0
; COMPUTE_PGM_RSRC2:USER_SGPR: 2
; COMPUTE_PGM_RSRC2:TRAP_HANDLER: 0
; COMPUTE_PGM_RSRC2:TGID_X_EN: 1
; COMPUTE_PGM_RSRC2:TGID_Y_EN: 0
; COMPUTE_PGM_RSRC2:TGID_Z_EN: 0
; COMPUTE_PGM_RSRC2:TIDIG_COMP_CNT: 0
	.section	.text._ZN2at6native12_GLOBAL__N_133GammaBetaBackwardSimpleCUDAKernelIffLb1EEEvllPKT_S5_PKT0_S8_PS3_S9_,"axG",@progbits,_ZN2at6native12_GLOBAL__N_133GammaBetaBackwardSimpleCUDAKernelIffLb1EEEvllPKT_S5_PKT0_S8_PS3_S9_,comdat
	.globl	_ZN2at6native12_GLOBAL__N_133GammaBetaBackwardSimpleCUDAKernelIffLb1EEEvllPKT_S5_PKT0_S8_PS3_S9_ ; -- Begin function _ZN2at6native12_GLOBAL__N_133GammaBetaBackwardSimpleCUDAKernelIffLb1EEEvllPKT_S5_PKT0_S8_PS3_S9_
	.p2align	8
	.type	_ZN2at6native12_GLOBAL__N_133GammaBetaBackwardSimpleCUDAKernelIffLb1EEEvllPKT_S5_PKT0_S8_PS3_S9_,@function
_ZN2at6native12_GLOBAL__N_133GammaBetaBackwardSimpleCUDAKernelIffLb1EEEvllPKT_S5_PKT0_S8_PS3_S9_: ; @_ZN2at6native12_GLOBAL__N_133GammaBetaBackwardSimpleCUDAKernelIffLb1EEEvllPKT_S5_PKT0_S8_PS3_S9_
; %bb.0:
	s_load_b32 s2, s[0:1], 0x4c
	s_bfe_u32 s12, ttmp6, 0x4000c
	s_load_b256 s[4:11], s[0:1], 0x0
	s_add_co_i32 s12, s12, 1
	s_and_b32 s3, ttmp6, 15
	s_mul_i32 s12, ttmp9, s12
	s_getreg_b32 s13, hwreg(HW_REG_IB_STS2, 6, 4)
	v_mov_b32_e32 v1, 0
	s_add_co_i32 s3, s3, s12
	s_wait_kmcnt 0x0
	s_and_b32 s2, s2, 0xffff
	s_cmp_eq_u32 s13, 0
	s_cselect_b32 s3, ttmp9, s3
	s_delay_alu instid0(SALU_CYCLE_1) | instskip(SKIP_1) | instid1(VALU_DEP_1)
	v_mad_nc_u64_u32 v[2:3], s2, s3, v[0:1]
	s_mov_b32 s2, exec_lo
	v_cmpx_gt_i64_e64 s[6:7], v[2:3]
	s_cbranch_execz .LBB141_8
; %bb.1:
	s_load_b128 s[12:15], s[0:1], 0x28
	s_wait_xcnt 0x0
	v_cmp_lt_i64_e64 s0, s[4:5], 1
	s_and_b32 vcc_lo, exec_lo, s0
	s_cbranch_vccnz .LBB141_6
; %bb.2:
	v_lshlrev_b64_e32 v[4:5], 2, v[2:3]
	v_mov_b32_e32 v1, 0
	s_wait_kmcnt 0x0
	s_cmp_lg_u64 s[14:15], 0
	s_cselect_b32 s2, -1, 0
	s_lshl_b64 s[0:1], s[6:7], 2
	s_branch .LBB141_4
.LBB141_3:                              ;   in Loop: Header=BB141_4 Depth=1
	v_add_nc_u64_e32 v[4:5], s[0:1], v[4:5]
	s_delay_alu instid0(VALU_DEP_2)
	v_add_f32_e32 v1, v1, v0
	s_add_nc_u64 s[4:5], s[4:5], -1
	s_add_nc_u64 s[12:13], s[12:13], 4
	s_cmp_eq_u64 s[4:5], 0
	s_cbranch_scc1 .LBB141_6
.LBB141_4:                              ; =>This Inner Loop Header: Depth=1
	v_mov_b32_e32 v0, 0
	s_and_not1_b32 vcc_lo, exec_lo, s2
	s_cbranch_vccnz .LBB141_3
; %bb.5:                                ;   in Loop: Header=BB141_4 Depth=1
	v_add_nc_u64_e32 v[6:7], s[8:9], v[4:5]
	v_add_nc_u64_e32 v[8:9], s[10:11], v[4:5]
	global_load_b32 v0, v[6:7], off
	global_load_b32 v10, v[8:9], off
	s_load_b32 s3, s[12:13], 0x0
	s_wait_loadcnt 0x0
	v_mul_f32_e32 v0, v0, v10
	s_wait_kmcnt 0x0
	s_delay_alu instid0(VALU_DEP_1)
	v_mul_f32_e32 v0, s3, v0
	s_branch .LBB141_3
.LBB141_6:
	s_wait_kmcnt 0x0
	s_cmp_lg_u64 s[14:15], 0
	s_cbranch_scc0 .LBB141_8
; %bb.7:
	v_lshl_add_u64 v[2:3], v[2:3], 2, s[14:15]
	global_store_b32 v[2:3], v1, off
.LBB141_8:
	s_endpgm
	.section	.rodata,"a",@progbits
	.p2align	6, 0x0
	.amdhsa_kernel _ZN2at6native12_GLOBAL__N_133GammaBetaBackwardSimpleCUDAKernelIffLb1EEEvllPKT_S5_PKT0_S8_PS3_S9_
		.amdhsa_group_segment_fixed_size 0
		.amdhsa_private_segment_fixed_size 0
		.amdhsa_kernarg_size 320
		.amdhsa_user_sgpr_count 2
		.amdhsa_user_sgpr_dispatch_ptr 0
		.amdhsa_user_sgpr_queue_ptr 0
		.amdhsa_user_sgpr_kernarg_segment_ptr 1
		.amdhsa_user_sgpr_dispatch_id 0
		.amdhsa_user_sgpr_kernarg_preload_length 0
		.amdhsa_user_sgpr_kernarg_preload_offset 0
		.amdhsa_user_sgpr_private_segment_size 0
		.amdhsa_wavefront_size32 1
		.amdhsa_uses_dynamic_stack 0
		.amdhsa_enable_private_segment 0
		.amdhsa_system_sgpr_workgroup_id_x 1
		.amdhsa_system_sgpr_workgroup_id_y 0
		.amdhsa_system_sgpr_workgroup_id_z 0
		.amdhsa_system_sgpr_workgroup_info 0
		.amdhsa_system_vgpr_workitem_id 0
		.amdhsa_next_free_vgpr 11
		.amdhsa_next_free_sgpr 16
		.amdhsa_named_barrier_count 0
		.amdhsa_reserve_vcc 1
		.amdhsa_float_round_mode_32 0
		.amdhsa_float_round_mode_16_64 0
		.amdhsa_float_denorm_mode_32 3
		.amdhsa_float_denorm_mode_16_64 3
		.amdhsa_fp16_overflow 0
		.amdhsa_memory_ordered 1
		.amdhsa_forward_progress 1
		.amdhsa_inst_pref_size 3
		.amdhsa_round_robin_scheduling 0
		.amdhsa_exception_fp_ieee_invalid_op 0
		.amdhsa_exception_fp_denorm_src 0
		.amdhsa_exception_fp_ieee_div_zero 0
		.amdhsa_exception_fp_ieee_overflow 0
		.amdhsa_exception_fp_ieee_underflow 0
		.amdhsa_exception_fp_ieee_inexact 0
		.amdhsa_exception_int_div_zero 0
	.end_amdhsa_kernel
	.section	.text._ZN2at6native12_GLOBAL__N_133GammaBetaBackwardSimpleCUDAKernelIffLb1EEEvllPKT_S5_PKT0_S8_PS3_S9_,"axG",@progbits,_ZN2at6native12_GLOBAL__N_133GammaBetaBackwardSimpleCUDAKernelIffLb1EEEvllPKT_S5_PKT0_S8_PS3_S9_,comdat
.Lfunc_end141:
	.size	_ZN2at6native12_GLOBAL__N_133GammaBetaBackwardSimpleCUDAKernelIffLb1EEEvllPKT_S5_PKT0_S8_PS3_S9_, .Lfunc_end141-_ZN2at6native12_GLOBAL__N_133GammaBetaBackwardSimpleCUDAKernelIffLb1EEEvllPKT_S5_PKT0_S8_PS3_S9_
                                        ; -- End function
	.set _ZN2at6native12_GLOBAL__N_133GammaBetaBackwardSimpleCUDAKernelIffLb1EEEvllPKT_S5_PKT0_S8_PS3_S9_.num_vgpr, 11
	.set _ZN2at6native12_GLOBAL__N_133GammaBetaBackwardSimpleCUDAKernelIffLb1EEEvllPKT_S5_PKT0_S8_PS3_S9_.num_agpr, 0
	.set _ZN2at6native12_GLOBAL__N_133GammaBetaBackwardSimpleCUDAKernelIffLb1EEEvllPKT_S5_PKT0_S8_PS3_S9_.numbered_sgpr, 16
	.set _ZN2at6native12_GLOBAL__N_133GammaBetaBackwardSimpleCUDAKernelIffLb1EEEvllPKT_S5_PKT0_S8_PS3_S9_.num_named_barrier, 0
	.set _ZN2at6native12_GLOBAL__N_133GammaBetaBackwardSimpleCUDAKernelIffLb1EEEvllPKT_S5_PKT0_S8_PS3_S9_.private_seg_size, 0
	.set _ZN2at6native12_GLOBAL__N_133GammaBetaBackwardSimpleCUDAKernelIffLb1EEEvllPKT_S5_PKT0_S8_PS3_S9_.uses_vcc, 1
	.set _ZN2at6native12_GLOBAL__N_133GammaBetaBackwardSimpleCUDAKernelIffLb1EEEvllPKT_S5_PKT0_S8_PS3_S9_.uses_flat_scratch, 0
	.set _ZN2at6native12_GLOBAL__N_133GammaBetaBackwardSimpleCUDAKernelIffLb1EEEvllPKT_S5_PKT0_S8_PS3_S9_.has_dyn_sized_stack, 0
	.set _ZN2at6native12_GLOBAL__N_133GammaBetaBackwardSimpleCUDAKernelIffLb1EEEvllPKT_S5_PKT0_S8_PS3_S9_.has_recursion, 0
	.set _ZN2at6native12_GLOBAL__N_133GammaBetaBackwardSimpleCUDAKernelIffLb1EEEvllPKT_S5_PKT0_S8_PS3_S9_.has_indirect_call, 0
	.section	.AMDGPU.csdata,"",@progbits
; Kernel info:
; codeLenInByte = 292
; TotalNumSgprs: 18
; NumVgprs: 11
; ScratchSize: 0
; MemoryBound: 0
; FloatMode: 240
; IeeeMode: 1
; LDSByteSize: 0 bytes/workgroup (compile time only)
; SGPRBlocks: 0
; VGPRBlocks: 0
; NumSGPRsForWavesPerEU: 18
; NumVGPRsForWavesPerEU: 11
; NamedBarCnt: 0
; Occupancy: 16
; WaveLimiterHint : 0
; COMPUTE_PGM_RSRC2:SCRATCH_EN: 0
; COMPUTE_PGM_RSRC2:USER_SGPR: 2
; COMPUTE_PGM_RSRC2:TRAP_HANDLER: 0
; COMPUTE_PGM_RSRC2:TGID_X_EN: 1
; COMPUTE_PGM_RSRC2:TGID_Y_EN: 0
; COMPUTE_PGM_RSRC2:TGID_Z_EN: 0
; COMPUTE_PGM_RSRC2:TIDIG_COMP_CNT: 0
	.section	.text._ZN2at6native12_GLOBAL__N_135GammaBetaBackwardCUDAKernelTemplateIffLj64ELj1ELj32ELb1ELb1ELb1EEEvllPKT_S5_PKT0_S8_PS3_S9_,"axG",@progbits,_ZN2at6native12_GLOBAL__N_135GammaBetaBackwardCUDAKernelTemplateIffLj64ELj1ELj32ELb1ELb1ELb1EEEvllPKT_S5_PKT0_S8_PS3_S9_,comdat
	.globl	_ZN2at6native12_GLOBAL__N_135GammaBetaBackwardCUDAKernelTemplateIffLj64ELj1ELj32ELb1ELb1ELb1EEEvllPKT_S5_PKT0_S8_PS3_S9_ ; -- Begin function _ZN2at6native12_GLOBAL__N_135GammaBetaBackwardCUDAKernelTemplateIffLj64ELj1ELj32ELb1ELb1ELb1EEEvllPKT_S5_PKT0_S8_PS3_S9_
	.p2align	8
	.type	_ZN2at6native12_GLOBAL__N_135GammaBetaBackwardCUDAKernelTemplateIffLj64ELj1ELj32ELb1ELb1ELb1EEEvllPKT_S5_PKT0_S8_PS3_S9_,@function
_ZN2at6native12_GLOBAL__N_135GammaBetaBackwardCUDAKernelTemplateIffLj64ELj1ELj32ELb1ELb1ELb1EEEvllPKT_S5_PKT0_S8_PS3_S9_: ; @_ZN2at6native12_GLOBAL__N_135GammaBetaBackwardCUDAKernelTemplateIffLj64ELj1ELj32ELb1ELb1ELb1EEEvllPKT_S5_PKT0_S8_PS3_S9_
; %bb.0:
	s_load_b128 s[4:7], s[0:1], 0x0
	s_bfe_u32 s2, ttmp6, 0x40010
	s_bfe_u32 s3, ttmp6, 0x40004
	s_add_co_i32 s2, s2, 1
	s_getreg_b32 s20, hwreg(HW_REG_IB_STS2, 6, 4)
	s_mul_i32 s2, ttmp7, s2
	v_mov_b32_e32 v27, 0
	s_add_co_i32 s3, s3, s2
	s_cmp_eq_u32 s20, 0
	v_bfe_u32 v2, v0, 10, 10
	s_cselect_b32 s21, ttmp7, s3
	s_mov_b32 s3, 0
	s_lshl_b32 s2, s21, 5
	v_and_b32_e32 v10, 0x3ff, v0
	s_wait_kmcnt 0x0
	v_cmp_le_i64_e64 s8, s[4:5], s[2:3]
	s_and_b32 vcc_lo, exec_lo, s8
	s_cbranch_vccnz .LBB142_5
; %bb.1:
	v_dual_mov_b32 v1, 0 :: v_dual_lshlrev_b32 v0, 5, v2
	s_clause 0x1
	s_load_b32 s12, s[0:1], 0x4c
	s_load_b32 s16, s[0:1], 0x44
	s_bfe_u32 s17, ttmp6, 0x4000c
	s_clause 0x1
	s_load_b128 s[8:11], s[0:1], 0x10
	s_load_b64 s[14:15], s[0:1], 0x28
	s_add_co_i32 s17, s17, 1
	v_add_nc_u64_e32 v[4:5], s[2:3], v[0:1]
	s_and_b32 s13, ttmp6, 15
	s_mul_i32 s17, ttmp9, s17
	v_dual_mov_b32 v12, 0x48 :: v_dual_mov_b32 v7, v1
	s_add_co_i32 s13, s13, s17
	v_dual_mov_b32 v14, 0x50 :: v_dual_mov_b32 v25, v1
	s_delay_alu instid0(VALU_DEP_3)
	v_mul_u64_e32 v[8:9], s[6:7], v[4:5]
	v_dual_mov_b32 v0, 60 :: v_dual_mov_b32 v3, 64
	v_mov_b32_e32 v11, 0x44
	v_mov_b32_e32 v13, 0x4c
	;; [unrolled: 1-line block ×4, first 2 shown]
	s_wait_kmcnt 0x0
	s_and_b32 s12, s12, 0xffff
	s_cmp_eq_u32 s20, 0
	v_mad_u32_u24 v6, v2, s12, v10
	s_cselect_b32 s12, ttmp9, s13
	s_mov_b32 s13, s3
	v_lshl_or_b32 v24, s12, 6, v10
	s_lshl_b32 s12, s16, 5
	v_and_b32_e32 v6, 31, v6
	v_mov_b32_e32 v17, 0x5c
	v_mov_b32_e32 v18, 0x60
	v_lshlrev_b64_e32 v[26:27], 2, v[24:25]
	v_mov_b32_e32 v19, 0x64
	v_add_nc_u64_e32 v[4:5], v[4:5], v[6:7]
	v_mov_b32_e32 v20, 0x68
	v_mov_b32_e32 v21, 0x6c
	;; [unrolled: 1-line block ×6, first 2 shown]
	v_lshl_add_u64 v[6:7], v[4:5], 2, s[14:15]
	s_mul_u64 s[16:17], s[6:7], s[12:13]
	s_lshl_b64 s[18:19], s[6:7], 2
	s_lshl_b64 s[14:15], s[16:17], 2
	;; [unrolled: 1-line block ×3, first 2 shown]
	v_lshl_add_u64 v[8:9], v[8:9], 2, v[26:27]
	v_mov_b32_e32 v27, 0
	s_branch .LBB142_3
.LBB142_2:                              ;   in Loop: Header=BB142_3 Depth=1
	s_wait_xcnt 0x0
	s_or_b32 exec_lo, exec_lo, s22
	v_add_nc_u64_e32 v[28:29], s[8:9], v[8:9]
	v_add_nc_u64_e32 v[30:31], s[10:11], v[8:9]
	s_add_nc_u64 s[2:3], s[2:3], s[12:13]
	v_add_nc_u64_e32 v[8:9], s[14:15], v[8:9]
	v_cmp_lt_i64_e64 s22, s[2:3], s[4:5]
	v_add_nc_u64_e32 v[6:7], s[16:17], v[6:7]
	v_add_nc_u64_e32 v[4:5], s[12:13], v[4:5]
	;; [unrolled: 1-line block ×4, first 2 shown]
	global_load_b32 v62, v[28:29], off
	global_load_b32 v63, v[30:31], off
	;; [unrolled: 1-line block ×4, first 2 shown]
	v_add_nc_u64_e32 v[36:37], s[18:19], v[32:33]
	v_add_nc_u64_e32 v[38:39], s[18:19], v[34:35]
	s_and_b32 vcc_lo, exec_lo, s22
	global_load_b32 v66, v[36:37], off
	global_load_b32 v67, v[38:39], off
	v_add_nc_u64_e32 v[40:41], s[18:19], v[36:37]
	v_add_nc_u64_e32 v[42:43], s[18:19], v[38:39]
	global_load_b32 v68, v[40:41], off
	global_load_b32 v69, v[42:43], off
	v_add_nc_u64_e32 v[44:45], s[18:19], v[40:41]
	v_add_nc_u64_e32 v[46:47], s[18:19], v[42:43]
	s_delay_alu instid0(VALU_DEP_2) | instskip(NEXT) | instid1(VALU_DEP_2)
	v_add_nc_u64_e32 v[48:49], s[18:19], v[44:45]
	v_add_nc_u64_e32 v[50:51], s[18:19], v[46:47]
	global_load_b32 v70, v[44:45], off
	global_load_b32 v71, v[46:47], off
	;; [unrolled: 1-line block ×3, first 2 shown]
	v_add_nc_u64_e32 v[52:53], s[18:19], v[48:49]
	v_add_nc_u64_e32 v[54:55], s[18:19], v[50:51]
	global_load_b32 v73, v[50:51], off
	global_load_b32 v74, v[52:53], off
	;; [unrolled: 1-line block ×3, first 2 shown]
	v_add_nc_u64_e32 v[56:57], s[18:19], v[52:53]
	v_add_nc_u64_e32 v[58:59], s[18:19], v[54:55]
	global_load_b32 v76, v[56:57], off
	global_load_b32 v77, v[58:59], off
	v_add_nc_u64_e32 v[60:61], s[18:19], v[56:57]
	s_wait_xcnt 0xf
	v_add_nc_u64_e32 v[28:29], s[18:19], v[58:59]
	global_load_b32 v58, v[60:61], off
	global_load_b32 v59, v[28:29], off
	v_add_nc_u64_e32 v[30:31], s[18:19], v[60:61]
	v_add_nc_u64_e32 v[32:33], s[18:19], v[28:29]
	global_load_b32 v60, v[30:31], off
	global_load_b32 v61, v[32:33], off
	v_add_nc_u64_e32 v[34:35], s[18:19], v[30:31]
	;; [unrolled: 4-line block ×3, first 2 shown]
	v_add_nc_u64_e32 v[40:41], s[18:19], v[36:37]
	s_delay_alu instid0(VALU_DEP_2) | instskip(NEXT) | instid1(VALU_DEP_2)
	v_add_nc_u64_e32 v[42:43], s[18:19], v[38:39]
	v_add_nc_u64_e32 v[44:45], s[18:19], v[40:41]
	global_load_b32 v80, v[38:39], off
	global_load_b32 v81, v[40:41], off
	;; [unrolled: 1-line block ×3, first 2 shown]
	v_add_nc_u64_e32 v[46:47], s[18:19], v[42:43]
	v_add_nc_u64_e32 v[48:49], s[18:19], v[44:45]
	global_load_b32 v83, v[44:45], off
	global_load_b32 v84, v[46:47], off
	;; [unrolled: 1-line block ×3, first 2 shown]
	v_add_nc_u64_e32 v[50:51], s[18:19], v[46:47]
	v_add_nc_u64_e32 v[52:53], s[18:19], v[48:49]
	global_load_b32 v86, v[50:51], off
	global_load_b32 v87, v[52:53], off
	v_add_nc_u64_e32 v[54:55], s[18:19], v[50:51]
	s_wait_xcnt 0xc
	v_add_nc_u64_e32 v[28:29], s[18:19], v[52:53]
	global_load_b32 v88, v[54:55], off
	global_load_b32 v89, v[28:29], off
	v_add_nc_u64_e32 v[56:57], s[18:19], v[54:55]
	s_wait_xcnt 0xd
	v_add_nc_u64_e32 v[30:31], s[18:19], v[28:29]
	global_load_b32 v90, v[56:57], off
	global_load_b32 v91, v[30:31], off
	s_wait_xcnt 0xe
	v_add_nc_u64_e32 v[32:33], s[18:19], v[56:57]
	s_wait_xcnt 0xd
	v_add_nc_u64_e32 v[34:35], s[18:19], v[30:31]
	s_wait_xcnt 0xc
	s_delay_alu instid0(VALU_DEP_2) | instskip(SKIP_1) | instid1(VALU_DEP_2)
	v_add_nc_u64_e32 v[36:37], s[18:19], v[32:33]
	s_wait_xcnt 0xb
	v_add_nc_u64_e32 v[38:39], s[18:19], v[34:35]
	global_load_b32 v92, v[32:33], off
	global_load_b32 v93, v[34:35], off
	;; [unrolled: 1-line block ×3, first 2 shown]
	s_wait_xcnt 0xd
	v_add_nc_u64_e32 v[40:41], s[18:19], v[36:37]
	s_wait_xcnt 0xc
	v_add_nc_u64_e32 v[42:43], s[18:19], v[38:39]
	s_wait_xcnt 0xb
	s_delay_alu instid0(VALU_DEP_2) | instskip(SKIP_1) | instid1(VALU_DEP_2)
	v_add_nc_u64_e32 v[44:45], s[18:19], v[40:41]
	s_wait_xcnt 0xa
	v_add_nc_u64_e32 v[46:47], s[18:19], v[42:43]
	global_load_b32 v95, v[38:39], off
	global_load_b32 v96, v[40:41], off
	;; [unrolled: 1-line block ×5, first 2 shown]
	v_add_nc_u64_e32 v[48:49], s[18:19], v[44:45]
	v_add_nc_u64_e32 v[28:29], s[18:19], v[46:47]
	global_load_b32 v37, v[48:49], off
	global_load_b32 v55, v[28:29], off
	v_add_nc_u64_e32 v[50:51], s[18:19], v[48:49]
	v_add_nc_u64_e32 v[30:31], s[18:19], v[28:29]
	s_delay_alu instid0(VALU_DEP_2) | instskip(NEXT) | instid1(VALU_DEP_2)
	v_add_nc_u64_e32 v[52:53], s[18:19], v[50:51]
	v_add_nc_u64_e32 v[32:33], s[18:19], v[30:31]
	global_load_b32 v44, v[50:51], off
	global_load_b32 v46, v[30:31], off
	;; [unrolled: 1-line block ×4, first 2 shown]
	v_add_nc_u64_e32 v[34:35], s[18:19], v[52:53]
	v_add_nc_u64_e32 v[38:39], s[18:19], v[32:33]
	s_delay_alu instid0(VALU_DEP_2) | instskip(SKIP_1) | instid1(VALU_DEP_2)
	v_add_nc_u64_e32 v[40:41], s[18:19], v[34:35]
	s_wait_xcnt 0x4
	v_add_nc_u64_e32 v[28:29], s[18:19], v[38:39]
	global_load_b32 v34, v[34:35], off
	global_load_b32 v52, v[38:39], off
	;; [unrolled: 1-line block ×4, first 2 shown]
	v_add_nc_u64_e32 v[42:43], s[18:19], v[40:41]
	v_add_nc_u64_e32 v[30:31], s[18:19], v[28:29]
	s_delay_alu instid0(VALU_DEP_2) | instskip(NEXT) | instid1(VALU_DEP_2)
	v_add_nc_u64_e32 v[32:33], s[18:19], v[42:43]
	v_add_nc_u64_e32 v[48:49], s[18:19], v[30:31]
	global_load_b32 v40, v[42:43], off
	global_load_b32 v56, v[30:31], off
                                        ; kill: killed $vgpr42_vgpr43
                                        ; kill: killed $vgpr30_vgpr31
	global_load_b32 v41, v[32:33], off
	global_load_b32 v57, v[48:49], off
	v_add_nc_u64_e32 v[50:51], s[18:19], v[32:33]
	s_wait_xcnt 0x4
	v_add_nc_u64_e32 v[28:29], s[18:19], v[48:49]
	s_delay_alu instid0(VALU_DEP_2) | instskip(SKIP_1) | instid1(VALU_DEP_2)
	v_add_nc_u64_e32 v[38:39], s[18:19], v[50:51]
	s_wait_xcnt 0x2
	v_add_nc_u64_e32 v[30:31], s[18:19], v[28:29]
	global_load_b32 v42, v[50:51], off
	global_load_b32 v48, v[28:29], off
                                        ; kill: killed $vgpr28_vgpr29
                                        ; kill: killed $vgpr50_vgpr51
	global_load_b32 v43, v[38:39], off
	global_load_b32 v49, v[30:31], off
	s_wait_loadcnt 0x3c
	s_wait_xcnt 0x3
	ds_bpermute_b32 v51, v11, v26
	v_mov_b32_e32 v50, 12
	v_add_nc_u64_e32 v[32:33], s[18:19], v[38:39]
	s_wait_xcnt 0x0
	v_add_nc_u64_e32 v[30:31], s[18:19], v[30:31]
	ds_bpermute_b32 v50, v50, v26
	v_add_nc_u64_e32 v[28:29], s[18:19], v[32:33]
	global_load_b32 v38, v[32:33], off
	global_load_b32 v39, v[28:29], off
	s_wait_xcnt 0x0
	v_add_nc_u64_e32 v[28:29], s[18:19], v[30:31]
	global_load_b32 v32, v[30:31], off
	global_load_b32 v33, v[28:29], off
	s_wait_xcnt 0x0
	ds_bpermute_b32 v28, v1, v26
	v_dual_mov_b32 v29, 4 :: v_dual_mov_b32 v30, 8
	ds_bpermute_b32 v29, v29, v26
	ds_bpermute_b32 v30, v30, v26
	s_wait_loadcnt 0x3e
	v_mul_f32_e32 v31, v62, v63
	s_wait_loadcnt_dscnt 0x3c02
	s_delay_alu instid0(VALU_DEP_1) | instskip(SKIP_1) | instid1(VALU_DEP_1)
	v_dual_fmac_f32 v27, v31, v28 :: v_dual_mul_f32 v28, v64, v65
	s_wait_dscnt 0x1
	v_dual_mov_b32 v31, 16 :: v_dual_fmac_f32 v27, v28, v29
	ds_bpermute_b32 v31, v31, v26
	s_wait_loadcnt 0x3a
	v_dual_mul_f32 v28, v66, v67 :: v_dual_mov_b32 v29, 20
	s_wait_dscnt 0x1
	s_delay_alu instid0(VALU_DEP_1)
	v_dual_fmac_f32 v27, v28, v30 :: v_dual_mov_b32 v30, 24
	ds_bpermute_b32 v29, v29, v26
	s_wait_loadcnt 0x38
	v_mul_f32_e32 v28, v68, v69
	ds_bpermute_b32 v30, v30, v26
	v_dual_fmac_f32 v27, v28, v50 :: v_dual_mov_b32 v50, 28
	ds_bpermute_b32 v50, v50, v26
	s_wait_loadcnt 0x36
	v_mul_f32_e32 v28, v70, v71
	s_wait_dscnt 0x3
	s_delay_alu instid0(VALU_DEP_1)
	v_dual_fmac_f32 v27, v28, v31 :: v_dual_mov_b32 v31, 32
	s_wait_loadcnt 0x34
	v_mul_f32_e32 v28, v72, v73
	ds_bpermute_b32 v31, v31, v26
	s_wait_loadcnt_dscnt 0x3203
	v_dual_fmac_f32 v27, v28, v29 :: v_dual_mul_f32 v28, v74, v75
	s_wait_dscnt 0x2
	s_delay_alu instid0(VALU_DEP_1)
	v_dual_mov_b32 v29, 36 :: v_dual_fmac_f32 v27, v28, v30
	v_mov_b32_e32 v30, 40
	ds_bpermute_b32 v29, v29, v26
	s_wait_loadcnt 0x30
	v_mul_f32_e32 v28, v76, v77
	ds_bpermute_b32 v30, v30, v26
	s_wait_loadcnt_dscnt 0x2e03
	v_dual_fmac_f32 v27, v28, v50 :: v_dual_mul_f32 v28, v58, v59
	v_mov_b32_e32 v50, 44
	ds_bpermute_b32 v58, v12, v26
	s_wait_dscnt 0x3
	v_dual_fmac_f32 v27, v28, v31 :: v_dual_mov_b32 v31, 48
	ds_bpermute_b32 v50, v50, v26
	s_wait_loadcnt 0x2c
	v_mul_f32_e32 v28, v60, v61
	ds_bpermute_b32 v31, v31, v26
	s_wait_loadcnt_dscnt 0x2a04
	v_dual_fmac_f32 v27, v28, v29 :: v_dual_mul_f32 v28, v78, v79
	s_wait_dscnt 0x3
	s_delay_alu instid0(VALU_DEP_1)
	v_dual_mov_b32 v29, 52 :: v_dual_fmac_f32 v27, v28, v30
	v_mov_b32_e32 v30, 56
	ds_bpermute_b32 v29, v29, v26
	ds_bpermute_b32 v30, v30, v26
	s_wait_loadcnt 0x28
	v_mul_f32_e32 v28, v80, v81
	s_wait_dscnt 0x3
	s_delay_alu instid0(VALU_DEP_1) | instskip(SKIP_4) | instid1(VALU_DEP_1)
	v_fmac_f32_e32 v27, v28, v50
	ds_bpermute_b32 v50, v0, v26
	s_wait_loadcnt 0x26
	v_mul_f32_e32 v28, v82, v83
	s_wait_dscnt 0x3
	v_fmac_f32_e32 v27, v28, v31
	ds_bpermute_b32 v31, v3, v26
	s_wait_loadcnt 0x24
	v_mul_f32_e32 v28, v84, v85
	s_wait_loadcnt_dscnt 0x2203
	s_delay_alu instid0(VALU_DEP_1)
	v_dual_fmac_f32 v27, v28, v29 :: v_dual_mul_f32 v28, v86, v87
	ds_bpermute_b32 v29, v15, v26
	s_wait_dscnt 0x3
	v_fmac_f32_e32 v27, v28, v30
	s_wait_loadcnt 0x20
	v_mul_f32_e32 v28, v88, v89
	s_wait_dscnt 0x2
	s_delay_alu instid0(VALU_DEP_1)
	v_fmac_f32_e32 v27, v28, v50
	ds_bpermute_b32 v28, v14, v26
	s_wait_loadcnt 0x1e
	v_mul_f32_e32 v30, v90, v91
	ds_bpermute_b32 v50, v13, v26
	s_wait_dscnt 0x3
	v_fmac_f32_e32 v27, v30, v31
	ds_bpermute_b32 v31, v17, v26
	s_wait_loadcnt 0x1c
	v_mul_f32_e32 v30, v92, v93
	s_delay_alu instid0(VALU_DEP_1) | instskip(SKIP_3) | instid1(VALU_DEP_1)
	v_fmac_f32_e32 v27, v30, v51
	ds_bpermute_b32 v30, v16, v26
	s_wait_loadcnt 0x1a
	v_mul_f32_e32 v51, v94, v95
	v_fmac_f32_e32 v27, v51, v58
	s_wait_loadcnt 0x14
	v_pk_mul_f32 v[36:37], v[36:37], v[54:55]
	s_wait_dscnt 0x3
	s_delay_alu instid0(VALU_DEP_1)
	v_pk_mul_f32 v[28:29], v[36:37], v[28:29]
	v_mul_f32_e32 v51, v96, v97
	ds_bpermute_b32 v36, v18, v26
	ds_bpermute_b32 v37, v19, v26
	s_wait_dscnt 0x4
	v_fmac_f32_e32 v27, v51, v50
	s_wait_loadcnt 0x10
	v_pk_mul_f32 v[44:45], v[44:45], v[46:47]
	s_delay_alu instid0(VALU_DEP_2) | instskip(NEXT) | instid1(VALU_DEP_1)
	v_add_f32_e32 v27, v27, v28
	v_add_f32_e32 v27, v27, v29
	s_wait_dscnt 0x2
	s_delay_alu instid0(VALU_DEP_3)
	v_pk_mul_f32 v[28:29], v[44:45], v[30:31]
	ds_bpermute_b32 v30, v20, v26
	ds_bpermute_b32 v31, v21, v26
	v_add_f32_e32 v27, v27, v28
	s_wait_loadcnt 0xc
	v_pk_mul_f32 v[34:35], v[34:35], v[52:53]
	s_delay_alu instid0(VALU_DEP_2) | instskip(SKIP_1) | instid1(VALU_DEP_2)
	v_add_f32_e32 v27, v27, v29
	s_wait_dscnt 0x2
	v_pk_mul_f32 v[28:29], v[34:35], v[36:37]
	ds_bpermute_b32 v34, v22, v26
	ds_bpermute_b32 v35, v23, v26
	v_add_f32_e32 v27, v27, v28
	s_wait_loadcnt 0x8
	v_pk_mul_f32 v[36:37], v[40:41], v[56:57]
	s_delay_alu instid0(VALU_DEP_2) | instskip(SKIP_1) | instid1(VALU_DEP_2)
	v_add_f32_e32 v27, v27, v29
	s_wait_dscnt 0x2
	;; [unrolled: 9-line block ×3, first 2 shown]
	v_pk_mul_f32 v[26:27], v[26:27], v[34:35]
	s_delay_alu instid0(VALU_DEP_1) | instskip(SKIP_2) | instid1(VALU_DEP_2)
	v_add_f32_e32 v26, v28, v26
	s_wait_loadcnt 0x0
	v_pk_mul_f32 v[28:29], v[38:39], v[32:33]
	v_add_f32_e32 v32, v26, v27
	s_wait_dscnt 0x0
	s_delay_alu instid0(VALU_DEP_2) | instskip(NEXT) | instid1(VALU_DEP_1)
	v_pk_mul_f32 v[26:27], v[28:29], v[30:31]
	v_add_f32_e32 v26, v32, v26
	s_delay_alu instid0(VALU_DEP_1)
	v_add_f32_e32 v27, v26, v27
	s_cbranch_vccz .LBB142_5
.LBB142_3:                              ; =>This Inner Loop Header: Depth=1
	v_mov_b32_e32 v26, 0
	s_mov_b32 s22, exec_lo
	v_cmpx_gt_i64_e64 s[4:5], v[4:5]
	s_cbranch_execz .LBB142_2
; %bb.4:                                ;   in Loop: Header=BB142_3 Depth=1
	global_load_b32 v26, v[6:7], off
	s_branch .LBB142_2
.LBB142_5:
	s_load_b64 s[2:3], s[0:1], 0x30
	s_wait_kmcnt 0x0
	s_cmp_eq_u64 s[2:3], 0
	s_cbranch_scc1 .LBB142_7
; %bb.6:
	s_load_u16 s0, s[0:1], 0x4e
	v_mov_b32_e32 v3, 0
	s_and_b32 s4, ttmp6, 15
	s_wait_xcnt 0x0
	s_mov_b32 s1, 0
	s_wait_kmcnt 0x0
	v_mad_nc_u64_u32 v[0:1], s0, s21, v[2:3]
	s_bfe_u32 s0, ttmp6, 0x4000c
	v_lshlrev_b32_e32 v2, 2, v10
	s_add_co_i32 s0, s0, 1
	s_delay_alu instid0(SALU_CYCLE_1) | instskip(NEXT) | instid1(SALU_CYCLE_1)
	s_mul_i32 s0, ttmp9, s0
	s_add_co_i32 s4, s4, s0
	s_cmp_eq_u32 s20, 0
	s_cselect_b32 s0, ttmp9, s4
	s_delay_alu instid0(VALU_DEP_2) | instskip(SKIP_1) | instid1(VALU_DEP_1)
	v_mul_u64_e32 v[0:1], s[6:7], v[0:1]
	s_lshl_b64 s[0:1], s[0:1], 8
	v_lshl_add_u64 v[0:1], v[0:1], 2, s[2:3]
	s_delay_alu instid0(VALU_DEP_1) | instskip(NEXT) | instid1(VALU_DEP_1)
	v_add_nc_u64_e32 v[0:1], s[0:1], v[0:1]
	v_add_nc_u64_e32 v[0:1], v[0:1], v[2:3]
	global_store_b32 v[0:1], v27, off
.LBB142_7:
	s_sendmsg sendmsg(MSG_DEALLOC_VGPRS)
	s_endpgm
	.section	.rodata,"a",@progbits
	.p2align	6, 0x0
	.amdhsa_kernel _ZN2at6native12_GLOBAL__N_135GammaBetaBackwardCUDAKernelTemplateIffLj64ELj1ELj32ELb1ELb1ELb1EEEvllPKT_S5_PKT0_S8_PS3_S9_
		.amdhsa_group_segment_fixed_size 0
		.amdhsa_private_segment_fixed_size 0
		.amdhsa_kernarg_size 320
		.amdhsa_user_sgpr_count 2
		.amdhsa_user_sgpr_dispatch_ptr 0
		.amdhsa_user_sgpr_queue_ptr 0
		.amdhsa_user_sgpr_kernarg_segment_ptr 1
		.amdhsa_user_sgpr_dispatch_id 0
		.amdhsa_user_sgpr_kernarg_preload_length 0
		.amdhsa_user_sgpr_kernarg_preload_offset 0
		.amdhsa_user_sgpr_private_segment_size 0
		.amdhsa_wavefront_size32 1
		.amdhsa_uses_dynamic_stack 0
		.amdhsa_enable_private_segment 0
		.amdhsa_system_sgpr_workgroup_id_x 1
		.amdhsa_system_sgpr_workgroup_id_y 1
		.amdhsa_system_sgpr_workgroup_id_z 0
		.amdhsa_system_sgpr_workgroup_info 0
		.amdhsa_system_vgpr_workitem_id 1
		.amdhsa_next_free_vgpr 98
		.amdhsa_next_free_sgpr 23
		.amdhsa_named_barrier_count 0
		.amdhsa_reserve_vcc 1
		.amdhsa_float_round_mode_32 0
		.amdhsa_float_round_mode_16_64 0
		.amdhsa_float_denorm_mode_32 3
		.amdhsa_float_denorm_mode_16_64 3
		.amdhsa_fp16_overflow 0
		.amdhsa_memory_ordered 1
		.amdhsa_forward_progress 1
		.amdhsa_inst_pref_size 21
		.amdhsa_round_robin_scheduling 0
		.amdhsa_exception_fp_ieee_invalid_op 0
		.amdhsa_exception_fp_denorm_src 0
		.amdhsa_exception_fp_ieee_div_zero 0
		.amdhsa_exception_fp_ieee_overflow 0
		.amdhsa_exception_fp_ieee_underflow 0
		.amdhsa_exception_fp_ieee_inexact 0
		.amdhsa_exception_int_div_zero 0
	.end_amdhsa_kernel
	.section	.text._ZN2at6native12_GLOBAL__N_135GammaBetaBackwardCUDAKernelTemplateIffLj64ELj1ELj32ELb1ELb1ELb1EEEvllPKT_S5_PKT0_S8_PS3_S9_,"axG",@progbits,_ZN2at6native12_GLOBAL__N_135GammaBetaBackwardCUDAKernelTemplateIffLj64ELj1ELj32ELb1ELb1ELb1EEEvllPKT_S5_PKT0_S8_PS3_S9_,comdat
.Lfunc_end142:
	.size	_ZN2at6native12_GLOBAL__N_135GammaBetaBackwardCUDAKernelTemplateIffLj64ELj1ELj32ELb1ELb1ELb1EEEvllPKT_S5_PKT0_S8_PS3_S9_, .Lfunc_end142-_ZN2at6native12_GLOBAL__N_135GammaBetaBackwardCUDAKernelTemplateIffLj64ELj1ELj32ELb1ELb1ELb1EEEvllPKT_S5_PKT0_S8_PS3_S9_
                                        ; -- End function
	.set _ZN2at6native12_GLOBAL__N_135GammaBetaBackwardCUDAKernelTemplateIffLj64ELj1ELj32ELb1ELb1ELb1EEEvllPKT_S5_PKT0_S8_PS3_S9_.num_vgpr, 98
	.set _ZN2at6native12_GLOBAL__N_135GammaBetaBackwardCUDAKernelTemplateIffLj64ELj1ELj32ELb1ELb1ELb1EEEvllPKT_S5_PKT0_S8_PS3_S9_.num_agpr, 0
	.set _ZN2at6native12_GLOBAL__N_135GammaBetaBackwardCUDAKernelTemplateIffLj64ELj1ELj32ELb1ELb1ELb1EEEvllPKT_S5_PKT0_S8_PS3_S9_.numbered_sgpr, 23
	.set _ZN2at6native12_GLOBAL__N_135GammaBetaBackwardCUDAKernelTemplateIffLj64ELj1ELj32ELb1ELb1ELb1EEEvllPKT_S5_PKT0_S8_PS3_S9_.num_named_barrier, 0
	.set _ZN2at6native12_GLOBAL__N_135GammaBetaBackwardCUDAKernelTemplateIffLj64ELj1ELj32ELb1ELb1ELb1EEEvllPKT_S5_PKT0_S8_PS3_S9_.private_seg_size, 0
	.set _ZN2at6native12_GLOBAL__N_135GammaBetaBackwardCUDAKernelTemplateIffLj64ELj1ELj32ELb1ELb1ELb1EEEvllPKT_S5_PKT0_S8_PS3_S9_.uses_vcc, 1
	.set _ZN2at6native12_GLOBAL__N_135GammaBetaBackwardCUDAKernelTemplateIffLj64ELj1ELj32ELb1ELb1ELb1EEEvllPKT_S5_PKT0_S8_PS3_S9_.uses_flat_scratch, 0
	.set _ZN2at6native12_GLOBAL__N_135GammaBetaBackwardCUDAKernelTemplateIffLj64ELj1ELj32ELb1ELb1ELb1EEEvllPKT_S5_PKT0_S8_PS3_S9_.has_dyn_sized_stack, 0
	.set _ZN2at6native12_GLOBAL__N_135GammaBetaBackwardCUDAKernelTemplateIffLj64ELj1ELj32ELb1ELb1ELb1EEEvllPKT_S5_PKT0_S8_PS3_S9_.has_recursion, 0
	.set _ZN2at6native12_GLOBAL__N_135GammaBetaBackwardCUDAKernelTemplateIffLj64ELj1ELj32ELb1ELb1ELb1EEEvllPKT_S5_PKT0_S8_PS3_S9_.has_indirect_call, 0
	.section	.AMDGPU.csdata,"",@progbits
; Kernel info:
; codeLenInByte = 2644
; TotalNumSgprs: 25
; NumVgprs: 98
; ScratchSize: 0
; MemoryBound: 0
; FloatMode: 240
; IeeeMode: 1
; LDSByteSize: 0 bytes/workgroup (compile time only)
; SGPRBlocks: 0
; VGPRBlocks: 6
; NumSGPRsForWavesPerEU: 25
; NumVGPRsForWavesPerEU: 98
; NamedBarCnt: 0
; Occupancy: 9
; WaveLimiterHint : 0
; COMPUTE_PGM_RSRC2:SCRATCH_EN: 0
; COMPUTE_PGM_RSRC2:USER_SGPR: 2
; COMPUTE_PGM_RSRC2:TRAP_HANDLER: 0
; COMPUTE_PGM_RSRC2:TGID_X_EN: 1
; COMPUTE_PGM_RSRC2:TGID_Y_EN: 1
; COMPUTE_PGM_RSRC2:TGID_Z_EN: 0
; COMPUTE_PGM_RSRC2:TIDIG_COMP_CNT: 1
	.section	.text._ZN2at6native12_GLOBAL__N_135GammaBetaBackwardCUDAKernelTemplateIffLj64ELj1ELj32ELb1ELb0ELb1EEEvllPKT_S5_PKT0_S8_PS3_S9_,"axG",@progbits,_ZN2at6native12_GLOBAL__N_135GammaBetaBackwardCUDAKernelTemplateIffLj64ELj1ELj32ELb1ELb0ELb1EEEvllPKT_S5_PKT0_S8_PS3_S9_,comdat
	.globl	_ZN2at6native12_GLOBAL__N_135GammaBetaBackwardCUDAKernelTemplateIffLj64ELj1ELj32ELb1ELb0ELb1EEEvllPKT_S5_PKT0_S8_PS3_S9_ ; -- Begin function _ZN2at6native12_GLOBAL__N_135GammaBetaBackwardCUDAKernelTemplateIffLj64ELj1ELj32ELb1ELb0ELb1EEEvllPKT_S5_PKT0_S8_PS3_S9_
	.p2align	8
	.type	_ZN2at6native12_GLOBAL__N_135GammaBetaBackwardCUDAKernelTemplateIffLj64ELj1ELj32ELb1ELb0ELb1EEEvllPKT_S5_PKT0_S8_PS3_S9_,@function
_ZN2at6native12_GLOBAL__N_135GammaBetaBackwardCUDAKernelTemplateIffLj64ELj1ELj32ELb1ELb0ELb1EEEvllPKT_S5_PKT0_S8_PS3_S9_: ; @_ZN2at6native12_GLOBAL__N_135GammaBetaBackwardCUDAKernelTemplateIffLj64ELj1ELj32ELb1ELb0ELb1EEEvllPKT_S5_PKT0_S8_PS3_S9_
; %bb.0:
	s_load_b256 s[4:11], s[0:1], 0x0
	s_bfe_u32 s3, ttmp6, 0x4000c
	s_bfe_u32 s12, ttmp6, 0x40010
	s_add_co_i32 s3, s3, 1
	s_add_co_i32 s12, s12, 1
	s_and_b32 s2, ttmp6, 15
	s_bfe_u32 s13, ttmp6, 0x40004
	s_mul_i32 s3, ttmp9, s3
	s_mul_i32 s12, ttmp7, s12
	s_getreg_b32 s14, hwreg(HW_REG_IB_STS2, 6, 4)
	s_add_co_i32 s2, s2, s3
	s_add_co_i32 s13, s13, s12
	s_cmp_eq_u32 s14, 0
	s_mov_b32 s17, 0
	s_cselect_b32 s12, ttmp9, s2
	s_cselect_b32 s30, ttmp7, s13
	s_lshl_b32 s13, s12, 6
	s_load_b64 s[14:15], s[0:1], 0x28
	s_or_b32 s16, s13, 63
	s_wait_kmcnt 0x0
	v_cmp_le_i64_e64 s2, s[6:7], s[16:17]
	s_lshl_b32 s16, s30, 5
	s_delay_alu instid0(SALU_CYCLE_1) | instskip(SKIP_2) | instid1(VALU_DEP_1)
	v_cmp_gt_i64_e64 s31, s[4:5], s[16:17]
	s_and_b32 vcc_lo, exec_lo, s2
	v_cndmask_b32_e64 v1, 0, 1, s31
	v_cmp_ne_u32_e64 s2, 1, v1
	s_cbranch_vccz .LBB143_141
; %bb.1:
	s_set_vgpr_msb 64                       ;  msbs: dst=1 src0=0 src1=0 src2=0
	v_mov_b32_e32 v38 /*v294*/, 0
	s_and_b32 vcc_lo, exec_lo, s2
	s_set_vgpr_msb 0                        ;  msbs: dst=0 src0=0 src1=0 src2=0
	s_cbranch_vccnz .LBB143_142
; %bb.2:
	v_bfe_u32 v1, v0, 10, 10
	v_mov_b32_e32 v2, 0
	v_and_b32_e32 v182, 0x3ff, v0
	s_load_b32 s3, s[0:1], 0x44
	s_mov_b32 s19, 0
	s_delay_alu instid0(VALU_DEP_2) | instskip(NEXT) | instid1(VALU_DEP_2)
	v_dual_mov_b32 v37, v2 :: v_dual_lshlrev_b32 v36, 5, v1
	v_dual_mov_b32 v9, v2 :: v_dual_add_nc_u32 v8, s13, v182
	v_mov_b32_e32 v183, 0
	s_mov_b32 s23, s19
	s_delay_alu instid0(VALU_DEP_3)
	v_add_nc_u64_e32 v[4:5], s[16:17], v[36:37]
	s_add_nc_u64 s[20:21], s[0:1], 64
	v_cmp_gt_i64_e64 s2, s[6:7], v[8:9]
	v_lshlrev_b64_e32 v[38:39], 2, v[8:9]
	s_mov_b64 s[26:27], 31
	s_mov_b64 s[28:29], s[16:17]
	v_add_nc_u64_e32 v[10:11], 31, v[4:5]
	v_add_nc_u64_e32 v[14:15], 29, v[4:5]
	;; [unrolled: 1-line block ×7, first 2 shown]
	v_mul_u64_e32 v[10:11], s[6:7], v[10:11]
	v_mul_u64_e32 v[14:15], s[6:7], v[14:15]
	v_mul_u64_e32 v[16:17], s[6:7], v[16:17]
	v_mul_u64_e32 v[8:9], s[6:7], v[8:9]
	v_mul_u64_e32 v[26:27], s[6:7], v[26:27]
	v_mul_u64_e32 v[12:13], s[6:7], v[12:13]
	v_add_nc_u64_e32 v[18:19], 27, v[4:5]
	v_add_nc_u64_e32 v[22:23], 25, v[4:5]
	;; [unrolled: 1-line block ×3, first 2 shown]
	v_mul_u64_e32 v[24:25], s[6:7], v[24:25]
	v_add_nc_u64_e32 v[30:31], 20, v[4:5]
	v_add_nc_u64_e32 v[32:33], 19, v[4:5]
	;; [unrolled: 1-line block ×3, first 2 shown]
	v_mul_u64_e32 v[18:19], s[6:7], v[18:19]
	v_mul_u64_e32 v[22:23], s[6:7], v[22:23]
	v_mul_u64_e32 v[28:29], s[6:7], v[28:29]
	v_add_nc_u64_e32 v[20:21], 26, v[4:5]
	v_mul_u64_e32 v[30:31], s[6:7], v[30:31]
	v_mul_u64_e32 v[32:33], s[6:7], v[32:33]
	;; [unrolled: 1-line block ×4, first 2 shown]
	s_wait_kmcnt 0x0
	s_lshl_b32 s22, s3, 5
	v_mul_u64_e32 v[20:21], s[6:7], v[20:21]
	s_mul_u64 s[24:25], s[6:7], s[22:23]
	s_delay_alu instid0(SALU_CYCLE_1)
	s_lshl_b64 s[24:25], s[24:25], 2
	v_lshlrev_b64_e32 v[10:11], 2, v[10:11]
	v_lshlrev_b64_e32 v[14:15], 2, v[14:15]
	;; [unrolled: 1-line block ×5, first 2 shown]
	v_add_nc_u64_e32 v[44:45], s[8:9], v[10:11]
	v_add_nc_u64_e32 v[46:47], s[10:11], v[10:11]
	;; [unrolled: 1-line block ×8, first 2 shown]
	v_lshlrev_b64_e32 v[16:17], 2, v[26:27]
	v_mul_u64_e32 v[10:11], s[6:7], v[10:11]
	v_add_nc_u64_e32 v[76:77], s[8:9], v[8:9]
	v_add_nc_u64_e32 v[78:79], s[10:11], v[8:9]
	v_add_nc_u64_e32 v[48:49], s[8:9], v[12:13]
	v_add_nc_u64_e32 v[50:51], s[10:11], v[12:13]
	v_mul_u64_e32 v[8:9], s[6:7], v[14:15]
	v_add_nc_u64_e32 v[80:81], s[8:9], v[16:17]
	v_add_nc_u64_e32 v[82:83], s[10:11], v[16:17]
	v_add_nc_u64_e32 v[16:17], 14, v[4:5]
	v_lshlrev_b64_e32 v[12:13], 2, v[24:25]
	v_lshlrev_b64_e32 v[18:19], 2, v[18:19]
	;; [unrolled: 1-line block ×3, first 2 shown]
	v_add_nc_u64_e32 v[14:15], 15, v[4:5]
	v_add_nc_u64_e32 v[24:25], 11, v[4:5]
	;; [unrolled: 1-line block ×3, first 2 shown]
	v_mul_u64_e32 v[16:17], s[6:7], v[16:17]
	v_add_nc_u64_e32 v[72:73], s[8:9], v[12:13]
	v_add_nc_u64_e32 v[74:75], s[10:11], v[12:13]
	v_lshlrev_b64_e32 v[12:13], 2, v[28:29]
	v_add_nc_u64_e32 v[60:61], s[8:9], v[18:19]
	v_add_nc_u64_e32 v[62:63], s[10:11], v[18:19]
	;; [unrolled: 1-line block ×4, first 2 shown]
	v_lshlrev_b64_e32 v[18:19], 2, v[30:31]
	v_lshlrev_b64_e32 v[22:23], 2, v[34:35]
	v_add_nc_u64_e32 v[84:85], s[8:9], v[12:13]
	v_add_nc_u64_e32 v[86:87], s[10:11], v[12:13]
	v_lshlrev_b64_e32 v[12:13], 2, v[32:33]
	v_lshlrev_b64_e32 v[20:21], 2, v[20:21]
	v_mul_u64_e32 v[14:15], s[6:7], v[14:15]
	v_add_nc_u64_e32 v[88:89], s[8:9], v[18:19]
	v_add_nc_u64_e32 v[90:91], s[10:11], v[18:19]
	;; [unrolled: 1-line block ×7, first 2 shown]
	v_mul_u64_e32 v[24:25], s[6:7], v[24:25]
	v_lshlrev_b64_e32 v[10:11], 2, v[10:11]
	v_add_nc_u64_e32 v[28:29], 8, v[4:5]
	v_add_nc_u64_e32 v[98:99], s[10:11], v[22:23]
	v_mul_u64_e32 v[22:23], s[6:7], v[26:27]
	v_add_nc_u64_e32 v[26:27], 6, v[4:5]
	v_add_nc_u64_e32 v[64:65], s[8:9], v[20:21]
	;; [unrolled: 1-line block ×4, first 2 shown]
	v_mul_u64_e32 v[18:19], s[6:7], v[18:19]
	v_mul_u64_e32 v[12:13], s[6:7], v[12:13]
	v_add_nc_u64_e32 v[30:31], 7, v[4:5]
	v_lshlrev_b64_e32 v[8:9], 2, v[8:9]
	v_mul_u64_e32 v[28:29], s[6:7], v[28:29]
	v_add_nc_u64_e32 v[100:101], s[8:9], v[10:11]
	v_add_nc_u64_e32 v[32:33], 5, v[4:5]
	;; [unrolled: 1-line block ×3, first 2 shown]
	v_mul_u64_e32 v[10:11], s[6:7], v[26:27]
	v_add_nc_u64_e32 v[26:27], 4, v[4:5]
	v_add_nc_u64_e32 v[34:35], 3, v[4:5]
	;; [unrolled: 1-line block ×3, first 2 shown]
	v_mul_u64_e32 v[20:21], s[6:7], v[20:21]
	v_mul_u64_e32 v[30:31], s[6:7], v[30:31]
	v_add_nc_u64_e32 v[104:105], s[8:9], v[8:9]
	v_mul_u64_e32 v[32:33], s[6:7], v[32:33]
	v_add_nc_u64_e32 v[106:107], s[10:11], v[8:9]
	v_lshlrev_b64_e32 v[8:9], 2, v[16:17]
	v_mul_u64_e32 v[16:17], s[6:7], v[26:27]
	v_mul_u64_e32 v[26:27], s[6:7], v[34:35]
	;; [unrolled: 1-line block ×3, first 2 shown]
	v_lshlrev_b64_e32 v[14:15], 2, v[14:15]
	v_lshlrev_b64_e32 v[42:43], 2, v[6:7]
	v_add_nc_u64_e32 v[6:7], s[6:7], v[6:7]
	v_add_nc_u64_e32 v[112:113], s[8:9], v[8:9]
	;; [unrolled: 1-line block ×3, first 2 shown]
	v_lshlrev_b64_e32 v[8:9], 2, v[24:25]
	v_add_nc_u64_e32 v[108:109], s[8:9], v[14:15]
	v_add_nc_u64_e32 v[110:111], s[10:11], v[14:15]
	v_lshlrev_b64_e32 v[6:7], 2, v[6:7]
	v_add_nc_u64_e32 v[40:41], s[8:9], v[42:43]
	v_lshlrev_b64_e32 v[14:15], 2, v[18:19]
	v_lshlrev_b64_e32 v[12:13], 2, v[12:13]
	v_add_nc_u64_e32 v[124:125], s[8:9], v[8:9]
	v_add_nc_u64_e32 v[126:127], s[10:11], v[8:9]
	v_lshlrev_b64_e32 v[8:9], 2, v[28:29]
	v_add_nc_u64_e32 v[42:43], s[10:11], v[42:43]
	v_add_nc_u64_e32 v[164:165], s[8:9], v[6:7]
	;; [unrolled: 1-line block ×3, first 2 shown]
	v_lshlrev_b64_e32 v[10:11], 2, v[10:11]
	v_add_nc_u64_e32 v[122:123], s[10:11], v[14:15]
	v_lshlrev_b64_e32 v[14:15], 2, v[22:23]
	v_add_nc_u64_e32 v[128:129], s[8:9], v[12:13]
	v_lshlrev_b64_e32 v[20:21], 2, v[20:21]
	v_lshlrev_b64_e32 v[18:19], 2, v[30:31]
	v_add_nc_u64_e32 v[130:131], s[10:11], v[12:13]
	v_add_nc_u64_e32 v[136:137], s[8:9], v[8:9]
	v_add_nc_u64_e32 v[138:139], s[10:11], v[8:9]
	v_lshlrev_b64_e32 v[8:9], 2, v[32:33]
	v_add_nc_u64_e32 v[144:145], s[8:9], v[10:11]
	v_lshlrev_b64_e32 v[12:13], 2, v[16:17]
	v_add_nc_u64_e32 v[146:147], s[10:11], v[10:11]
	v_lshlrev_b64_e32 v[10:11], 2, v[26:27]
	v_lshlrev_b64_e32 v[4:5], 2, v[4:5]
	v_add_nc_u64_e32 v[116:117], s[8:9], v[20:21]
	v_add_nc_u64_e32 v[118:119], s[10:11], v[20:21]
	;; [unrolled: 1-line block ×15, first 2 shown]
.LBB143_3:                              ; =>This Inner Loop Header: Depth=1
	s_add_nc_u64 s[34:35], s[16:17], s[26:27]
	v_add_nc_u64_e32 v[168:169], s[16:17], v[36:37]
	v_cmp_ge_i64_e64 s3, s[34:35], s[4:5]
                                        ; implicit-def: $vgpr294
                                        ; implicit-def: $vgpr202
                                        ; implicit-def: $vgpr4_vgpr5_vgpr6_vgpr7_vgpr8_vgpr9_vgpr10_vgpr11_vgpr12_vgpr13_vgpr14_vgpr15_vgpr16_vgpr17_vgpr18_vgpr19_vgpr20_vgpr21_vgpr22_vgpr23_vgpr24_vgpr25_vgpr26_vgpr27_vgpr28_vgpr29_vgpr30_vgpr31_vgpr32_vgpr33_vgpr34_vgpr35
                                        ; implicit-def: $vgpr3
	s_and_b32 vcc_lo, exec_lo, s3
	s_mov_b32 s3, -1
	s_cbranch_vccz .LBB143_71
; %bb.4:                                ;   in Loop: Header=BB143_3 Depth=1
	s_load_b32 s3, s[20:21], 0xc
	v_dual_mov_b32 v185, 0 :: v_dual_mov_b32 v184, 0
	v_mov_b32_e32 v5, v2
	s_wait_kmcnt 0x0
	s_and_b32 s3, s3, 0xffff
	s_delay_alu instid0(SALU_CYCLE_1) | instskip(SKIP_1) | instid1(VALU_DEP_1)
	v_mad_u32_u24 v3, v1, s3, v182
	s_mov_b32 s3, exec_lo
	v_and_b32_e32 v4, 31, v3
	s_delay_alu instid0(VALU_DEP_1) | instskip(NEXT) | instid1(VALU_DEP_1)
	v_add_nc_u64_e32 v[4:5], v[168:169], v[4:5]
	v_cmpx_gt_i64_e64 s[4:5], v[4:5]
	s_cbranch_execz .LBB143_6
; %bb.5:                                ;   in Loop: Header=BB143_3 Depth=1
	v_lshl_add_u64 v[4:5], v[4:5], 2, s[14:15]
	global_load_b32 v184, v[4:5], off
.LBB143_6:                              ;   in Loop: Header=BB143_3 Depth=1
	s_wait_xcnt 0x0
	s_or_b32 exec_lo, exec_lo, s3
	v_dual_mov_b32 v31, v2 :: v_dual_mov_b32 v32, v2
	v_dual_mov_b32 v33, v2 :: v_dual_mov_b32 v3, v2
	v_dual_mov_b32 v4, v2 :: v_dual_mov_b32 v5, v2
	v_dual_mov_b32 v6, v2 :: v_dual_mov_b32 v7, v2
	v_dual_mov_b32 v8, v2 :: v_dual_mov_b32 v9, v2
	v_dual_mov_b32 v10, v2 :: v_dual_mov_b32 v11, v2
	v_dual_mov_b32 v12, v2 :: v_dual_mov_b32 v13, v2
	v_dual_mov_b32 v14, v2 :: v_dual_mov_b32 v15, v2
	v_dual_mov_b32 v16, v2 :: v_dual_mov_b32 v17, v2
	v_dual_mov_b32 v18, v2 :: v_dual_mov_b32 v19, v2
	v_dual_mov_b32 v20, v2 :: v_dual_mov_b32 v21, v2
	v_dual_mov_b32 v22, v2 :: v_dual_mov_b32 v23, v2
	v_dual_mov_b32 v24, v2 :: v_dual_mov_b32 v25, v2
	v_dual_mov_b32 v26, v2 :: v_dual_mov_b32 v27, v2
	v_dual_mov_b32 v28, v2 :: v_dual_mov_b32 v29, v2
	v_mov_b32_e32 v30, v2
	v_cmp_gt_i64_e32 vcc_lo, s[4:5], v[168:169]
	v_mov_b64_e32 v[34:35], v[32:33]
	s_delay_alu instid0(VALU_DEP_3)
	v_mov_b64_e32 v[32:33], v[30:31]
	v_mov_b64_e32 v[30:31], v[28:29]
	;; [unrolled: 1-line block ×15, first 2 shown]
	s_and_b32 s18, s2, vcc_lo
	s_delay_alu instid0(SALU_CYCLE_1)
	s_and_saveexec_b32 s3, s18
	s_cbranch_execz .LBB143_8
; %bb.7:                                ;   in Loop: Header=BB143_3 Depth=1
	v_add_nc_u64_e32 v[6:7], v[40:41], v[38:39]
	v_add_nc_u64_e32 v[8:9], v[42:43], v[38:39]
	v_dual_mov_b32 v5, v2 :: v_dual_mov_b32 v11, v2
	v_dual_mov_b32 v12, v2 :: v_dual_mov_b32 v13, v2
	v_mov_b32_e32 v14, v2
	global_load_b32 v4, v[6:7], off
	global_load_b32 v185, v[8:9], off
	s_wait_xcnt 0x1
	v_dual_mov_b32 v6, v2 :: v_dual_mov_b32 v7, v2
	s_wait_xcnt 0x0
	v_dual_mov_b32 v8, v2 :: v_dual_mov_b32 v9, v2
	v_dual_mov_b32 v10, v2 :: v_dual_mov_b32 v15, v2
	;; [unrolled: 1-line block ×12, first 2 shown]
.LBB143_8:                              ;   in Loop: Header=BB143_3 Depth=1
	s_or_b32 exec_lo, exec_lo, s3
	v_add_nc_u64_e32 v[170:171], 1, v[168:169]
	v_dual_mov_b32 v3, 0 :: v_dual_mov_b32 v186, 0
	s_delay_alu instid0(VALU_DEP_2) | instskip(SKIP_1) | instid1(SALU_CYCLE_1)
	v_cmp_gt_i64_e32 vcc_lo, s[4:5], v[170:171]
	s_and_b32 s18, s2, vcc_lo
	s_and_saveexec_b32 s3, s18
	s_cbranch_execz .LBB143_10
; %bb.9:                                ;   in Loop: Header=BB143_3 Depth=1
	v_add_nc_u64_e32 v[170:171], v[164:165], v[38:39]
	v_add_nc_u64_e32 v[172:173], v[166:167], v[38:39]
	global_load_b32 v5, v[170:171], off
	global_load_b32 v186, v[172:173], off
.LBB143_10:                             ;   in Loop: Header=BB143_3 Depth=1
	s_wait_xcnt 0x0
	s_or_b32 exec_lo, exec_lo, s3
	v_add_nc_u64_e32 v[170:171], 2, v[168:169]
	s_delay_alu instid0(VALU_DEP_1) | instskip(SKIP_1) | instid1(SALU_CYCLE_1)
	v_cmp_gt_i64_e32 vcc_lo, s[4:5], v[170:171]
	s_and_b32 s18, s2, vcc_lo
	s_and_saveexec_b32 s3, s18
	s_cbranch_execz .LBB143_12
; %bb.11:                               ;   in Loop: Header=BB143_3 Depth=1
	v_add_nc_u64_e32 v[170:171], v[160:161], v[38:39]
	v_add_nc_u64_e32 v[172:173], v[162:163], v[38:39]
	global_load_b32 v6, v[170:171], off
	global_load_b32 v3, v[172:173], off
.LBB143_12:                             ;   in Loop: Header=BB143_3 Depth=1
	s_wait_xcnt 0x0
	s_or_b32 exec_lo, exec_lo, s3
	v_add_nc_u64_e32 v[170:171], 3, v[168:169]
	v_dual_mov_b32 v187, 0 :: v_dual_mov_b32 v188, 0
	s_delay_alu instid0(VALU_DEP_2) | instskip(SKIP_1) | instid1(SALU_CYCLE_1)
	v_cmp_gt_i64_e32 vcc_lo, s[4:5], v[170:171]
	s_and_b32 s18, s2, vcc_lo
	s_and_saveexec_b32 s3, s18
	s_cbranch_execz .LBB143_14
; %bb.13:                               ;   in Loop: Header=BB143_3 Depth=1
	v_add_nc_u64_e32 v[170:171], v[156:157], v[38:39]
	v_add_nc_u64_e32 v[172:173], v[158:159], v[38:39]
	global_load_b32 v7, v[170:171], off
	global_load_b32 v188, v[172:173], off
.LBB143_14:                             ;   in Loop: Header=BB143_3 Depth=1
	s_wait_xcnt 0x0
	s_or_b32 exec_lo, exec_lo, s3
	v_add_nc_u64_e32 v[170:171], 4, v[168:169]
	s_delay_alu instid0(VALU_DEP_1) | instskip(SKIP_1) | instid1(SALU_CYCLE_1)
	v_cmp_gt_i64_e32 vcc_lo, s[4:5], v[170:171]
	s_and_b32 s18, s2, vcc_lo
	s_and_saveexec_b32 s3, s18
	s_cbranch_execz .LBB143_16
; %bb.15:                               ;   in Loop: Header=BB143_3 Depth=1
	v_add_nc_u64_e32 v[170:171], v[152:153], v[38:39]
	v_add_nc_u64_e32 v[172:173], v[154:155], v[38:39]
	global_load_b32 v8, v[170:171], off
	global_load_b32 v187, v[172:173], off
.LBB143_16:                             ;   in Loop: Header=BB143_3 Depth=1
	s_wait_xcnt 0x0
	s_or_b32 exec_lo, exec_lo, s3
	v_add_nc_u64_e32 v[170:171], 5, v[168:169]
	v_dual_mov_b32 v189, 0 :: v_dual_mov_b32 v190, 0
	s_delay_alu instid0(VALU_DEP_2) | instskip(SKIP_1) | instid1(SALU_CYCLE_1)
	v_cmp_gt_i64_e32 vcc_lo, s[4:5], v[170:171]
	s_and_b32 s18, s2, vcc_lo
	s_and_saveexec_b32 s3, s18
	s_cbranch_execz .LBB143_18
; %bb.17:                               ;   in Loop: Header=BB143_3 Depth=1
	v_add_nc_u64_e32 v[170:171], v[148:149], v[38:39]
	v_add_nc_u64_e32 v[172:173], v[150:151], v[38:39]
	global_load_b32 v9, v[170:171], off
	global_load_b32 v190, v[172:173], off
.LBB143_18:                             ;   in Loop: Header=BB143_3 Depth=1
	;; [unrolled: 29-line block ×8, first 2 shown]
	s_wait_xcnt 0x0
	s_or_b32 exec_lo, exec_lo, s3
	v_add_nc_u64_e32 v[170:171], 18, v[168:169]
	s_delay_alu instid0(VALU_DEP_1) | instskip(SKIP_1) | instid1(SALU_CYCLE_1)
	v_cmp_gt_i64_e32 vcc_lo, s[4:5], v[170:171]
	s_and_b32 s18, s2, vcc_lo
	s_and_saveexec_b32 s3, s18
	s_cbranch_execz .LBB143_44
; %bb.43:                               ;   in Loop: Header=BB143_3 Depth=1
	v_add_nc_u64_e32 v[170:171], v[96:97], v[38:39]
	v_add_nc_u64_e32 v[172:173], v[98:99], v[38:39]
	global_load_b32 v22, v[170:171], off
	global_load_b32 v201, v[172:173], off
.LBB143_44:                             ;   in Loop: Header=BB143_3 Depth=1
	s_wait_xcnt 0x0
	s_or_b32 exec_lo, exec_lo, s3
	v_add_nc_u64_e32 v[170:171], 19, v[168:169]
	s_delay_alu instid0(VALU_DEP_1) | instskip(SKIP_2) | instid1(SALU_CYCLE_1)
	v_cmp_gt_i64_e32 vcc_lo, s[4:5], v[170:171]
	v_dual_mov_b32 v171, 0 :: v_dual_mov_b32 v170, 0
	s_and_b32 s18, s2, vcc_lo
	s_and_saveexec_b32 s3, s18
	s_cbranch_execz .LBB143_46
; %bb.45:                               ;   in Loop: Header=BB143_3 Depth=1
	v_add_nc_u64_e32 v[172:173], v[92:93], v[38:39]
	v_add_nc_u64_e32 v[174:175], v[94:95], v[38:39]
	global_load_b32 v23, v[172:173], off
	global_load_b32 v170, v[174:175], off
.LBB143_46:                             ;   in Loop: Header=BB143_3 Depth=1
	s_wait_xcnt 0x0
	s_or_b32 exec_lo, exec_lo, s3
	v_add_nc_u64_e32 v[172:173], 20, v[168:169]
	s_delay_alu instid0(VALU_DEP_1) | instskip(SKIP_1) | instid1(SALU_CYCLE_1)
	v_cmp_gt_i64_e32 vcc_lo, s[4:5], v[172:173]
	s_and_b32 s18, s2, vcc_lo
	s_and_saveexec_b32 s3, s18
	s_cbranch_execz .LBB143_48
; %bb.47:                               ;   in Loop: Header=BB143_3 Depth=1
	v_add_nc_u64_e32 v[172:173], v[88:89], v[38:39]
	v_add_nc_u64_e32 v[174:175], v[90:91], v[38:39]
	global_load_b32 v24, v[172:173], off
	global_load_b32 v171, v[174:175], off
.LBB143_48:                             ;   in Loop: Header=BB143_3 Depth=1
	s_wait_xcnt 0x0
	s_or_b32 exec_lo, exec_lo, s3
	v_add_nc_u64_e32 v[172:173], 21, v[168:169]
	s_delay_alu instid0(VALU_DEP_1) | instskip(SKIP_2) | instid1(SALU_CYCLE_1)
	v_cmp_gt_i64_e32 vcc_lo, s[4:5], v[172:173]
	v_dual_mov_b32 v173, 0 :: v_dual_mov_b32 v172, 0
	s_and_b32 s18, s2, vcc_lo
	s_and_saveexec_b32 s3, s18
	s_cbranch_execz .LBB143_50
; %bb.49:                               ;   in Loop: Header=BB143_3 Depth=1
	v_add_nc_u64_e32 v[174:175], v[84:85], v[38:39]
	v_add_nc_u64_e32 v[176:177], v[86:87], v[38:39]
	global_load_b32 v25, v[174:175], off
	global_load_b32 v172, v[176:177], off
.LBB143_50:                             ;   in Loop: Header=BB143_3 Depth=1
	;; [unrolled: 29-line block ×6, first 2 shown]
	s_wait_xcnt 0x0
	s_or_b32 exec_lo, exec_lo, s3
	v_add_nc_u64_e32 v[204:205], 30, v[168:169]
	s_delay_alu instid0(VALU_DEP_1) | instskip(SKIP_1) | instid1(SALU_CYCLE_1)
	v_cmp_gt_i64_e32 vcc_lo, s[4:5], v[204:205]
	s_and_b32 s18, s2, vcc_lo
	s_and_saveexec_b32 s3, s18
	s_cbranch_execz .LBB143_68
; %bb.67:                               ;   in Loop: Header=BB143_3 Depth=1
	v_add_nc_u64_e32 v[204:205], v[48:49], v[38:39]
	v_add_nc_u64_e32 v[206:207], v[50:51], v[38:39]
	global_load_b32 v34, v[204:205], off
	global_load_b32 v181, v[206:207], off
.LBB143_68:                             ;   in Loop: Header=BB143_3 Depth=1
	s_wait_xcnt 0x0
	s_or_b32 exec_lo, exec_lo, s3
	v_add_nc_u64_e32 v[204:205], 31, v[168:169]
	v_mov_b32_e32 v202, 0
	s_delay_alu instid0(VALU_DEP_2) | instskip(SKIP_1) | instid1(SALU_CYCLE_1)
	v_cmp_gt_i64_e32 vcc_lo, s[4:5], v[204:205]
	s_and_b32 s18, s2, vcc_lo
	s_and_saveexec_b32 s3, s18
	s_cbranch_execz .LBB143_70
; %bb.69:                               ;   in Loop: Header=BB143_3 Depth=1
	v_add_nc_u64_e32 v[204:205], v[44:45], v[38:39]
	v_add_nc_u64_e32 v[206:207], v[46:47], v[38:39]
	global_load_b32 v35, v[204:205], off
	global_load_b32 v202, v[206:207], off
.LBB143_70:                             ;   in Loop: Header=BB143_3 Depth=1
	s_wait_xcnt 0x0
	s_or_b32 exec_lo, exec_lo, s3
	s_wait_loadcnt 0x0
	ds_bpermute_b32 v204, v2, v184
	ds_bpermute_b32 v205, v2, v184 offset:4
	ds_bpermute_b32 v206, v2, v184 offset:8
	v_dual_mul_f32 v4, v185, v4 :: v_dual_mul_f32 v5, v186, v5
	ds_bpermute_b32 v185, v2, v184 offset:12
	ds_bpermute_b32 v186, v2, v184 offset:16
	s_mov_b32 s3, 0
	v_mul_f32_e32 v3, v3, v6
	ds_bpermute_b32 v6, v2, v184 offset:24
	s_wait_dscnt 0x5
	v_fma_f32 v204, v4, v204, v183
	ds_bpermute_b32 v4, v2, v184 offset:20
	s_wait_dscnt 0x5
	v_dual_fmac_f32 v204, v5, v205 :: v_dual_mul_f32 v5, v188, v7
	ds_bpermute_b32 v7, v2, v184 offset:28
	s_wait_dscnt 0x5
	v_fmac_f32_e32 v204, v3, v206
	v_mul_f32_e32 v3, v187, v8
	ds_bpermute_b32 v8, v2, v184 offset:32
	s_wait_dscnt 0x5
	v_fmac_f32_e32 v204, v5, v185
	v_mul_f32_e32 v5, v190, v9
	ds_bpermute_b32 v9, v2, v184 offset:36
	s_wait_dscnt 0x5
	v_fmac_f32_e32 v204, v3, v186
	s_wait_dscnt 0x3
	s_delay_alu instid0(VALU_DEP_1)
	v_dual_fmac_f32 v204, v5, v4 :: v_dual_mul_f32 v4, v192, v11
	v_mul_f32_e32 v3, v189, v10
	ds_bpermute_b32 v5, v2, v184 offset:40
	ds_bpermute_b32 v10, v2, v184 offset:60
	;; [unrolled: 1-line block ×3, first 2 shown]
	v_fmac_f32_e32 v204, v3, v6
	ds_bpermute_b32 v6, v2, v184 offset:44
	s_wait_dscnt 0x6
	v_dual_fmac_f32 v204, v4, v7 :: v_dual_mul_f32 v4, v194, v13
	v_mul_f32_e32 v3, v191, v12
	ds_bpermute_b32 v7, v2, v184 offset:48
	ds_bpermute_b32 v12, v2, v184 offset:68
	v_mul_f32_e32 v13, v203, v21
	s_wait_dscnt 0x7
	v_dual_fmac_f32 v204, v3, v8 :: v_dual_mul_f32 v3, v193, v14
	ds_bpermute_b32 v8, v2, v184 offset:52
	ds_bpermute_b32 v14, v2, v184 offset:72
	s_wait_dscnt 0x8
	v_fmac_f32_e32 v204, v4, v9
	v_mul_f32_e32 v4, v196, v15
	ds_bpermute_b32 v9, v2, v184 offset:56
	ds_bpermute_b32 v15, v2, v184 offset:104
	s_wait_dscnt 0x9
	v_fmac_f32_e32 v204, v3, v5
	v_mul_f32_e32 v3, v195, v16
	ds_bpermute_b32 v5, v2, v184 offset:80
	s_wait_dscnt 0x7
	v_dual_fmac_f32 v204, v4, v6 :: v_dual_mul_f32 v4, v198, v17
	s_wait_dscnt 0x6
	s_delay_alu instid0(VALU_DEP_1) | instskip(SKIP_2) | instid1(VALU_DEP_2)
	v_dual_fmac_f32 v204, v3, v7 :: v_dual_mul_f32 v3, v197, v18
	v_mov_b32_e32 v7, v24
	s_wait_dscnt 0x4
	v_fmac_f32_e32 v204, v4, v8
	v_mul_f32_e32 v6, v200, v19
	ds_bpermute_b32 v4, v2, v184 offset:76
	ds_bpermute_b32 v8, v2, v184 offset:84
	s_wait_dscnt 0x4
	v_fmac_f32_e32 v204, v3, v9
	v_mul_f32_e32 v3, v199, v20
	ds_bpermute_b32 v9, v2, v184 offset:88
	v_dual_fmac_f32 v204, v6, v10 :: v_dual_mov_b32 v6, v23
	s_delay_alu instid0(VALU_DEP_1) | instskip(SKIP_1) | instid1(VALU_DEP_3)
	v_dual_mov_b32 v10, v25 :: v_dual_fmac_f32 v204, v3, v11
	v_mul_f32_e32 v3, v201, v22
	v_pk_mul_f32 v[6:7], v[170:171], v[6:7]
	s_delay_alu instid0(VALU_DEP_3)
	v_dual_mov_b32 v11, v26 :: v_dual_fmac_f32 v204, v13, v12
	ds_bpermute_b32 v12, v2, v184 offset:92
	ds_bpermute_b32 v13, v2, v184 offset:96
	s_wait_dscnt 0x4
	v_pk_mul_f32 v[4:5], v[6:7], v[4:5]
	v_mov_b32_e32 v6, v27
	v_dual_fmac_f32 v204, v3, v14 :: v_dual_mov_b32 v7, v28
	v_pk_mul_f32 v[10:11], v[172:173], v[10:11]
	ds_bpermute_b32 v14, v2, v184 offset:100
	v_dual_add_f32 v3, v204, v4 :: v_dual_mov_b32 v4, v29
	s_wait_dscnt 0x3
	v_pk_mul_f32 v[8:9], v[10:11], v[8:9]
	ds_bpermute_b32 v10, v2, v184 offset:108
	ds_bpermute_b32 v11, v2, v184 offset:112
	v_dual_add_f32 v3, v3, v5 :: v_dual_mov_b32 v5, v30
	v_pk_mul_f32 v[6:7], v[174:175], v[6:7]
	s_delay_alu instid0(VALU_DEP_2) | instskip(SKIP_2) | instid1(VALU_DEP_3)
	v_add_f32_e32 v3, v3, v8
	v_mov_b32_e32 v8, v31
	s_wait_dscnt 0x3
	v_pk_mul_f32 v[6:7], v[6:7], v[12:13]
	v_pk_mul_f32 v[4:5], v[176:177], v[4:5]
	v_dual_add_f32 v3, v3, v9 :: v_dual_mov_b32 v9, v32
	s_wait_dscnt 0x2
	s_delay_alu instid0(VALU_DEP_2) | instskip(NEXT) | instid1(VALU_DEP_2)
	v_pk_mul_f32 v[4:5], v[4:5], v[14:15]
	v_add_f32_e32 v3, v3, v6
	s_delay_alu instid0(VALU_DEP_3)
	v_pk_mul_f32 v[8:9], v[178:179], v[8:9]
	ds_bpermute_b32 v6, v2, v184 offset:116
	s_wait_dscnt 0x1
	v_pk_mul_f32 v[8:9], v[8:9], v[10:11]
	v_add_f32_e32 v3, v3, v7
	ds_bpermute_b32 v7, v2, v184 offset:120
	v_dual_add_f32 v3, v3, v4 :: v_dual_mov_b32 v4, v33
	s_delay_alu instid0(VALU_DEP_1) | instskip(SKIP_3) | instid1(VALU_DEP_2)
	v_dual_add_f32 v10, v3, v5 :: v_dual_mov_b32 v5, v34
	ds_bpermute_b32 v3, v2, v184 offset:124
	v_add_f32_e32 v8, v10, v8
	v_pk_mul_f32 v[4:5], v[180:181], v[4:5]
	v_add_f32_e32 v8, v8, v9
	s_wait_dscnt 0x1
	s_delay_alu instid0(VALU_DEP_2) | instskip(NEXT) | instid1(VALU_DEP_1)
	v_pk_mul_f32 v[4:5], v[4:5], v[6:7]
	v_add_f32_e32 v4, v8, v4
	s_set_vgpr_msb 64                       ;  msbs: dst=1 src0=0 src1=0 src2=0
	s_delay_alu instid0(VALU_DEP_1)
	v_add_f32_e32 v38 /*v294*/, v4, v5
.LBB143_71:                             ;   in Loop: Header=BB143_3 Depth=1
	s_and_b32 vcc_lo, exec_lo, s3
	s_set_vgpr_msb 0                        ;  msbs: dst=0 src0=0 src1=0 src2=0
	s_cbranch_vccz .LBB143_137
; %bb.72:                               ;   in Loop: Header=BB143_3 Depth=1
	s_load_b32 s3, s[20:21], 0x0
	v_dual_mov_b32 v181, 0 :: v_dual_mov_b32 v180, 0
	v_mov_b32_e32 v5, v2
	s_wait_kmcnt 0x0
	s_cmp_lt_u32 s12, s3
	s_cselect_b32 s18, 12, 18
	s_delay_alu instid0(SALU_CYCLE_1)
	s_add_nc_u64 s[34:35], s[20:21], s[18:19]
	s_load_u16 s3, s[34:35], 0x0
	s_wait_dscnt 0x0
	s_wait_kmcnt 0x0
	v_mad_u32_u24 v3, v1, s3, v182
	s_mov_b32 s3, exec_lo
	s_delay_alu instid0(VALU_DEP_1) | instskip(NEXT) | instid1(VALU_DEP_1)
	v_and_b32_e32 v4, 31, v3
	v_add_nc_u64_e32 v[4:5], v[168:169], v[4:5]
	s_delay_alu instid0(VALU_DEP_1)
	v_cmpx_gt_i64_e64 s[4:5], v[4:5]
	s_cbranch_execz .LBB143_74
; %bb.73:                               ;   in Loop: Header=BB143_3 Depth=1
	v_lshl_add_u64 v[4:5], v[4:5], 2, s[14:15]
	global_load_b32 v180, v[4:5], off
.LBB143_74:                             ;   in Loop: Header=BB143_3 Depth=1
	s_wait_xcnt 0x0
	s_or_b32 exec_lo, exec_lo, s3
	v_dual_mov_b32 v31, v2 :: v_dual_mov_b32 v32, v2
	v_dual_mov_b32 v33, v2 :: v_dual_mov_b32 v3, v2
	;; [unrolled: 1-line block ×15, first 2 shown]
	v_mov_b32_e32 v30, v2
	v_mov_b64_e32 v[34:35], v[32:33]
	s_delay_alu instid0(VALU_DEP_2) | instskip(NEXT) | instid1(VALU_DEP_4)
	v_mov_b64_e32 v[32:33], v[30:31]
	v_mov_b64_e32 v[30:31], v[28:29]
	;; [unrolled: 1-line block ×15, first 2 shown]
	s_and_saveexec_b32 s3, s2
	s_cbranch_execz .LBB143_76
; %bb.75:                               ;   in Loop: Header=BB143_3 Depth=1
	v_add_nc_u64_e32 v[6:7], v[40:41], v[38:39]
	v_add_nc_u64_e32 v[8:9], v[42:43], v[38:39]
	v_dual_mov_b32 v5, v2 :: v_dual_mov_b32 v11, v2
	v_dual_mov_b32 v12, v2 :: v_dual_mov_b32 v13, v2
	v_mov_b32_e32 v14, v2
	global_load_b32 v4, v[6:7], off
	global_load_b32 v181, v[8:9], off
	s_wait_xcnt 0x1
	v_dual_mov_b32 v6, v2 :: v_dual_mov_b32 v7, v2
	s_wait_xcnt 0x0
	v_dual_mov_b32 v8, v2 :: v_dual_mov_b32 v9, v2
	v_dual_mov_b32 v10, v2 :: v_dual_mov_b32 v15, v2
	;; [unrolled: 1-line block ×12, first 2 shown]
.LBB143_76:                             ;   in Loop: Header=BB143_3 Depth=1
	s_or_b32 exec_lo, exec_lo, s3
	v_dual_mov_b32 v3, 0 :: v_dual_mov_b32 v184, 0
	s_and_saveexec_b32 s3, s2
	s_cbranch_execz .LBB143_78
; %bb.77:                               ;   in Loop: Header=BB143_3 Depth=1
	v_add_nc_u64_e32 v[168:169], v[164:165], v[38:39]
	v_add_nc_u64_e32 v[170:171], v[166:167], v[38:39]
	global_load_b32 v5, v[168:169], off
	global_load_b32 v184, v[170:171], off
.LBB143_78:                             ;   in Loop: Header=BB143_3 Depth=1
	s_wait_xcnt 0x0
	s_or_b32 exec_lo, exec_lo, s3
	s_and_saveexec_b32 s3, s2
	s_cbranch_execz .LBB143_80
; %bb.79:                               ;   in Loop: Header=BB143_3 Depth=1
	v_add_nc_u64_e32 v[168:169], v[160:161], v[38:39]
	v_add_nc_u64_e32 v[170:171], v[162:163], v[38:39]
	global_load_b32 v6, v[168:169], off
	global_load_b32 v3, v[170:171], off
.LBB143_80:                             ;   in Loop: Header=BB143_3 Depth=1
	s_wait_xcnt 0x0
	s_or_b32 exec_lo, exec_lo, s3
	v_dual_mov_b32 v185, 0 :: v_dual_mov_b32 v186, 0
	s_and_saveexec_b32 s3, s2
	s_cbranch_execz .LBB143_82
; %bb.81:                               ;   in Loop: Header=BB143_3 Depth=1
	v_add_nc_u64_e32 v[168:169], v[156:157], v[38:39]
	v_add_nc_u64_e32 v[170:171], v[158:159], v[38:39]
	global_load_b32 v7, v[168:169], off
	global_load_b32 v186, v[170:171], off
.LBB143_82:                             ;   in Loop: Header=BB143_3 Depth=1
	s_wait_xcnt 0x0
	s_or_b32 exec_lo, exec_lo, s3
	s_and_saveexec_b32 s3, s2
	s_cbranch_execz .LBB143_84
; %bb.83:                               ;   in Loop: Header=BB143_3 Depth=1
	v_add_nc_u64_e32 v[168:169], v[152:153], v[38:39]
	v_add_nc_u64_e32 v[170:171], v[154:155], v[38:39]
	global_load_b32 v8, v[168:169], off
	global_load_b32 v185, v[170:171], off
.LBB143_84:                             ;   in Loop: Header=BB143_3 Depth=1
	s_wait_xcnt 0x0
	;; [unrolled: 21-line block ×5, first 2 shown]
	s_or_b32 exec_lo, exec_lo, s3
	v_dual_mov_b32 v193, 0 :: v_dual_mov_b32 v194, 0
	s_and_saveexec_b32 s3, s2
	s_cbranch_execz .LBB143_98
; %bb.97:                               ;   in Loop: Header=BB143_3 Depth=1
	v_add_nc_u64_e32 v[168:169], v[124:125], v[38:39]
	v_add_nc_u64_e32 v[170:171], v[126:127], v[38:39]
	global_load_b32 v15, v[168:169], off
	global_load_b32 v194, v[170:171], off
.LBB143_98:                             ;   in Loop: Header=BB143_3 Depth=1
	s_wait_xcnt 0x0
	s_or_b32 exec_lo, exec_lo, s3
	s_and_saveexec_b32 s3, s2
	s_cbranch_execz .LBB143_100
; %bb.99:                               ;   in Loop: Header=BB143_3 Depth=1
	v_add_nc_u64_e32 v[168:169], v[120:121], v[38:39]
	v_add_nc_u64_e32 v[170:171], v[122:123], v[38:39]
	global_load_b32 v16, v[168:169], off
	global_load_b32 v193, v[170:171], off
.LBB143_100:                            ;   in Loop: Header=BB143_3 Depth=1
	s_wait_xcnt 0x0
	s_or_b32 exec_lo, exec_lo, s3
	v_dual_mov_b32 v195, 0 :: v_dual_mov_b32 v196, 0
	s_and_saveexec_b32 s3, s2
	s_cbranch_execz .LBB143_102
; %bb.101:                              ;   in Loop: Header=BB143_3 Depth=1
	v_add_nc_u64_e32 v[168:169], v[116:117], v[38:39]
	v_add_nc_u64_e32 v[170:171], v[118:119], v[38:39]
	global_load_b32 v17, v[168:169], off
	global_load_b32 v196, v[170:171], off
.LBB143_102:                            ;   in Loop: Header=BB143_3 Depth=1
	s_wait_xcnt 0x0
	s_or_b32 exec_lo, exec_lo, s3
	s_and_saveexec_b32 s3, s2
	s_cbranch_execz .LBB143_104
; %bb.103:                              ;   in Loop: Header=BB143_3 Depth=1
	v_add_nc_u64_e32 v[168:169], v[112:113], v[38:39]
	v_add_nc_u64_e32 v[170:171], v[114:115], v[38:39]
	global_load_b32 v18, v[168:169], off
	global_load_b32 v195, v[170:171], off
.LBB143_104:                            ;   in Loop: Header=BB143_3 Depth=1
	s_wait_xcnt 0x0
	s_or_b32 exec_lo, exec_lo, s3
	v_dual_mov_b32 v197, 0 :: v_dual_mov_b32 v198, 0
	s_and_saveexec_b32 s3, s2
	s_cbranch_execz .LBB143_106
; %bb.105:                              ;   in Loop: Header=BB143_3 Depth=1
	v_add_nc_u64_e32 v[168:169], v[108:109], v[38:39]
	v_add_nc_u64_e32 v[170:171], v[110:111], v[38:39]
	global_load_b32 v19, v[168:169], off
	global_load_b32 v198, v[170:171], off
.LBB143_106:                            ;   in Loop: Header=BB143_3 Depth=1
	s_wait_xcnt 0x0
	s_or_b32 exec_lo, exec_lo, s3
	s_and_saveexec_b32 s3, s2
	s_cbranch_execz .LBB143_108
; %bb.107:                              ;   in Loop: Header=BB143_3 Depth=1
	v_add_nc_u64_e32 v[168:169], v[104:105], v[38:39]
	v_add_nc_u64_e32 v[170:171], v[106:107], v[38:39]
	global_load_b32 v20, v[168:169], off
	global_load_b32 v197, v[170:171], off
.LBB143_108:                            ;   in Loop: Header=BB143_3 Depth=1
	;; [unrolled: 21-line block ×8, first 2 shown]
	s_wait_xcnt 0x0
	s_or_b32 exec_lo, exec_lo, s3
	v_dual_mov_b32 v179, 0 :: v_dual_mov_b32 v178, 0
	s_and_saveexec_b32 s3, s2
	s_cbranch_execnz .LBB143_139
; %bb.133:                              ;   in Loop: Header=BB143_3 Depth=1
	s_or_b32 exec_lo, exec_lo, s3
	s_and_saveexec_b32 s3, s2
	s_cbranch_execnz .LBB143_140
.LBB143_134:                            ;   in Loop: Header=BB143_3 Depth=1
	s_or_b32 exec_lo, exec_lo, s3
	v_mov_b32_e32 v202, 0
	s_and_saveexec_b32 s3, s2
	s_cbranch_execz .LBB143_136
.LBB143_135:                            ;   in Loop: Header=BB143_3 Depth=1
	v_add_nc_u64_e32 v[204:205], v[44:45], v[38:39]
	v_add_nc_u64_e32 v[206:207], v[46:47], v[38:39]
	global_load_b32 v35, v[204:205], off
	global_load_b32 v202, v[206:207], off
.LBB143_136:                            ;   in Loop: Header=BB143_3 Depth=1
	s_wait_xcnt 0x0
	s_or_b32 exec_lo, exec_lo, s3
	s_wait_loadcnt 0x0
	ds_bpermute_b32 v201, v2, v180
	ds_bpermute_b32 v203, v2, v180 offset:4
	ds_bpermute_b32 v204, v2, v180 offset:8
	v_dual_mul_f32 v4, v181, v4 :: v_dual_mul_f32 v5, v184, v5
	ds_bpermute_b32 v181, v2, v180 offset:12
	ds_bpermute_b32 v184, v2, v180 offset:16
	v_mul_f32_e32 v3, v3, v6
	ds_bpermute_b32 v6, v2, v180 offset:24
	s_wait_dscnt 0x5
	v_fmac_f32_e32 v183, v4, v201
	ds_bpermute_b32 v4, v2, v180 offset:20
	s_wait_dscnt 0x5
	v_fmac_f32_e32 v183, v5, v203
	v_mul_f32_e32 v5, v186, v7
	ds_bpermute_b32 v7, v2, v180 offset:28
	s_wait_dscnt 0x5
	v_fmac_f32_e32 v183, v3, v204
	v_mul_f32_e32 v3, v185, v8
	;; [unrolled: 4-line block ×4, first 2 shown]
	ds_bpermute_b32 v10, v2, v180 offset:60
	s_wait_dscnt 0x4
	v_dual_fmac_f32 v183, v5, v4 :: v_dual_mul_f32 v4, v190, v11
	ds_bpermute_b32 v5, v2, v180 offset:40
	ds_bpermute_b32 v11, v2, v180 offset:64
	v_dual_fmac_f32 v183, v3, v6 :: v_dual_mul_f32 v3, v189, v12
	ds_bpermute_b32 v6, v2, v180 offset:44
	ds_bpermute_b32 v12, v2, v180 offset:68
	s_wait_dscnt 0x7
	v_fmac_f32_e32 v183, v4, v7
	v_mul_f32_e32 v4, v192, v13
	ds_bpermute_b32 v7, v2, v180 offset:48
	s_wait_dscnt 0x7
	v_fmac_f32_e32 v183, v3, v8
	v_mul_f32_e32 v3, v191, v14
	ds_bpermute_b32 v8, v2, v180 offset:52
	ds_bpermute_b32 v14, v2, v180 offset:72
	s_wait_dscnt 0x8
	v_dual_fmac_f32 v183, v4, v9 :: v_dual_mul_f32 v4, v194, v15
	ds_bpermute_b32 v9, v2, v180 offset:56
	ds_bpermute_b32 v15, v2, v180 offset:104
	s_wait_dscnt 0x8
	v_dual_fmac_f32 v183, v3, v5 :: v_dual_mul_f32 v3, v193, v16
	ds_bpermute_b32 v5, v2, v180 offset:80
	s_wait_dscnt 0x7
	v_fmac_f32_e32 v183, v4, v6
	v_dual_mul_f32 v4, v196, v17 :: v_dual_mul_f32 v6, v198, v19
	s_wait_dscnt 0x5
	s_delay_alu instid0(VALU_DEP_2) | instskip(SKIP_2) | instid1(VALU_DEP_2)
	v_fmac_f32_e32 v183, v3, v7
	v_dual_mul_f32 v3, v195, v18 :: v_dual_mov_b32 v7, v24
	s_wait_dscnt 0x4
	v_fmac_f32_e32 v183, v4, v8
	ds_bpermute_b32 v4, v2, v180 offset:76
	ds_bpermute_b32 v8, v2, v180 offset:84
	s_wait_dscnt 0x4
	v_dual_fmac_f32 v183, v3, v9 :: v_dual_mul_f32 v3, v197, v20
	v_mul_f32_e32 v13, v200, v21
	ds_bpermute_b32 v9, v2, v180 offset:88
	v_dual_fmac_f32 v183, v6, v10 :: v_dual_mov_b32 v6, v23
	s_delay_alu instid0(VALU_DEP_1) | instskip(SKIP_1) | instid1(VALU_DEP_3)
	v_dual_mov_b32 v10, v25 :: v_dual_fmac_f32 v183, v3, v11
	v_mul_f32_e32 v3, v199, v22
	v_pk_mul_f32 v[6:7], v[168:169], v[6:7]
	s_delay_alu instid0(VALU_DEP_3)
	v_dual_fmac_f32 v183, v13, v12 :: v_dual_mov_b32 v11, v26
	ds_bpermute_b32 v12, v2, v180 offset:92
	ds_bpermute_b32 v13, v2, v180 offset:96
	s_wait_dscnt 0x4
	v_pk_mul_f32 v[4:5], v[6:7], v[4:5]
	v_fmac_f32_e32 v183, v3, v14
	v_pk_mul_f32 v[10:11], v[170:171], v[10:11]
	v_dual_mov_b32 v6, v27 :: v_dual_mov_b32 v7, v28
	ds_bpermute_b32 v14, v2, v180 offset:100
	v_dual_add_f32 v3, v183, v4 :: v_dual_mov_b32 v4, v29
	s_wait_dscnt 0x3
	v_pk_mul_f32 v[8:9], v[10:11], v[8:9]
	ds_bpermute_b32 v10, v2, v180 offset:108
	ds_bpermute_b32 v11, v2, v180 offset:112
	v_dual_add_f32 v3, v3, v5 :: v_dual_mov_b32 v5, v30
	v_pk_mul_f32 v[6:7], v[172:173], v[6:7]
	s_delay_alu instid0(VALU_DEP_2) | instskip(SKIP_1) | instid1(VALU_DEP_4)
	v_add_f32_e32 v3, v3, v8
	v_mov_b32_e32 v8, v31
	v_pk_mul_f32 v[4:5], v[174:175], v[4:5]
	s_wait_dscnt 0x3
	v_pk_mul_f32 v[6:7], v[6:7], v[12:13]
	v_dual_add_f32 v3, v3, v9 :: v_dual_mov_b32 v9, v32
	s_wait_dscnt 0x2
	v_pk_mul_f32 v[4:5], v[4:5], v[14:15]
	s_delay_alu instid0(VALU_DEP_2) | instskip(NEXT) | instid1(VALU_DEP_3)
	v_add_f32_e32 v3, v3, v6
	v_pk_mul_f32 v[8:9], v[176:177], v[8:9]
	ds_bpermute_b32 v6, v2, v180 offset:116
	s_wait_dscnt 0x1
	v_pk_mul_f32 v[8:9], v[8:9], v[10:11]
	v_add_f32_e32 v3, v3, v7
	ds_bpermute_b32 v7, v2, v180 offset:120
	v_dual_add_f32 v3, v3, v4 :: v_dual_mov_b32 v4, v33
	s_delay_alu instid0(VALU_DEP_1) | instskip(SKIP_3) | instid1(VALU_DEP_2)
	v_dual_add_f32 v10, v3, v5 :: v_dual_mov_b32 v5, v34
	ds_bpermute_b32 v3, v2, v180 offset:124
	v_add_f32_e32 v8, v10, v8
	v_pk_mul_f32 v[4:5], v[178:179], v[4:5]
	v_add_f32_e32 v8, v8, v9
	s_wait_dscnt 0x1
	s_delay_alu instid0(VALU_DEP_2) | instskip(NEXT) | instid1(VALU_DEP_1)
	v_pk_mul_f32 v[4:5], v[4:5], v[6:7]
	v_add_f32_e32 v4, v8, v4
	s_set_vgpr_msb 64                       ;  msbs: dst=1 src0=0 src1=0 src2=0
	s_delay_alu instid0(VALU_DEP_1)
	v_add_f32_e32 v38 /*v294*/, v4, v5
.LBB143_137:                            ;   in Loop: Header=BB143_3 Depth=1
	s_add_nc_u64 s[28:29], s[28:29], s[22:23]
	s_set_vgpr_msb 0                        ;  msbs: dst=0 src0=0 src1=0 src2=0
	v_mul_f32_e32 v4, v202, v35
	v_cmp_lt_i64_e64 s3, s[28:29], s[4:5]
	v_add_nc_u64_e32 v[40:41], s[24:25], v[40:41]
	v_add_nc_u64_e32 v[42:43], s[24:25], v[42:43]
	;; [unrolled: 1-line block ×65, first 2 shown]
	s_wait_dscnt 0x0
	s_set_vgpr_msb 64                       ;  msbs: dst=1 src0=0 src1=0 src2=0
	v_fmac_f32_e32 v38 /*v294*/, v4, v3
	s_and_b32 vcc_lo, exec_lo, s3
	s_add_nc_u64 s[26:27], s[26:27], s[22:23]
	s_set_vgpr_msb 0                        ;  msbs: dst=0 src0=0 src1=0 src2=0
	s_cbranch_vccz .LBB143_142
; %bb.138:                              ;   in Loop: Header=BB143_3 Depth=1
	s_set_vgpr_msb 1                        ;  msbs: dst=0 src0=1 src1=0 src2=0
	v_mov_b32_e32 v183, v38 /*v294*/
	s_set_vgpr_msb 0                        ;  msbs: dst=0 src0=0 src1=0 src2=0
	s_branch .LBB143_3
.LBB143_139:                            ;   in Loop: Header=BB143_3 Depth=1
	v_add_nc_u64_e32 v[202:203], v[52:53], v[38:39]
	v_add_nc_u64_e32 v[204:205], v[54:55], v[38:39]
	global_load_b32 v33, v[202:203], off
	global_load_b32 v178, v[204:205], off
	s_wait_xcnt 0x0
	s_or_b32 exec_lo, exec_lo, s3
	s_and_saveexec_b32 s3, s2
	s_cbranch_execz .LBB143_134
.LBB143_140:                            ;   in Loop: Header=BB143_3 Depth=1
	v_add_nc_u64_e32 v[202:203], v[48:49], v[38:39]
	v_add_nc_u64_e32 v[204:205], v[50:51], v[38:39]
	global_load_b32 v34, v[202:203], off
	global_load_b32 v179, v[204:205], off
	s_wait_xcnt 0x0
	s_or_b32 exec_lo, exec_lo, s3
	v_mov_b32_e32 v202, 0
	s_and_saveexec_b32 s3, s2
	s_cbranch_execnz .LBB143_135
	s_branch .LBB143_136
.LBB143_141:
                                        ; implicit-def: $vgpr294
	s_load_b64 s[2:3], s[0:1], 0x30
	s_branch .LBB143_143
.LBB143_142:
	s_load_b64 s[2:3], s[0:1], 0x30
	s_cbranch_execnz .LBB143_219
.LBB143_143:
	s_set_vgpr_msb 64                       ;  msbs: dst=1 src0=0 src1=0 src2=0
	v_mov_b32_e32 v38 /*v294*/, 0
	s_and_not1_b32 vcc_lo, exec_lo, s31
	s_set_vgpr_msb 0                        ;  msbs: dst=0 src0=0 src1=0 src2=0
	s_cbranch_vccnz .LBB143_219
; %bb.144:
	v_bfe_u32 v1, v0, 10, 10
	v_mov_b32_e32 v2, 0
	s_set_vgpr_msb 64                       ;  msbs: dst=1 src0=0 src1=0 src2=0
	v_and_b32_e32 v50 /*v306*/, 0x3ff, v0
	s_load_b32 s18, s[0:1], 0x44
	s_mov_b32 s19, 0
	s_set_vgpr_msb 0                        ;  msbs: dst=0 src0=0 src1=0 src2=0
	v_dual_mov_b32 v5, v2 :: v_dual_lshlrev_b32 v4, 7, v1
	v_dual_mov_b32 v147, v2 :: v_dual_lshlrev_b32 v146, 5, v1
	s_mov_b32 s21, s19
	s_set_vgpr_msb 64                       ;  msbs: dst=1 src0=0 src1=0 src2=0
	v_mov_b32_e32 v51 /*v307*/, 0
	s_set_vgpr_msb 0                        ;  msbs: dst=0 src0=0 src1=0 src2=0
	v_lshl_add_u64 v[4:5], s[16:17], 2, v[4:5]
	s_add_nc_u64 s[22:23], s[0:1], 64
	s_mov_b64 s[24:25], s[16:17]
	s_delay_alu instid0(VALU_DEP_1)
	v_add_nc_u64_e32 v[6:7], 4, v[4:5]
	v_add_nc_u64_e32 v[8:9], 8, v[4:5]
	;; [unrolled: 1-line block ×5, first 2 shown]
	s_wait_kmcnt 0x0
	s_lshl_b32 s20, s18, 5
	v_mad_nc_u64_u32 v[36:37], s6, v6, s[8:9]
	v_mul_lo_u32 v3, s6, v7
	v_mul_lo_u32 v7, s7, v6
	v_mad_nc_u64_u32 v[38:39], s6, v6, s[10:11]
	v_mad_nc_u64_u32 v[40:41], s6, v8, s[8:9]
	v_mul_lo_u32 v6, s6, v9
	v_mul_lo_u32 v9, s7, v8
	v_mad_nc_u64_u32 v[44:45], s6, v8, s[10:11]
	;; [unrolled: 4-line block ×5, first 2 shown]
	v_add3_u32 v37, v7, v37, v3
	v_add3_u32 v39, v7, v39, v3
	;; [unrolled: 1-line block ×4, first 2 shown]
	v_add_nc_u64_e32 v[6:7], 24, v[4:5]
	v_add3_u32 v43, v11, v43, v8
	v_add3_u32 v47, v11, v47, v8
	;; [unrolled: 1-line block ×6, first 2 shown]
	v_mul_lo_u32 v3, s6, v7
	v_mul_lo_u32 v12, s7, v6
	v_mad_nc_u64_u32 v[56:57], s6, v6, s[8:9]
	v_add_nc_u64_e32 v[10:11], 32, v[4:5]
	v_mad_nc_u64_u32 v[58:59], s6, v6, s[10:11]
	v_add_nc_u64_e32 v[6:7], 36, v[4:5]
	v_add_nc_u64_e32 v[8:9], 28, v[4:5]
	s_delay_alu instid0(VALU_DEP_4)
	v_mul_lo_u32 v11, s6, v11
	v_mul_lo_u32 v15, s7, v10
	v_mad_nc_u64_u32 v[64:65], s6, v10, s[8:9]
	v_mad_nc_u64_u32 v[66:67], s6, v10, s[10:11]
	v_mul_lo_u32 v10, s6, v7
	v_mul_lo_u32 v16, s7, v6
	v_mad_nc_u64_u32 v[68:69], s6, v6, s[8:9]
	v_mad_nc_u64_u32 v[70:71], s6, v6, s[10:11]
	v_add_nc_u64_e32 v[6:7], 44, v[4:5]
	v_mul_lo_u32 v13, s6, v9
	v_mul_lo_u32 v14, s7, v8
	v_mad_nc_u64_u32 v[60:61], s6, v8, s[8:9]
	v_mad_nc_u64_u32 v[62:63], s6, v8, s[10:11]
	v_add_nc_u64_e32 v[8:9], 40, v[4:5]
	v_add3_u32 v57, v12, v57, v3
	v_add3_u32 v59, v12, v59, v3
	;; [unrolled: 1-line block ×6, first 2 shown]
	v_mul_lo_u32 v3, s6, v7
	v_mul_lo_u32 v12, s7, v6
	v_mad_nc_u64_u32 v[76:77], s6, v6, s[8:9]
	v_add_nc_u64_e32 v[10:11], 52, v[4:5]
	v_mad_nc_u64_u32 v[78:79], s6, v6, s[10:11]
	v_add_nc_u64_e32 v[6:7], 56, v[4:5]
	v_mul_lo_u32 v17, s6, v9
	v_mul_lo_u32 v18, s7, v8
	v_mad_nc_u64_u32 v[72:73], s6, v8, s[8:9]
	v_mad_nc_u64_u32 v[74:75], s6, v8, s[10:11]
	v_add_nc_u64_e32 v[8:9], 48, v[4:5]
	v_mul_lo_u32 v11, s6, v11
	v_mul_lo_u32 v15, s7, v10
	v_mad_nc_u64_u32 v[84:85], s6, v10, s[8:9]
	v_mad_nc_u64_u32 v[86:87], s6, v10, s[10:11]
	v_mul_lo_u32 v10, s6, v7
	v_mul_lo_u32 v16, s7, v6
	v_mad_nc_u64_u32 v[88:89], s6, v6, s[8:9]
	v_mad_nc_u64_u32 v[90:91], s6, v6, s[10:11]
	v_add3_u32 v61, v14, v61, v13
	v_add3_u32 v63, v14, v63, v13
	v_mul_lo_u32 v13, s6, v9
	v_mul_lo_u32 v14, s7, v8
	v_mad_nc_u64_u32 v[80:81], s6, v8, s[8:9]
	v_mad_nc_u64_u32 v[82:83], s6, v8, s[10:11]
	v_add_nc_u64_e32 v[8:9], 60, v[4:5]
	v_add_nc_u64_e32 v[6:7], 64, v[4:5]
	v_add3_u32 v73, v18, v73, v17
	v_add3_u32 v75, v18, v75, v17
	;; [unrolled: 1-line block ×5, first 2 shown]
	v_mul_lo_u32 v17, s6, v9
	v_mul_lo_u32 v18, s7, v8
	v_mad_nc_u64_u32 v[92:93], s6, v8, s[8:9]
	v_mad_nc_u64_u32 v[94:95], s6, v8, s[10:11]
	v_add_nc_u64_e32 v[8:9], 0x44, v[4:5]
	v_add3_u32 v87, v15, v87, v11
	v_add3_u32 v89, v16, v89, v10
	;; [unrolled: 1-line block ×3, first 2 shown]
	v_mul_lo_u32 v3, s6, v7
	v_mul_lo_u32 v12, s7, v6
	v_mad_nc_u64_u32 v[96:97], s6, v6, s[8:9]
	v_add_nc_u64_e32 v[10:11], 0x48, v[4:5]
	v_mad_nc_u64_u32 v[98:99], s6, v6, s[10:11]
	v_add_nc_u64_e32 v[6:7], 0x4c, v[4:5]
	v_add3_u32 v81, v14, v81, v13
	v_add3_u32 v83, v14, v83, v13
	v_mul_lo_u32 v13, s6, v9
	v_mul_lo_u32 v14, s7, v8
	v_mad_nc_u64_u32 v[100:101], s6, v8, s[8:9]
	v_mad_nc_u64_u32 v[102:103], s6, v8, s[10:11]
	v_add_nc_u64_e32 v[8:9], 0x50, v[4:5]
	v_mul_lo_u32 v15, s7, v10
	v_mad_nc_u64_u32 v[104:105], s6, v10, s[8:9]
	v_mad_nc_u64_u32 v[106:107], s6, v10, s[10:11]
	v_mul_lo_u32 v10, s6, v7
	v_mul_lo_u32 v16, s7, v6
	v_mad_nc_u64_u32 v[108:109], s6, v6, s[8:9]
	v_mad_nc_u64_u32 v[110:111], s6, v6, s[10:11]
	v_add_nc_u64_e32 v[6:7], 0x54, v[4:5]
	v_add3_u32 v93, v18, v93, v17
	v_add3_u32 v95, v18, v95, v17
	v_mul_lo_u32 v17, s6, v9
	v_mul_lo_u32 v18, s7, v8
	v_mad_nc_u64_u32 v[112:113], s6, v8, s[8:9]
	v_mad_nc_u64_u32 v[114:115], s6, v8, s[10:11]
	v_add_nc_u64_e32 v[8:9], 0x58, v[4:5]
	v_add3_u32 v97, v12, v97, v3
	v_add3_u32 v99, v12, v99, v3
	v_mul_lo_u32 v3, s6, v7
	v_mul_lo_u32 v12, s7, v6
	v_mad_nc_u64_u32 v[116:117], s6, v6, s[8:9]
	v_mad_nc_u64_u32 v[118:119], s6, v6, s[10:11]
	v_mul_lo_u32 v11, s6, v11
	v_add3_u32 v101, v14, v101, v13
	v_add3_u32 v103, v14, v103, v13
	v_mul_lo_u32 v13, s6, v9
	v_mul_lo_u32 v14, s7, v8
	v_mad_nc_u64_u32 v[120:121], s6, v8, s[8:9]
	v_mad_nc_u64_u32 v[122:123], s6, v8, s[10:11]
	v_add_nc_u64_e32 v[8:9], 0x64, v[4:5]
	v_add3_u32 v109, v16, v109, v10
	v_add3_u32 v117, v12, v117, v3
	;; [unrolled: 1-line block ×6, first 2 shown]
	v_mul_lo_u32 v3, s6, v9
	v_mul_lo_u32 v12, s7, v8
	v_mad_nc_u64_u32 v[132:133], s6, v8, s[8:9]
	v_mad_nc_u64_u32 v[134:135], s6, v8, s[10:11]
	v_add_nc_u64_e32 v[8:9], 0x6c, v[4:5]
	v_add_nc_u64_e32 v[10:11], 0x5c, v[4:5]
	v_add_nc_u64_e32 v[6:7], 0x60, v[4:5]
	v_add3_u32 v121, v14, v121, v13
	v_add3_u32 v123, v14, v123, v13
	;; [unrolled: 1-line block ×4, first 2 shown]
	v_mul_lo_u32 v13, s6, v9
	v_mul_lo_u32 v14, s7, v8
	v_mad_nc_u64_u32 v[140:141], s6, v8, s[8:9]
	v_mad_nc_u64_u32 v[142:143], s6, v8, s[10:11]
	v_mul_lo_u32 v11, s6, v11
	v_mul_lo_u32 v15, s7, v10
	v_mad_nc_u64_u32 v[124:125], s6, v10, s[8:9]
	v_mad_nc_u64_u32 v[126:127], s6, v10, s[10:11]
	;; [unrolled: 4-line block ×3, first 2 shown]
	v_add_nc_u64_e32 v[6:7], 0x68, v[4:5]
	v_add3_u32 v133, v12, v133, v3
	v_add3_u32 v135, v12, v135, v3
	;; [unrolled: 1-line block ×4, first 2 shown]
	v_add_nc_u64_e32 v[12:13], s[16:17], v[146:147]
	v_add3_u32 v125, v15, v125, v11
	v_add3_u32 v127, v15, v127, v11
	v_mul_lo_u32 v11, s7, v6
	v_add3_u32 v129, v16, v129, v10
	v_add3_u32 v131, v16, v131, v10
	v_mul_lo_u32 v10, s6, v7
	v_mad_nc_u64_u32 v[136:137], s6, v6, s[8:9]
	v_mad_nc_u64_u32 v[138:139], s6, v6, s[10:11]
	v_add_nc_u64_e32 v[6:7], 0x70, v[4:5]
	v_mul_u64_e32 v[14:15], s[6:7], v[12:13]
	v_add_nc_u64_e32 v[8:9], 0x74, v[4:5]
	v_add_nc_u64_e32 v[16:17], 28, v[12:13]
	;; [unrolled: 1-line block ×5, first 2 shown]
	v_mul_lo_u32 v3, s6, v7
	v_mul_lo_u32 v18, s7, v6
	v_mad_nc_u64_u32 v[144:145], s6, v6, s[8:9]
	v_mad_nc_u64_u32 v[148:149], s6, v6, s[10:11]
	v_add_nc_u64_e32 v[6:7], 31, v[12:13]
	v_add3_u32 v137, v11, v137, v10
	v_add3_u32 v139, v11, v139, v10
	v_add_nc_u64_e32 v[10:11], 0x78, v[4:5]
	v_mul_lo_u32 v19, s6, v9
	v_mul_lo_u32 v20, s7, v8
	v_mad_nc_u64_u32 v[150:151], s6, v8, s[8:9]
	v_mad_nc_u64_u32 v[152:153], s6, v8, s[10:11]
	v_add_nc_u64_e32 v[8:9], 30, v[12:13]
	v_mul_u64_e32 v[6:7], s[6:7], v[6:7]
	v_mul_lo_u32 v21, s6, v11
	v_add_nc_u64_e32 v[4:5], 0x7c, v[4:5]
	v_mul_lo_u32 v22, s7, v10
	v_mad_nc_u64_u32 v[154:155], s6, v10, s[8:9]
	v_mad_nc_u64_u32 v[156:157], s6, v10, s[10:11]
	v_add_nc_u64_e32 v[10:11], 29, v[12:13]
	v_mul_u64_e32 v[8:9], s[6:7], v[8:9]
	v_add3_u32 v145, v18, v145, v3
	v_mul_lo_u32 v23, s6, v5
	v_mul_lo_u32 v24, s7, v4
	v_mad_nc_u64_u32 v[158:159], s6, v4, s[8:9]
	v_mad_nc_u64_u32 v[160:161], s6, v4, s[10:11]
	v_mul_u64_e32 v[4:5], s[6:7], v[10:11]
	v_mul_u64_e32 v[10:11], s[6:7], v[16:17]
	s_set_vgpr_msb 4                        ;  msbs: dst=0 src0=0 src1=1 src2=0
	v_dual_mov_b32 v17, v2 :: v_dual_add_nc_u32 v16, s13, v50 /*v306*/
	s_set_vgpr_msb 0                        ;  msbs: dst=0 src0=0 src1=0 src2=0
	v_add3_u32 v149, v18, v149, v3
	v_add3_u32 v151, v20, v151, v19
	;; [unrolled: 1-line block ×3, first 2 shown]
	v_add_nc_u64_e32 v[18:19], 27, v[12:13]
	v_lshlrev_b64_e32 v[162:163], 2, v[16:17]
	v_add_nc_u64_e32 v[16:17], 26, v[12:13]
	v_add3_u32 v155, v22, v155, v21
	v_add3_u32 v157, v22, v157, v21
	;; [unrolled: 1-line block ×4, first 2 shown]
	v_lshlrev_b64_e32 v[22:23], 2, v[14:15]
	v_mul_u64_e32 v[18:19], s[6:7], v[18:19]
	v_add_nc_u64_e32 v[24:25], 24, v[12:13]
	v_mul_u64_e32 v[16:17], s[6:7], v[16:17]
	v_add_nc_u64_e32 v[20:21], 25, v[12:13]
	v_lshlrev_b64_e32 v[6:7], 2, v[6:7]
	v_add_nc_u64_e32 v[30:31], 21, v[12:13]
	v_add_nc_u64_e32 v[164:165], s[8:9], v[22:23]
	;; [unrolled: 1-line block ×3, first 2 shown]
	v_mul_u64_e32 v[24:25], s[6:7], v[24:25]
	v_mul_u64_e32 v[22:23], s[6:7], v[26:27]
	;; [unrolled: 1-line block ×3, first 2 shown]
	v_add_nc_u64_e32 v[26:27], 20, v[12:13]
	v_lshlrev_b64_e32 v[8:9], 2, v[8:9]
	v_mul_u64_e32 v[28:29], s[6:7], v[28:29]
	v_add_nc_u64_e32 v[34:35], 18, v[12:13]
	v_add_nc_u64_e32 v[168:169], s[8:9], v[6:7]
	;; [unrolled: 1-line block ×4, first 2 shown]
	v_mul_u64_e32 v[26:27], s[6:7], v[26:27]
	v_mul_u64_e32 v[6:7], s[6:7], v[32:33]
	v_lshlrev_b64_e32 v[4:5], 2, v[4:5]
	v_lshlrev_b64_e32 v[10:11], 2, v[10:11]
	v_mul_u64_e32 v[30:31], s[6:7], v[30:31]
	v_add_nc_u64_e32 v[172:173], s[8:9], v[8:9]
	v_mul_u64_e32 v[32:33], s[6:7], v[34:35]
	v_add_nc_u64_e32 v[174:175], s[10:11], v[8:9]
	;; [unrolled: 2-line block ×3, first 2 shown]
	v_add_nc_u64_e32 v[178:179], s[10:11], v[4:5]
	v_add_nc_u64_e32 v[4:5], 16, v[12:13]
	;; [unrolled: 1-line block ×4, first 2 shown]
	v_lshlrev_b64_e32 v[18:19], 2, v[18:19]
	v_add_nc_u64_e32 v[34:35], 15, v[12:13]
	v_lshlrev_b64_e32 v[10:11], 2, v[16:17]
	v_mul_u64_e32 v[4:5], s[6:7], v[4:5]
	s_delay_alu instid0(VALU_DEP_4)
	v_add_nc_u64_e32 v[184:185], s[8:9], v[18:19]
	v_add_nc_u64_e32 v[186:187], s[10:11], v[18:19]
	v_lshlrev_b64_e32 v[18:19], 2, v[24:25]
	v_add_nc_u64_e32 v[188:189], s[8:9], v[10:11]
	v_add_nc_u64_e32 v[190:191], s[10:11], v[10:11]
	v_lshlrev_b64_e32 v[10:11], 2, v[22:23]
	;; [unrolled: 3-line block ×3, first 2 shown]
	v_add_nc_u64_e32 v[196:197], s[8:9], v[18:19]
	v_add_nc_u64_e32 v[198:199], s[10:11], v[18:19]
	v_mul_u64_e32 v[20:21], s[6:7], v[34:35]
	v_add_nc_u64_e32 v[200:201], s[8:9], v[10:11]
	v_mul_u64_e32 v[22:23], s[6:7], v[22:23]
	v_mul_u64_e32 v[24:25], s[6:7], v[24:25]
	v_add_nc_u64_e32 v[192:193], s[8:9], v[16:17]
	v_add_nc_u64_e32 v[194:195], s[10:11], v[16:17]
	v_lshlrev_b64_e32 v[16:17], 2, v[28:29]
	v_add_nc_u64_e32 v[202:203], s[10:11], v[10:11]
	v_lshlrev_b64_e32 v[10:11], 2, v[26:27]
	v_lshlrev_b64_e32 v[6:7], 2, v[6:7]
	v_add_nc_u64_e32 v[26:27], 11, v[12:13]
	v_lshlrev_b64_e32 v[18:19], 2, v[30:31]
	v_lshlrev_b64_e32 v[8:9], 2, v[8:9]
	v_add_nc_u64_e32 v[204:205], s[8:9], v[16:17]
	v_add_nc_u64_e32 v[206:207], s[10:11], v[16:17]
	v_lshlrev_b64_e32 v[16:17], 2, v[32:33]
	v_add_nc_u64_e32 v[212:213], s[8:9], v[10:11]
	v_add_nc_u64_e32 v[214:215], s[10:11], v[10:11]
	;; [unrolled: 1-line block ×4, first 2 shown]
	v_mul_u64_e32 v[26:27], s[6:7], v[26:27]
	v_add_nc_u64_e32 v[28:29], 9, v[12:13]
	v_add_nc_u64_e32 v[30:31], 8, v[12:13]
	;; [unrolled: 1-line block ×5, first 2 shown]
	v_mul_u64_e32 v[10:11], s[6:7], v[10:11]
	v_add_nc_u64_e32 v[222:223], s[10:11], v[16:17]
	v_mul_u64_e32 v[16:17], s[6:7], v[28:29]
	v_mul_u64_e32 v[28:29], s[6:7], v[30:31]
	v_add_nc_u64_e32 v[30:31], 6, v[12:13]
	v_mul_u64_e32 v[6:7], s[6:7], v[6:7]
	v_add_nc_u64_e32 v[32:33], 5, v[12:13]
	v_add_nc_u64_e32 v[224:225], s[8:9], v[8:9]
	;; [unrolled: 1-line block ×7, first 2 shown]
	v_lshlrev_b64_e32 v[4:5], 2, v[4:5]
	v_mul_u64_e32 v[30:31], s[6:7], v[30:31]
	v_mul_u64_e32 v[32:33], s[6:7], v[32:33]
	v_add_nc_u64_e32 v[34:35], 3, v[12:13]
	v_add_nc_u64_e32 v[12:13], 2, v[12:13]
	v_mul_u64_e32 v[8:9], s[6:7], v[8:9]
	v_mul_u64_e32 v[18:19], s[6:7], v[18:19]
	v_add_nc_u64_e32 v[228:229], s[8:9], v[4:5]
	v_add_nc_u64_e32 v[230:231], s[10:11], v[4:5]
	v_lshlrev_b64_e32 v[4:5], 2, v[22:23]
	v_lshlrev_b64_e32 v[22:23], 2, v[24:25]
	v_mul_u64_e32 v[24:25], s[6:7], v[34:35]
	v_mul_u64_e32 v[12:13], s[6:7], v[12:13]
	v_lshlrev_b64_e32 v[20:21], 2, v[20:21]
	v_add_nc_u64_e32 v[236:237], s[8:9], v[4:5]
	v_add_nc_u64_e32 v[238:239], s[10:11], v[4:5]
	v_lshlrev_b64_e32 v[4:5], 2, v[26:27]
	v_lshlrev_b64_e32 v[10:11], 2, v[10:11]
	v_add_nc_u64_e32 v[232:233], s[8:9], v[20:21]
	v_lshlrev_b64_e32 v[16:17], 2, v[16:17]
	v_add_nc_u64_e32 v[234:235], s[10:11], v[20:21]
	v_add_nc_u64_e32 v[240:241], s[8:9], v[22:23]
	v_lshlrev_b64_e32 v[6:7], 2, v[6:7]
	v_add_nc_u64_e32 v[248:249], s[8:9], v[4:5]
	;; [unrolled: 3-line block ×3, first 2 shown]
	v_add_nc_u64_e32 v[254:255], s[10:11], v[10:11]
	v_add_nc_u64_e32 v[242:243], s[10:11], v[22:23]
	s_set_vgpr_msb 64                       ;  msbs: dst=1 src0=0 src1=0 src2=0
	v_add_nc_u64_e32 v[8:9] /*v[264:265]*/, s[8:9], v[6:7]
	v_add_nc_u64_e32 v[10:11] /*v[266:267]*/, s[10:11], v[6:7]
	s_set_vgpr_msb 0                        ;  msbs: dst=0 src0=0 src1=0 src2=0
	v_lshlrev_b64_e32 v[10:11], 2, v[30:31]
	s_set_vgpr_msb 64                       ;  msbs: dst=1 src0=0 src1=0 src2=0
	v_add_nc_u64_e32 v[4:5] /*v[260:261]*/, s[8:9], v[4:5]
	v_add_nc_u64_e32 v[6:7] /*v[262:263]*/, s[10:11], v[4:5]
	s_set_vgpr_msb 0                        ;  msbs: dst=0 src0=0 src1=0 src2=0
	v_lshlrev_b64_e32 v[4:5], 2, v[32:33]
	v_lshlrev_b64_e32 v[6:7], 2, v[8:9]
	v_add_nc_u64_e32 v[8:9], s[6:7], v[14:15]
	v_lshlrev_b64_e32 v[18:19], 2, v[18:19]
	s_set_vgpr_msb 64                       ;  msbs: dst=1 src0=0 src1=0 src2=0
	v_add_nc_u64_e32 v[12:13] /*v[268:269]*/, s[8:9], v[10:11]
	v_add_nc_u64_e32 v[14:15] /*v[270:271]*/, s[10:11], v[10:11]
	;; [unrolled: 1-line block ×3, first 2 shown]
	s_set_vgpr_msb 0                        ;  msbs: dst=0 src0=0 src1=0 src2=0
	v_lshlrev_b64_e32 v[10:11], 2, v[24:25]
	v_lshlrev_b64_e32 v[12:13], 2, v[12:13]
	s_set_vgpr_msb 64                       ;  msbs: dst=1 src0=0 src1=0 src2=0
	v_add_nc_u64_e32 v[16:17] /*v[272:273]*/, s[8:9], v[4:5]
	v_add_nc_u64_e32 v[18:19] /*v[274:275]*/, s[10:11], v[4:5]
	s_set_vgpr_msb 0                        ;  msbs: dst=0 src0=0 src1=0 src2=0
	v_lshlrev_b64_e32 v[4:5], 2, v[8:9]
	v_add_nc_u64_e32 v[244:245], s[8:9], v[18:19]
	v_add_nc_u64_e32 v[246:247], s[10:11], v[18:19]
	s_set_vgpr_msb 64                       ;  msbs: dst=1 src0=0 src1=0 src2=0
	v_add_nc_u64_e32 v[2:3] /*v[258:259]*/, s[10:11], v[16:17]
	v_add_nc_u64_e32 v[20:21] /*v[276:277]*/, s[8:9], v[6:7]
	;; [unrolled: 1-line block ×9, first 2 shown]
	s_mul_u64 s[8:9], s[6:7], s[20:21]
	s_mov_b64 s[10:11], 31
	s_lshl_b64 s[8:9], s[8:9], 2
.LBB143_145:                            ; =>This Inner Loop Header: Depth=1
	s_add_nc_u64 s[26:27], s[16:17], s[10:11]
	s_set_vgpr_msb 64                       ;  msbs: dst=1 src0=0 src1=0 src2=0
	v_add_nc_u64_e32 v[36:37] /*v[292:293]*/, s[16:17], v[146:147]
	v_cmp_ge_i64_e64 s13, s[26:27], s[4:5]
                                        ; implicit-def: $vgpr294
	s_and_b32 vcc_lo, exec_lo, s13
	s_mov_b32 s13, -1
	s_set_vgpr_msb 0                        ;  msbs: dst=0 src0=0 src1=0 src2=0
	s_cbranch_vccz .LBB143_213
; %bb.146:                              ;   in Loop: Header=BB143_145 Depth=1
	s_load_b32 s13, s[22:23], 0xc
	s_set_vgpr_msb 64                       ;  msbs: dst=1 src0=0 src1=0 src2=0
	v_dual_mov_b32 v53 /*v309*/, 0 :: v_dual_mov_b32 v52 /*v308*/, 0
	s_set_vgpr_msb 16                       ;  msbs: dst=0 src0=0 src1=0 src2=1
	v_mov_b32_e32 v5, v2
	s_wait_kmcnt 0x0
	s_and_b32 s13, s13, 0xffff
	s_delay_alu instid0(SALU_CYCLE_1) | instskip(SKIP_1) | instid1(VALU_DEP_1)
	v_mad_u32_u24 v3, v1, s13, v50 /*v306*/
	s_mov_b32 s13, exec_lo
	v_and_b32_e32 v4, 31, v3
	s_set_vgpr_msb 1                        ;  msbs: dst=0 src0=1 src1=0 src2=0
	s_delay_alu instid0(VALU_DEP_1) | instskip(NEXT) | instid1(VALU_DEP_1)
	v_add_nc_u64_e32 v[4:5], v[36:37] /*v[292:293]*/, v[4:5]
	v_cmpx_gt_i64_e64 s[4:5], v[4:5]
	s_set_vgpr_msb 0                        ;  msbs: dst=0 src0=0 src1=0 src2=0
	s_cbranch_execz .LBB143_148
; %bb.147:                              ;   in Loop: Header=BB143_145 Depth=1
	v_lshl_add_u64 v[4:5], v[4:5], 2, s[14:15]
	s_set_vgpr_msb 64                       ;  msbs: dst=1 src0=0 src1=0 src2=0
	global_load_b32 v52 /*v308*/, v[4:5], off
.LBB143_148:                            ;   in Loop: Header=BB143_145 Depth=1
	s_wait_xcnt 0x0
	s_or_b32 exec_lo, exec_lo, s13
	s_set_vgpr_msb 4                        ;  msbs: dst=0 src0=0 src1=1 src2=0
	v_dual_mov_b32 v31, v2 :: v_dual_mov_b32 v32, v2
	v_dual_mov_b32 v33, v2 :: v_dual_mov_b32 v3, v2
	;; [unrolled: 1-line block ×15, first 2 shown]
	v_mov_b32_e32 v30, v2
	v_mov_b64_e32 v[34:35], v[32:33]
	s_delay_alu instid0(VALU_DEP_2) | instskip(NEXT) | instid1(VALU_DEP_4)
	v_mov_b64_e32 v[32:33], v[30:31]
	v_mov_b64_e32 v[30:31], v[28:29]
	;; [unrolled: 1-line block ×15, first 2 shown]
	s_mov_b32 s13, exec_lo
	v_cmpx_gt_i64_e64 s[4:5], v[36:37] /*v[292:293]*/
	s_set_vgpr_msb 0                        ;  msbs: dst=0 src0=0 src1=0 src2=0
	s_cbranch_execz .LBB143_150
; %bb.149:                              ;   in Loop: Header=BB143_145 Depth=1
	v_add_nc_u64_e32 v[6:7], v[164:165], v[162:163]
	v_add_nc_u64_e32 v[8:9], v[166:167], v[162:163]
	v_dual_mov_b32 v5, v2 :: v_dual_mov_b32 v11, v2
	v_dual_mov_b32 v12, v2 :: v_dual_mov_b32 v13, v2
	v_mov_b32_e32 v14, v2
	global_load_b32 v4, v[6:7], off
	s_set_vgpr_msb 64                       ;  msbs: dst=1 src0=0 src1=0 src2=0
	global_load_b32 v53 /*v309*/, v[8:9], off
	s_wait_xcnt 0x1
	s_set_vgpr_msb 0                        ;  msbs: dst=0 src0=0 src1=0 src2=0
	v_dual_mov_b32 v6, v2 :: v_dual_mov_b32 v7, v2
	s_wait_xcnt 0x0
	v_dual_mov_b32 v8, v2 :: v_dual_mov_b32 v9, v2
	v_dual_mov_b32 v10, v2 :: v_dual_mov_b32 v15, v2
	;; [unrolled: 1-line block ×12, first 2 shown]
.LBB143_150:                            ;   in Loop: Header=BB143_145 Depth=1
	s_or_b32 exec_lo, exec_lo, s13
	s_set_vgpr_msb 0x44                     ;  msbs: dst=1 src0=0 src1=1 src2=0
	v_add_nc_u64_e32 v[38:39] /*v[294:295]*/, 1, v[36:37] /*v[292:293]*/
	s_set_vgpr_msb 0                        ;  msbs: dst=0 src0=0 src1=0 src2=0
	v_mov_b32_e32 v3, 0
	s_set_vgpr_msb 64                       ;  msbs: dst=1 src0=0 src1=0 src2=0
	v_mov_b32_e32 v54 /*v310*/, 0
	s_mov_b32 s13, exec_lo
	s_set_vgpr_msb 4                        ;  msbs: dst=0 src0=0 src1=1 src2=0
	v_cmpx_gt_i64_e64 s[4:5], v[38:39] /*v[294:295]*/
	s_set_vgpr_msb 0                        ;  msbs: dst=0 src0=0 src1=0 src2=0
	s_cbranch_execz .LBB143_152
; %bb.151:                              ;   in Loop: Header=BB143_145 Depth=1
	s_set_vgpr_msb 0x41                     ;  msbs: dst=1 src0=1 src1=0 src2=0
	v_add_nc_u64_e32 v[38:39] /*v[294:295]*/, v[32:33] /*v[288:289]*/, v[162:163]
	v_add_nc_u64_e32 v[40:41] /*v[296:297]*/, v[34:35] /*v[290:291]*/, v[162:163]
	s_set_vgpr_msb 1                        ;  msbs: dst=0 src0=1 src1=0 src2=0
	global_load_b32 v5, v[38:39] /*v[294:295]*/, off
	s_set_vgpr_msb 0x41                     ;  msbs: dst=1 src0=1 src1=0 src2=0
	global_load_b32 v54 /*v310*/, v[40:41] /*v[296:297]*/, off
.LBB143_152:                            ;   in Loop: Header=BB143_145 Depth=1
	s_wait_xcnt 0x0
	s_or_b32 exec_lo, exec_lo, s13
	s_set_vgpr_msb 0x44                     ;  msbs: dst=1 src0=0 src1=1 src2=0
	v_add_nc_u64_e32 v[38:39] /*v[294:295]*/, 2, v[36:37] /*v[292:293]*/
	s_mov_b32 s13, exec_lo
	s_delay_alu instid0(VALU_DEP_1)
	v_cmpx_gt_i64_e64 s[4:5], v[38:39] /*v[294:295]*/
	s_set_vgpr_msb 0                        ;  msbs: dst=0 src0=0 src1=0 src2=0
	s_cbranch_execz .LBB143_154
; %bb.153:                              ;   in Loop: Header=BB143_145 Depth=1
	s_set_vgpr_msb 0x41                     ;  msbs: dst=1 src0=1 src1=0 src2=0
	v_add_nc_u64_e32 v[38:39] /*v[294:295]*/, v[28:29] /*v[284:285]*/, v[162:163]
	v_add_nc_u64_e32 v[40:41] /*v[296:297]*/, v[30:31] /*v[286:287]*/, v[162:163]
	s_set_vgpr_msb 1                        ;  msbs: dst=0 src0=1 src1=0 src2=0
	global_load_b32 v6, v[38:39] /*v[294:295]*/, off
	global_load_b32 v3, v[40:41] /*v[296:297]*/, off
.LBB143_154:                            ;   in Loop: Header=BB143_145 Depth=1
	s_wait_xcnt 0x0
	s_or_b32 exec_lo, exec_lo, s13
	s_set_vgpr_msb 0x44                     ;  msbs: dst=1 src0=0 src1=1 src2=0
	v_add_nc_u64_e32 v[38:39] /*v[294:295]*/, 3, v[36:37] /*v[292:293]*/
	v_dual_mov_b32 v55 /*v311*/, 0 :: v_dual_mov_b32 v56 /*v312*/, 0
	s_mov_b32 s13, exec_lo
	s_delay_alu instid0(VALU_DEP_2)
	v_cmpx_gt_i64_e64 s[4:5], v[38:39] /*v[294:295]*/
	s_set_vgpr_msb 0                        ;  msbs: dst=0 src0=0 src1=0 src2=0
	s_cbranch_execz .LBB143_156
; %bb.155:                              ;   in Loop: Header=BB143_145 Depth=1
	s_set_vgpr_msb 0x41                     ;  msbs: dst=1 src0=1 src1=0 src2=0
	v_add_nc_u64_e32 v[38:39] /*v[294:295]*/, v[24:25] /*v[280:281]*/, v[162:163]
	v_add_nc_u64_e32 v[40:41] /*v[296:297]*/, v[26:27] /*v[282:283]*/, v[162:163]
	s_set_vgpr_msb 1                        ;  msbs: dst=0 src0=1 src1=0 src2=0
	global_load_b32 v7, v[38:39] /*v[294:295]*/, off
	s_set_vgpr_msb 0x41                     ;  msbs: dst=1 src0=1 src1=0 src2=0
	global_load_b32 v56 /*v312*/, v[40:41] /*v[296:297]*/, off
.LBB143_156:                            ;   in Loop: Header=BB143_145 Depth=1
	s_wait_xcnt 0x0
	s_or_b32 exec_lo, exec_lo, s13
	s_set_vgpr_msb 0x44                     ;  msbs: dst=1 src0=0 src1=1 src2=0
	v_add_nc_u64_e32 v[38:39] /*v[294:295]*/, 4, v[36:37] /*v[292:293]*/
	s_mov_b32 s13, exec_lo
	s_delay_alu instid0(VALU_DEP_1)
	v_cmpx_gt_i64_e64 s[4:5], v[38:39] /*v[294:295]*/
	s_set_vgpr_msb 0                        ;  msbs: dst=0 src0=0 src1=0 src2=0
	s_cbranch_execz .LBB143_158
; %bb.157:                              ;   in Loop: Header=BB143_145 Depth=1
	s_set_vgpr_msb 0x41                     ;  msbs: dst=1 src0=1 src1=0 src2=0
	v_add_nc_u64_e32 v[38:39] /*v[294:295]*/, v[20:21] /*v[276:277]*/, v[162:163]
	v_add_nc_u64_e32 v[40:41] /*v[296:297]*/, v[22:23] /*v[278:279]*/, v[162:163]
	s_set_vgpr_msb 1                        ;  msbs: dst=0 src0=1 src1=0 src2=0
	global_load_b32 v8, v[38:39] /*v[294:295]*/, off
	s_set_vgpr_msb 0x41                     ;  msbs: dst=1 src0=1 src1=0 src2=0
	global_load_b32 v55 /*v311*/, v[40:41] /*v[296:297]*/, off
.LBB143_158:                            ;   in Loop: Header=BB143_145 Depth=1
	s_wait_xcnt 0x0
	s_or_b32 exec_lo, exec_lo, s13
	s_set_vgpr_msb 0x44                     ;  msbs: dst=1 src0=0 src1=1 src2=0
	v_add_nc_u64_e32 v[38:39] /*v[294:295]*/, 5, v[36:37] /*v[292:293]*/
	v_dual_mov_b32 v57 /*v313*/, 0 :: v_dual_mov_b32 v58 /*v314*/, 0
	s_mov_b32 s13, exec_lo
	s_delay_alu instid0(VALU_DEP_2)
	v_cmpx_gt_i64_e64 s[4:5], v[38:39] /*v[294:295]*/
	s_set_vgpr_msb 0                        ;  msbs: dst=0 src0=0 src1=0 src2=0
	s_cbranch_execz .LBB143_160
; %bb.159:                              ;   in Loop: Header=BB143_145 Depth=1
	s_set_vgpr_msb 0x41                     ;  msbs: dst=1 src0=1 src1=0 src2=0
	v_add_nc_u64_e32 v[38:39] /*v[294:295]*/, v[16:17] /*v[272:273]*/, v[162:163]
	v_add_nc_u64_e32 v[40:41] /*v[296:297]*/, v[18:19] /*v[274:275]*/, v[162:163]
	s_set_vgpr_msb 1                        ;  msbs: dst=0 src0=1 src1=0 src2=0
	global_load_b32 v9, v[38:39] /*v[294:295]*/, off
	s_set_vgpr_msb 0x41                     ;  msbs: dst=1 src0=1 src1=0 src2=0
	global_load_b32 v58 /*v314*/, v[40:41] /*v[296:297]*/, off
.LBB143_160:                            ;   in Loop: Header=BB143_145 Depth=1
	s_wait_xcnt 0x0
	s_or_b32 exec_lo, exec_lo, s13
	s_set_vgpr_msb 0x44                     ;  msbs: dst=1 src0=0 src1=1 src2=0
	v_add_nc_u64_e32 v[38:39] /*v[294:295]*/, 6, v[36:37] /*v[292:293]*/
	s_mov_b32 s13, exec_lo
	s_delay_alu instid0(VALU_DEP_1)
	v_cmpx_gt_i64_e64 s[4:5], v[38:39] /*v[294:295]*/
	s_set_vgpr_msb 0                        ;  msbs: dst=0 src0=0 src1=0 src2=0
	s_cbranch_execz .LBB143_162
; %bb.161:                              ;   in Loop: Header=BB143_145 Depth=1
	s_set_vgpr_msb 0x41                     ;  msbs: dst=1 src0=1 src1=0 src2=0
	v_add_nc_u64_e32 v[38:39] /*v[294:295]*/, v[12:13] /*v[268:269]*/, v[162:163]
	v_add_nc_u64_e32 v[40:41] /*v[296:297]*/, v[14:15] /*v[270:271]*/, v[162:163]
	s_set_vgpr_msb 1                        ;  msbs: dst=0 src0=1 src1=0 src2=0
	global_load_b32 v10, v[38:39] /*v[294:295]*/, off
	s_set_vgpr_msb 0x41                     ;  msbs: dst=1 src0=1 src1=0 src2=0
	global_load_b32 v57 /*v313*/, v[40:41] /*v[296:297]*/, off
.LBB143_162:                            ;   in Loop: Header=BB143_145 Depth=1
	s_wait_xcnt 0x0
	s_or_b32 exec_lo, exec_lo, s13
	s_set_vgpr_msb 0x44                     ;  msbs: dst=1 src0=0 src1=1 src2=0
	v_add_nc_u64_e32 v[38:39] /*v[294:295]*/, 7, v[36:37] /*v[292:293]*/
	v_dual_mov_b32 v59 /*v315*/, 0 :: v_dual_mov_b32 v60 /*v316*/, 0
	s_mov_b32 s13, exec_lo
	s_delay_alu instid0(VALU_DEP_2)
	v_cmpx_gt_i64_e64 s[4:5], v[38:39] /*v[294:295]*/
	s_set_vgpr_msb 0                        ;  msbs: dst=0 src0=0 src1=0 src2=0
	s_cbranch_execz .LBB143_164
; %bb.163:                              ;   in Loop: Header=BB143_145 Depth=1
	s_set_vgpr_msb 0x41                     ;  msbs: dst=1 src0=1 src1=0 src2=0
	v_add_nc_u64_e32 v[38:39] /*v[294:295]*/, v[8:9] /*v[264:265]*/, v[162:163]
	v_add_nc_u64_e32 v[40:41] /*v[296:297]*/, v[10:11] /*v[266:267]*/, v[162:163]
	s_set_vgpr_msb 1                        ;  msbs: dst=0 src0=1 src1=0 src2=0
	global_load_b32 v11, v[38:39] /*v[294:295]*/, off
	s_set_vgpr_msb 0x41                     ;  msbs: dst=1 src0=1 src1=0 src2=0
	global_load_b32 v60 /*v316*/, v[40:41] /*v[296:297]*/, off
.LBB143_164:                            ;   in Loop: Header=BB143_145 Depth=1
	s_wait_xcnt 0x0
	s_or_b32 exec_lo, exec_lo, s13
	s_set_vgpr_msb 0x44                     ;  msbs: dst=1 src0=0 src1=1 src2=0
	v_add_nc_u64_e32 v[38:39] /*v[294:295]*/, 8, v[36:37] /*v[292:293]*/
	s_mov_b32 s13, exec_lo
	s_delay_alu instid0(VALU_DEP_1)
	v_cmpx_gt_i64_e64 s[4:5], v[38:39] /*v[294:295]*/
	s_set_vgpr_msb 0                        ;  msbs: dst=0 src0=0 src1=0 src2=0
	s_cbranch_execz .LBB143_166
; %bb.165:                              ;   in Loop: Header=BB143_145 Depth=1
	s_set_vgpr_msb 0x41                     ;  msbs: dst=1 src0=1 src1=0 src2=0
	v_add_nc_u64_e32 v[38:39] /*v[294:295]*/, v[4:5] /*v[260:261]*/, v[162:163]
	v_add_nc_u64_e32 v[40:41] /*v[296:297]*/, v[6:7] /*v[262:263]*/, v[162:163]
	s_set_vgpr_msb 1                        ;  msbs: dst=0 src0=1 src1=0 src2=0
	global_load_b32 v12, v[38:39] /*v[294:295]*/, off
	s_set_vgpr_msb 0x41                     ;  msbs: dst=1 src0=1 src1=0 src2=0
	global_load_b32 v59 /*v315*/, v[40:41] /*v[296:297]*/, off
.LBB143_166:                            ;   in Loop: Header=BB143_145 Depth=1
	s_wait_xcnt 0x0
	s_or_b32 exec_lo, exec_lo, s13
	s_set_vgpr_msb 0x44                     ;  msbs: dst=1 src0=0 src1=1 src2=0
	v_add_nc_u64_e32 v[38:39] /*v[294:295]*/, 9, v[36:37] /*v[292:293]*/
	v_dual_mov_b32 v61 /*v317*/, 0 :: v_dual_mov_b32 v62 /*v318*/, 0
	s_mov_b32 s13, exec_lo
	s_delay_alu instid0(VALU_DEP_2)
	v_cmpx_gt_i64_e64 s[4:5], v[38:39] /*v[294:295]*/
	s_set_vgpr_msb 0                        ;  msbs: dst=0 src0=0 src1=0 src2=0
	s_cbranch_execz .LBB143_168
; %bb.167:                              ;   in Loop: Header=BB143_145 Depth=1
	s_set_vgpr_msb 0x41                     ;  msbs: dst=1 src0=1 src1=0 src2=0
	v_add_nc_u64_e32 v[38:39] /*v[294:295]*/, v[0:1] /*v[256:257]*/, v[162:163]
	v_add_nc_u64_e32 v[40:41] /*v[296:297]*/, v[2:3] /*v[258:259]*/, v[162:163]
	s_set_vgpr_msb 1                        ;  msbs: dst=0 src0=1 src1=0 src2=0
	global_load_b32 v13, v[38:39] /*v[294:295]*/, off
	s_set_vgpr_msb 0x41                     ;  msbs: dst=1 src0=1 src1=0 src2=0
	global_load_b32 v62 /*v318*/, v[40:41] /*v[296:297]*/, off
.LBB143_168:                            ;   in Loop: Header=BB143_145 Depth=1
	s_wait_xcnt 0x0
	s_or_b32 exec_lo, exec_lo, s13
	s_set_vgpr_msb 0x44                     ;  msbs: dst=1 src0=0 src1=1 src2=0
	v_add_nc_u64_e32 v[38:39] /*v[294:295]*/, 10, v[36:37] /*v[292:293]*/
	s_mov_b32 s13, exec_lo
	s_delay_alu instid0(VALU_DEP_1)
	v_cmpx_gt_i64_e64 s[4:5], v[38:39] /*v[294:295]*/
	s_set_vgpr_msb 0                        ;  msbs: dst=0 src0=0 src1=0 src2=0
	s_cbranch_execz .LBB143_170
; %bb.169:                              ;   in Loop: Header=BB143_145 Depth=1
	s_set_vgpr_msb 64                       ;  msbs: dst=1 src0=0 src1=0 src2=0
	v_add_nc_u64_e32 v[38:39] /*v[294:295]*/, v[252:253], v[162:163]
	v_add_nc_u64_e32 v[40:41] /*v[296:297]*/, v[254:255], v[162:163]
	s_set_vgpr_msb 1                        ;  msbs: dst=0 src0=1 src1=0 src2=0
	global_load_b32 v14, v[38:39] /*v[294:295]*/, off
	s_set_vgpr_msb 0x41                     ;  msbs: dst=1 src0=1 src1=0 src2=0
	global_load_b32 v61 /*v317*/, v[40:41] /*v[296:297]*/, off
.LBB143_170:                            ;   in Loop: Header=BB143_145 Depth=1
	s_wait_xcnt 0x0
	s_or_b32 exec_lo, exec_lo, s13
	s_set_vgpr_msb 0x44                     ;  msbs: dst=1 src0=0 src1=1 src2=0
	v_add_nc_u64_e32 v[38:39] /*v[294:295]*/, 11, v[36:37] /*v[292:293]*/
	v_dual_mov_b32 v63 /*v319*/, 0 :: v_dual_mov_b32 v64 /*v320*/, 0
	s_mov_b32 s13, exec_lo
	s_delay_alu instid0(VALU_DEP_2)
	v_cmpx_gt_i64_e64 s[4:5], v[38:39] /*v[294:295]*/
	s_set_vgpr_msb 0                        ;  msbs: dst=0 src0=0 src1=0 src2=0
	s_cbranch_execz .LBB143_172
; %bb.171:                              ;   in Loop: Header=BB143_145 Depth=1
	s_set_vgpr_msb 64                       ;  msbs: dst=1 src0=0 src1=0 src2=0
	v_add_nc_u64_e32 v[38:39] /*v[294:295]*/, v[248:249], v[162:163]
	v_add_nc_u64_e32 v[40:41] /*v[296:297]*/, v[250:251], v[162:163]
	s_set_vgpr_msb 1                        ;  msbs: dst=0 src0=1 src1=0 src2=0
	global_load_b32 v15, v[38:39] /*v[294:295]*/, off
	s_set_vgpr_msb 0x41                     ;  msbs: dst=1 src0=1 src1=0 src2=0
	global_load_b32 v64 /*v320*/, v[40:41] /*v[296:297]*/, off
.LBB143_172:                            ;   in Loop: Header=BB143_145 Depth=1
	s_wait_xcnt 0x0
	s_or_b32 exec_lo, exec_lo, s13
	s_set_vgpr_msb 0x44                     ;  msbs: dst=1 src0=0 src1=1 src2=0
	v_add_nc_u64_e32 v[38:39] /*v[294:295]*/, 12, v[36:37] /*v[292:293]*/
	s_mov_b32 s13, exec_lo
	s_delay_alu instid0(VALU_DEP_1)
	v_cmpx_gt_i64_e64 s[4:5], v[38:39] /*v[294:295]*/
	s_set_vgpr_msb 0                        ;  msbs: dst=0 src0=0 src1=0 src2=0
	s_cbranch_execz .LBB143_174
; %bb.173:                              ;   in Loop: Header=BB143_145 Depth=1
	s_set_vgpr_msb 64                       ;  msbs: dst=1 src0=0 src1=0 src2=0
	v_add_nc_u64_e32 v[38:39] /*v[294:295]*/, v[244:245], v[162:163]
	v_add_nc_u64_e32 v[40:41] /*v[296:297]*/, v[246:247], v[162:163]
	s_set_vgpr_msb 1                        ;  msbs: dst=0 src0=1 src1=0 src2=0
	global_load_b32 v16, v[38:39] /*v[294:295]*/, off
	s_set_vgpr_msb 0x41                     ;  msbs: dst=1 src0=1 src1=0 src2=0
	global_load_b32 v63 /*v319*/, v[40:41] /*v[296:297]*/, off
.LBB143_174:                            ;   in Loop: Header=BB143_145 Depth=1
	s_wait_xcnt 0x0
	s_or_b32 exec_lo, exec_lo, s13
	s_set_vgpr_msb 0x44                     ;  msbs: dst=1 src0=0 src1=1 src2=0
	v_add_nc_u64_e32 v[38:39] /*v[294:295]*/, 13, v[36:37] /*v[292:293]*/
	v_dual_mov_b32 v65 /*v321*/, 0 :: v_dual_mov_b32 v66 /*v322*/, 0
	s_mov_b32 s13, exec_lo
	s_delay_alu instid0(VALU_DEP_2)
	v_cmpx_gt_i64_e64 s[4:5], v[38:39] /*v[294:295]*/
	s_set_vgpr_msb 0                        ;  msbs: dst=0 src0=0 src1=0 src2=0
	s_cbranch_execz .LBB143_176
; %bb.175:                              ;   in Loop: Header=BB143_145 Depth=1
	s_set_vgpr_msb 64                       ;  msbs: dst=1 src0=0 src1=0 src2=0
	v_add_nc_u64_e32 v[38:39] /*v[294:295]*/, v[240:241], v[162:163]
	v_add_nc_u64_e32 v[40:41] /*v[296:297]*/, v[242:243], v[162:163]
	s_set_vgpr_msb 1                        ;  msbs: dst=0 src0=1 src1=0 src2=0
	global_load_b32 v17, v[38:39] /*v[294:295]*/, off
	s_set_vgpr_msb 0x41                     ;  msbs: dst=1 src0=1 src1=0 src2=0
	global_load_b32 v66 /*v322*/, v[40:41] /*v[296:297]*/, off
.LBB143_176:                            ;   in Loop: Header=BB143_145 Depth=1
	;; [unrolled: 37-line block ×4, first 2 shown]
	s_wait_xcnt 0x0
	s_or_b32 exec_lo, exec_lo, s13
	s_set_vgpr_msb 0x44                     ;  msbs: dst=1 src0=0 src1=1 src2=0
	v_add_nc_u64_e32 v[38:39] /*v[294:295]*/, 18, v[36:37] /*v[292:293]*/
	s_mov_b32 s13, exec_lo
	s_delay_alu instid0(VALU_DEP_1)
	v_cmpx_gt_i64_e64 s[4:5], v[38:39] /*v[294:295]*/
	s_set_vgpr_msb 0                        ;  msbs: dst=0 src0=0 src1=0 src2=0
	s_cbranch_execz .LBB143_186
; %bb.185:                              ;   in Loop: Header=BB143_145 Depth=1
	s_set_vgpr_msb 64                       ;  msbs: dst=1 src0=0 src1=0 src2=0
	v_add_nc_u64_e32 v[38:39] /*v[294:295]*/, v[220:221], v[162:163]
	v_add_nc_u64_e32 v[40:41] /*v[296:297]*/, v[222:223], v[162:163]
	s_set_vgpr_msb 1                        ;  msbs: dst=0 src0=1 src1=0 src2=0
	global_load_b32 v22, v[38:39] /*v[294:295]*/, off
	s_set_vgpr_msb 0x41                     ;  msbs: dst=1 src0=1 src1=0 src2=0
	global_load_b32 v69 /*v325*/, v[40:41] /*v[296:297]*/, off
.LBB143_186:                            ;   in Loop: Header=BB143_145 Depth=1
	s_wait_xcnt 0x0
	s_or_b32 exec_lo, exec_lo, s13
	s_set_vgpr_msb 0x44                     ;  msbs: dst=1 src0=0 src1=1 src2=0
	v_add_nc_u64_e32 v[38:39] /*v[294:295]*/, 19, v[36:37] /*v[292:293]*/
	v_mov_b32_e32 v71 /*v327*/, 0
	s_delay_alu instid0(VALU_DEP_2)
	v_cmp_gt_i64_e32 vcc_lo, s[4:5], v[38:39] /*v[294:295]*/
	v_mov_b32_e32 v38 /*v294*/, 0
	s_and_saveexec_b32 s13, vcc_lo
	s_set_vgpr_msb 0                        ;  msbs: dst=0 src0=0 src1=0 src2=0
	s_cbranch_execz .LBB143_188
; %bb.187:                              ;   in Loop: Header=BB143_145 Depth=1
	s_set_vgpr_msb 64                       ;  msbs: dst=1 src0=0 src1=0 src2=0
	v_add_nc_u64_e32 v[40:41] /*v[296:297]*/, v[216:217], v[162:163]
	v_add_nc_u64_e32 v[42:43] /*v[298:299]*/, v[218:219], v[162:163]
	s_set_vgpr_msb 1                        ;  msbs: dst=0 src0=1 src1=0 src2=0
	global_load_b32 v23, v[40:41] /*v[296:297]*/, off
	s_set_vgpr_msb 0x41                     ;  msbs: dst=1 src0=1 src1=0 src2=0
	global_load_b32 v71 /*v327*/, v[42:43] /*v[298:299]*/, off
.LBB143_188:                            ;   in Loop: Header=BB143_145 Depth=1
	s_wait_xcnt 0x0
	s_or_b32 exec_lo, exec_lo, s13
	s_set_vgpr_msb 0x44                     ;  msbs: dst=1 src0=0 src1=1 src2=0
	v_add_nc_u64_e32 v[40:41] /*v[296:297]*/, 20, v[36:37] /*v[292:293]*/
	s_mov_b32 s13, exec_lo
	s_delay_alu instid0(VALU_DEP_1)
	v_cmpx_gt_i64_e64 s[4:5], v[40:41] /*v[296:297]*/
	s_set_vgpr_msb 0                        ;  msbs: dst=0 src0=0 src1=0 src2=0
	s_cbranch_execz .LBB143_190
; %bb.189:                              ;   in Loop: Header=BB143_145 Depth=1
	s_set_vgpr_msb 64                       ;  msbs: dst=1 src0=0 src1=0 src2=0
	v_add_nc_u64_e32 v[40:41] /*v[296:297]*/, v[212:213], v[162:163]
	v_add_nc_u64_e32 v[42:43] /*v[298:299]*/, v[214:215], v[162:163]
	s_set_vgpr_msb 1                        ;  msbs: dst=0 src0=1 src1=0 src2=0
	global_load_b32 v24, v[40:41] /*v[296:297]*/, off
	s_set_vgpr_msb 0x41                     ;  msbs: dst=1 src0=1 src1=0 src2=0
	global_load_b32 v38 /*v294*/, v[42:43] /*v[298:299]*/, off
.LBB143_190:                            ;   in Loop: Header=BB143_145 Depth=1
	s_wait_xcnt 0x0
	s_or_b32 exec_lo, exec_lo, s13
	s_set_vgpr_msb 0x44                     ;  msbs: dst=1 src0=0 src1=1 src2=0
	v_add_nc_u64_e32 v[40:41] /*v[296:297]*/, 21, v[36:37] /*v[292:293]*/
	v_mov_b32_e32 v39 /*v295*/, 0
	s_delay_alu instid0(VALU_DEP_2)
	v_cmp_gt_i64_e32 vcc_lo, s[4:5], v[40:41] /*v[296:297]*/
	v_mov_b32_e32 v40 /*v296*/, 0
	s_and_saveexec_b32 s13, vcc_lo
	s_set_vgpr_msb 0                        ;  msbs: dst=0 src0=0 src1=0 src2=0
	s_cbranch_execz .LBB143_192
; %bb.191:                              ;   in Loop: Header=BB143_145 Depth=1
	s_set_vgpr_msb 64                       ;  msbs: dst=1 src0=0 src1=0 src2=0
	v_add_nc_u64_e32 v[42:43] /*v[298:299]*/, v[208:209], v[162:163]
	v_add_nc_u64_e32 v[44:45] /*v[300:301]*/, v[210:211], v[162:163]
	s_set_vgpr_msb 1                        ;  msbs: dst=0 src0=1 src1=0 src2=0
	global_load_b32 v25, v[42:43] /*v[298:299]*/, off
	s_set_vgpr_msb 0x41                     ;  msbs: dst=1 src0=1 src1=0 src2=0
	global_load_b32 v39 /*v295*/, v[44:45] /*v[300:301]*/, off
.LBB143_192:                            ;   in Loop: Header=BB143_145 Depth=1
	;; [unrolled: 38-line block ×6, first 2 shown]
	s_wait_xcnt 0x0
	s_or_b32 exec_lo, exec_lo, s13
	s_set_vgpr_msb 0x44                     ;  msbs: dst=1 src0=0 src1=1 src2=0
	v_add_nc_u64_e32 v[72:73] /*v[328:329]*/, 30, v[36:37] /*v[292:293]*/
	s_mov_b32 s13, exec_lo
	s_delay_alu instid0(VALU_DEP_1)
	v_cmpx_gt_i64_e64 s[4:5], v[72:73] /*v[328:329]*/
	s_set_vgpr_msb 0                        ;  msbs: dst=0 src0=0 src1=0 src2=0
	s_cbranch_execz .LBB143_210
; %bb.209:                              ;   in Loop: Header=BB143_145 Depth=1
	s_set_vgpr_msb 64                       ;  msbs: dst=1 src0=0 src1=0 src2=0
	v_add_nc_u64_e32 v[72:73] /*v[328:329]*/, v[172:173], v[162:163]
	v_add_nc_u64_e32 v[74:75] /*v[330:331]*/, v[174:175], v[162:163]
	s_set_vgpr_msb 1                        ;  msbs: dst=0 src0=1 src1=0 src2=0
	global_load_b32 v34, v[72:73] /*v[328:329]*/, off
	s_set_vgpr_msb 0x41                     ;  msbs: dst=1 src0=1 src1=0 src2=0
	global_load_b32 v48 /*v304*/, v[74:75] /*v[330:331]*/, off
.LBB143_210:                            ;   in Loop: Header=BB143_145 Depth=1
	s_wait_xcnt 0x0
	s_or_b32 exec_lo, exec_lo, s13
	s_set_vgpr_msb 0x44                     ;  msbs: dst=1 src0=0 src1=1 src2=0
	v_add_nc_u64_e32 v[72:73] /*v[328:329]*/, 31, v[36:37] /*v[292:293]*/
	v_mov_b32_e32 v49 /*v305*/, 0
	s_mov_b32 s13, exec_lo
	s_delay_alu instid0(VALU_DEP_2)
	v_cmpx_gt_i64_e64 s[4:5], v[72:73] /*v[328:329]*/
	s_set_vgpr_msb 0                        ;  msbs: dst=0 src0=0 src1=0 src2=0
	s_cbranch_execz .LBB143_212
; %bb.211:                              ;   in Loop: Header=BB143_145 Depth=1
	s_set_vgpr_msb 64                       ;  msbs: dst=1 src0=0 src1=0 src2=0
	v_add_nc_u64_e32 v[72:73] /*v[328:329]*/, v[168:169], v[162:163]
	v_add_nc_u64_e32 v[74:75] /*v[330:331]*/, v[170:171], v[162:163]
	s_set_vgpr_msb 1                        ;  msbs: dst=0 src0=1 src1=0 src2=0
	global_load_b32 v35, v[72:73] /*v[328:329]*/, off
	s_set_vgpr_msb 0x41                     ;  msbs: dst=1 src0=1 src1=0 src2=0
	global_load_b32 v49 /*v305*/, v[74:75] /*v[330:331]*/, off
.LBB143_212:                            ;   in Loop: Header=BB143_145 Depth=1
	s_wait_xcnt 0x0
	s_or_b32 exec_lo, exec_lo, s13
	s_wait_loadcnt 0x0
	s_set_vgpr_msb 0x44                     ;  msbs: dst=1 src0=0 src1=1 src2=0
	ds_bpermute_b32 v72 /*v328*/, v2, v52 /*v308*/
	ds_bpermute_b32 v73 /*v329*/, v2, v52 /*v308*/ offset:4
	ds_bpermute_b32 v74 /*v330*/, v2, v52 /*v308*/ offset:8
	s_set_vgpr_msb 1                        ;  msbs: dst=0 src0=1 src1=0 src2=0
	v_dual_mul_f32 v4, v53 /*v309*/, v4 :: v_dual_mul_f32 v5, v54 /*v310*/, v5
	s_set_vgpr_msb 0x44                     ;  msbs: dst=1 src0=0 src1=1 src2=0
	ds_bpermute_b32 v53 /*v309*/, v2, v52 /*v308*/ offset:12
	ds_bpermute_b32 v54 /*v310*/, v2, v52 /*v308*/ offset:16
	s_set_vgpr_msb 0                        ;  msbs: dst=0 src0=0 src1=0 src2=0
	v_mul_f32_e32 v3, v3, v6
	s_set_vgpr_msb 4                        ;  msbs: dst=0 src0=0 src1=1 src2=0
	ds_bpermute_b32 v6, v2, v52 /*v308*/ offset:24
	s_mov_b32 s13, 0
	s_wait_dscnt 0x5
	s_set_vgpr_msb 0x54                     ;  msbs: dst=1 src0=0 src1=1 src2=1
	v_fma_f32 v72 /*v328*/, v4, v72 /*v328*/, v51 /*v307*/
	s_set_vgpr_msb 4                        ;  msbs: dst=0 src0=0 src1=1 src2=0
	ds_bpermute_b32 v4, v2, v52 /*v308*/ offset:20
	s_wait_dscnt 0x5
	s_set_vgpr_msb 0x44                     ;  msbs: dst=1 src0=0 src1=1 src2=0
	v_fmac_f32_e32 v72 /*v328*/, v5, v73 /*v329*/
	s_set_vgpr_msb 1                        ;  msbs: dst=0 src0=1 src1=0 src2=0
	v_mul_f32_e32 v5, v56 /*v312*/, v7
	s_set_vgpr_msb 4                        ;  msbs: dst=0 src0=0 src1=1 src2=0
	ds_bpermute_b32 v7, v2, v52 /*v308*/ offset:28
	s_wait_dscnt 0x5
	s_set_vgpr_msb 0x44                     ;  msbs: dst=1 src0=0 src1=1 src2=0
	v_fmac_f32_e32 v72 /*v328*/, v3, v74 /*v330*/
	s_set_vgpr_msb 1                        ;  msbs: dst=0 src0=1 src1=0 src2=0
	v_mul_f32_e32 v3, v55 /*v311*/, v8
	;; [unrolled: 7-line block ×4, first 2 shown]
	s_set_vgpr_msb 4                        ;  msbs: dst=0 src0=0 src1=1 src2=0
	ds_bpermute_b32 v10, v2, v52 /*v308*/ offset:60
	s_wait_dscnt 0x4
	s_set_vgpr_msb 64                       ;  msbs: dst=1 src0=0 src1=0 src2=0
	v_fmac_f32_e32 v72 /*v328*/, v5, v4
	s_set_vgpr_msb 1                        ;  msbs: dst=0 src0=1 src1=0 src2=0
	v_mul_f32_e32 v4, v60 /*v316*/, v11
	s_set_vgpr_msb 4                        ;  msbs: dst=0 src0=0 src1=1 src2=0
	ds_bpermute_b32 v5, v2, v52 /*v308*/ offset:40
	ds_bpermute_b32 v11, v2, v52 /*v308*/ offset:68
	s_set_vgpr_msb 64                       ;  msbs: dst=1 src0=0 src1=0 src2=0
	v_fmac_f32_e32 v72 /*v328*/, v3, v6
	s_set_vgpr_msb 1                        ;  msbs: dst=0 src0=1 src1=0 src2=0
	v_mul_f32_e32 v3, v59 /*v315*/, v12
	s_set_vgpr_msb 4                        ;  msbs: dst=0 src0=0 src1=1 src2=0
	ds_bpermute_b32 v6, v2, v52 /*v308*/ offset:44
	ds_bpermute_b32 v12, v2, v52 /*v308*/ offset:72
	s_wait_dscnt 0x7
	s_set_vgpr_msb 64                       ;  msbs: dst=1 src0=0 src1=0 src2=0
	v_fmac_f32_e32 v72 /*v328*/, v4, v7
	s_set_vgpr_msb 1                        ;  msbs: dst=0 src0=1 src1=0 src2=0
	v_mul_f32_e32 v4, v62 /*v318*/, v13
	s_set_vgpr_msb 4                        ;  msbs: dst=0 src0=0 src1=1 src2=0
	ds_bpermute_b32 v7, v2, v52 /*v308*/ offset:48
	ds_bpermute_b32 v13, v2, v52 /*v308*/ offset:76
	s_wait_dscnt 0x8
	s_set_vgpr_msb 64                       ;  msbs: dst=1 src0=0 src1=0 src2=0
	v_fmac_f32_e32 v72 /*v328*/, v3, v8
	s_set_vgpr_msb 1                        ;  msbs: dst=0 src0=1 src1=0 src2=0
	v_mul_f32_e32 v3, v61 /*v317*/, v14
	s_set_vgpr_msb 4                        ;  msbs: dst=0 src0=0 src1=1 src2=0
	ds_bpermute_b32 v8, v2, v52 /*v308*/ offset:52
	s_wait_dscnt 0x8
	s_set_vgpr_msb 64                       ;  msbs: dst=1 src0=0 src1=0 src2=0
	v_fmac_f32_e32 v72 /*v328*/, v4, v9
	s_set_vgpr_msb 1                        ;  msbs: dst=0 src0=1 src1=0 src2=0
	v_mul_f32_e32 v4, v64 /*v320*/, v15
	s_set_vgpr_msb 4                        ;  msbs: dst=0 src0=0 src1=1 src2=0
	ds_bpermute_b32 v9, v2, v52 /*v308*/ offset:56
	s_wait_dscnt 0x7
	s_set_vgpr_msb 64                       ;  msbs: dst=1 src0=0 src1=0 src2=0
	v_fmac_f32_e32 v72 /*v328*/, v3, v5
	s_set_vgpr_msb 1                        ;  msbs: dst=0 src0=1 src1=0 src2=0
	v_mul_f32_e32 v3, v63 /*v319*/, v16
	s_set_vgpr_msb 4                        ;  msbs: dst=0 src0=0 src1=1 src2=0
	ds_bpermute_b32 v5, v2, v52 /*v308*/ offset:84
	s_wait_dscnt 0x6
	s_set_vgpr_msb 64                       ;  msbs: dst=1 src0=0 src1=0 src2=0
	v_fmac_f32_e32 v72 /*v328*/, v4, v6
	s_set_vgpr_msb 1                        ;  msbs: dst=0 src0=1 src1=0 src2=0
	v_mul_f32_e32 v4, v66 /*v322*/, v17
	s_set_vgpr_msb 4                        ;  msbs: dst=0 src0=0 src1=1 src2=0
	ds_bpermute_b32 v6, v2, v52 /*v308*/ offset:64
	s_wait_dscnt 0x5
	s_set_vgpr_msb 64                       ;  msbs: dst=1 src0=0 src1=0 src2=0
	v_fmac_f32_e32 v72 /*v328*/, v3, v7
	s_set_vgpr_msb 1                        ;  msbs: dst=0 src0=1 src1=0 src2=0
	v_dual_mul_f32 v3, v65 /*v321*/, v18 :: v_dual_mul_f32 v7, v68 /*v324*/, v19
	s_wait_dscnt 0x3
	s_set_vgpr_msb 64                       ;  msbs: dst=1 src0=0 src1=0 src2=0
	v_fmac_f32_e32 v72 /*v328*/, v4, v8
	s_set_vgpr_msb 4                        ;  msbs: dst=0 src0=0 src1=1 src2=0
	ds_bpermute_b32 v4, v2, v52 /*v308*/ offset:80
	s_set_vgpr_msb 1                        ;  msbs: dst=0 src0=1 src1=0 src2=0
	v_mul_f32_e32 v8, v70 /*v326*/, v21
	s_wait_dscnt 0x3
	s_set_vgpr_msb 64                       ;  msbs: dst=1 src0=0 src1=0 src2=0
	v_fmac_f32_e32 v72 /*v328*/, v3, v9
	s_set_vgpr_msb 1                        ;  msbs: dst=0 src0=1 src1=0 src2=0
	v_mul_f32_e32 v3, v67 /*v323*/, v20
	s_set_vgpr_msb 64                       ;  msbs: dst=1 src0=0 src1=0 src2=0
	s_delay_alu instid0(VALU_DEP_2)
	v_fmac_f32_e32 v72 /*v328*/, v7, v10
	s_set_vgpr_msb 4                        ;  msbs: dst=0 src0=0 src1=1 src2=0
	ds_bpermute_b32 v7, v2, v52 /*v308*/ offset:92
	ds_bpermute_b32 v10, v2, v52 /*v308*/ offset:96
	s_wait_dscnt 0x3
	s_set_vgpr_msb 64                       ;  msbs: dst=1 src0=0 src1=0 src2=0
	v_fmac_f32_e32 v72 /*v328*/, v3, v6
	s_set_vgpr_msb 1                        ;  msbs: dst=0 src0=1 src1=0 src2=0
	v_mul_f32_e32 v3, v69 /*v325*/, v22
	s_set_vgpr_msb 4                        ;  msbs: dst=0 src0=0 src1=1 src2=0
	ds_bpermute_b32 v6, v2, v52 /*v308*/ offset:88
	s_set_vgpr_msb 64                       ;  msbs: dst=1 src0=0 src1=0 src2=0
	v_fmac_f32_e32 v72 /*v328*/, v8, v11
	s_set_vgpr_msb 1                        ;  msbs: dst=0 src0=1 src1=0 src2=0
	v_pk_mul_f32 v[8:9], v[38:39] /*v[294:295]*/, v[24:25]
	s_set_vgpr_msb 4                        ;  msbs: dst=0 src0=0 src1=1 src2=0
	ds_bpermute_b32 v11, v2, v52 /*v308*/ offset:100
	s_set_vgpr_msb 64                       ;  msbs: dst=1 src0=0 src1=0 src2=0
	v_fmac_f32_e32 v72 /*v328*/, v3, v12
	s_wait_dscnt 0x4
	s_set_vgpr_msb 0                        ;  msbs: dst=0 src0=0 src1=0 src2=0
	v_pk_mul_f32 v[4:5], v[8:9], v[4:5]
	s_set_vgpr_msb 1                        ;  msbs: dst=0 src0=1 src1=0 src2=0
	v_mul_f32_e32 v14, v71 /*v327*/, v23
	v_pk_mul_f32 v[8:9], v[40:41] /*v[296:297]*/, v[26:27]
	s_set_vgpr_msb 4                        ;  msbs: dst=0 src0=0 src1=1 src2=0
	ds_bpermute_b32 v12, v2, v52 /*v308*/ offset:104
	s_set_vgpr_msb 64                       ;  msbs: dst=1 src0=0 src1=0 src2=0
	v_fmac_f32_e32 v72 /*v328*/, v14, v13
	s_set_vgpr_msb 4                        ;  msbs: dst=0 src0=0 src1=1 src2=0
	ds_bpermute_b32 v13, v2, v52 /*v308*/ offset:108
	s_set_vgpr_msb 1                        ;  msbs: dst=0 src0=1 src1=0 src2=0
	v_add_f32_e32 v3, v72 /*v328*/, v4
	s_wait_dscnt 0x3
	s_set_vgpr_msb 0                        ;  msbs: dst=0 src0=0 src1=0 src2=0
	v_pk_mul_f32 v[6:7], v[8:9], v[6:7]
	s_set_vgpr_msb 4                        ;  msbs: dst=0 src0=0 src1=1 src2=0
	ds_bpermute_b32 v8, v2, v52 /*v308*/ offset:112
	ds_bpermute_b32 v9, v2, v52 /*v308*/ offset:116
	s_set_vgpr_msb 0                        ;  msbs: dst=0 src0=0 src1=0 src2=0
	v_add_f32_e32 v3, v3, v5
	s_set_vgpr_msb 1                        ;  msbs: dst=0 src0=1 src1=0 src2=0
	v_pk_mul_f32 v[4:5], v[42:43] /*v[298:299]*/, v[28:29]
	s_set_vgpr_msb 0                        ;  msbs: dst=0 src0=0 src1=0 src2=0
	s_delay_alu instid0(VALU_DEP_2) | instskip(SKIP_1) | instid1(VALU_DEP_2)
	v_add_f32_e32 v3, v3, v6
	s_wait_dscnt 0x4
	v_pk_mul_f32 v[4:5], v[4:5], v[10:11]
	s_set_vgpr_msb 1                        ;  msbs: dst=0 src0=1 src1=0 src2=0
	v_pk_mul_f32 v[10:11], v[46:47] /*v[302:303]*/, v[32:33]
	s_set_vgpr_msb 0                        ;  msbs: dst=0 src0=0 src1=0 src2=0
	v_add_f32_e32 v3, v3, v7
	s_set_vgpr_msb 1                        ;  msbs: dst=0 src0=1 src1=0 src2=0
	v_pk_mul_f32 v[6:7], v[44:45] /*v[300:301]*/, v[30:31]
	s_set_vgpr_msb 0                        ;  msbs: dst=0 src0=0 src1=0 src2=0
	s_delay_alu instid0(VALU_DEP_2)
	v_add_f32_e32 v3, v3, v4
	s_set_vgpr_msb 4                        ;  msbs: dst=0 src0=0 src1=1 src2=0
	ds_bpermute_b32 v4, v2, v52 /*v308*/ offset:120
	s_wait_dscnt 0x3
	s_set_vgpr_msb 0                        ;  msbs: dst=0 src0=0 src1=0 src2=0
	v_pk_mul_f32 v[6:7], v[6:7], v[12:13]
	s_wait_dscnt 0x1
	v_pk_mul_f32 v[8:9], v[10:11], v[8:9]
	v_add_f32_e32 v3, v3, v5
	s_set_vgpr_msb 4                        ;  msbs: dst=0 src0=0 src1=1 src2=0
	ds_bpermute_b32 v5, v2, v52 /*v308*/ offset:124
	s_set_vgpr_msb 0                        ;  msbs: dst=0 src0=0 src1=0 src2=0
	v_add_f32_e32 v3, v3, v6
	s_delay_alu instid0(VALU_DEP_1) | instskip(SKIP_3) | instid1(VALU_DEP_2)
	v_add_f32_e32 v3, v3, v7
	s_set_vgpr_msb 1                        ;  msbs: dst=0 src0=1 src1=0 src2=0
	v_pk_mul_f32 v[6:7], v[48:49] /*v[304:305]*/, v[34:35]
	s_set_vgpr_msb 0                        ;  msbs: dst=0 src0=0 src1=0 src2=0
	v_add_f32_e32 v3, v3, v8
	s_delay_alu instid0(VALU_DEP_1) | instskip(SKIP_2) | instid1(VALU_DEP_1)
	v_add_f32_e32 v3, v3, v9
	s_wait_dscnt 0x0
	v_pk_mul_f32 v[4:5], v[6:7], v[4:5]
	v_add_f32_e32 v3, v3, v4
	s_set_vgpr_msb 64                       ;  msbs: dst=1 src0=0 src1=0 src2=0
	s_delay_alu instid0(VALU_DEP_1)
	v_add_f32_e32 v38 /*v294*/, v3, v5
.LBB143_213:                            ;   in Loop: Header=BB143_145 Depth=1
	s_and_b32 vcc_lo, exec_lo, s13
	s_set_vgpr_msb 0                        ;  msbs: dst=0 src0=0 src1=0 src2=0
	s_cbranch_vccz .LBB143_217
; %bb.214:                              ;   in Loop: Header=BB143_145 Depth=1
	s_load_b32 s13, s[22:23], 0x0
	v_mov_b32_e32 v5, v2
	s_wait_kmcnt 0x0
	s_cmp_lt_u32 s12, s13
	s_cselect_b32 s18, 12, 18
	s_delay_alu instid0(SALU_CYCLE_1)
	s_add_nc_u64 s[26:27], s[22:23], s[18:19]
	s_load_u16 s13, s[26:27], 0x0
	s_wait_kmcnt 0x0
	s_set_vgpr_msb 16                       ;  msbs: dst=0 src0=0 src1=0 src2=1
	v_mad_u32_u24 v3, v1, s13, v50 /*v306*/
	s_mov_b32 s13, exec_lo
	s_delay_alu instid0(VALU_DEP_1) | instskip(SKIP_1) | instid1(VALU_DEP_1)
	v_dual_mov_b32 v3, 0 :: v_dual_bitop2_b32 v4, 31, v3 bitop3:0x40
	s_set_vgpr_msb 1                        ;  msbs: dst=0 src0=1 src1=0 src2=0
	v_add_nc_u64_e32 v[4:5], v[36:37] /*v[292:293]*/, v[4:5]
	s_delay_alu instid0(VALU_DEP_1)
	v_cmpx_gt_i64_e64 s[4:5], v[4:5]
	s_set_vgpr_msb 0                        ;  msbs: dst=0 src0=0 src1=0 src2=0
	s_cbranch_execz .LBB143_216
; %bb.215:                              ;   in Loop: Header=BB143_145 Depth=1
	v_lshl_add_u64 v[4:5], v[4:5], 2, s[14:15]
	global_load_b32 v3, v[4:5], off
.LBB143_216:                            ;   in Loop: Header=BB143_145 Depth=1
	s_wait_xcnt 0x0
	s_or_b32 exec_lo, exec_lo, s13
	v_add_nc_u64_e32 v[4:5], v[164:165], v[162:163]
	v_add_nc_u64_e32 v[6:7], v[166:167], v[162:163]
	;; [unrolled: 1-line block ×7, first 2 shown]
	s_set_vgpr_msb 64                       ;  msbs: dst=1 src0=0 src1=0 src2=0
	global_load_b32 v36 /*v292*/, v[4:5], off
	global_load_b32 v37 /*v293*/, v[6:7], off
	s_wait_xcnt 0x1
	s_set_vgpr_msb 0                        ;  msbs: dst=0 src0=0 src1=0 src2=0
	v_add_nc_u64_e32 v[4:5], v[40:41], v[162:163]
	s_wait_xcnt 0x0
	v_add_nc_u64_e32 v[6:7], v[44:45], v[162:163]
	s_set_vgpr_msb 64                       ;  msbs: dst=1 src0=0 src1=0 src2=0
	global_load_b32 v38 /*v294*/, v[8:9], off
	global_load_b32 v39 /*v295*/, v[10:11], off
	s_wait_xcnt 0x1
	s_set_vgpr_msb 0                        ;  msbs: dst=0 src0=0 src1=0 src2=0
	v_add_nc_u64_e32 v[8:9], v[42:43], v[162:163]
	s_wait_xcnt 0x0
	v_add_nc_u64_e32 v[10:11], v[46:47], v[162:163]
	v_add_nc_u64_e32 v[18:19], v[110:111], v[162:163]
	s_set_vgpr_msb 64                       ;  msbs: dst=1 src0=0 src1=0 src2=0
	global_load_b32 v40 /*v296*/, v[4:5], off
	global_load_b32 v41 /*v297*/, v[6:7], off
	s_wait_xcnt 0x1
	s_set_vgpr_msb 0                        ;  msbs: dst=0 src0=0 src1=0 src2=0
	v_add_nc_u64_e32 v[4:5], v[48:49], v[162:163]
	s_wait_xcnt 0x0
	v_add_nc_u64_e32 v[6:7], v[50:51], v[162:163]
	s_set_vgpr_msb 64                       ;  msbs: dst=1 src0=0 src1=0 src2=0
	global_load_b32 v42 /*v298*/, v[8:9], off
	global_load_b32 v43 /*v299*/, v[10:11], off
	s_wait_xcnt 0x1
	s_set_vgpr_msb 0                        ;  msbs: dst=0 src0=0 src1=0 src2=0
	v_add_nc_u64_e32 v[8:9], v[52:53], v[162:163]
	s_wait_xcnt 0x0
	;; [unrolled: 8-line block ×11, first 2 shown]
	v_add_nc_u64_e32 v[6:7], v[90:91], v[162:163]
	s_set_vgpr_msb 64                       ;  msbs: dst=1 src0=0 src1=0 src2=0
	global_load_b32 v64 /*v320*/, v[8:9], off
	global_load_b32 v65 /*v321*/, v[10:11], off
	s_wait_xcnt 0x1
	s_set_vgpr_msb 0                        ;  msbs: dst=0 src0=0 src1=0 src2=0
	v_add_nc_u64_e32 v[8:9], v[94:95], v[162:163]
	s_set_vgpr_msb 64                       ;  msbs: dst=1 src0=0 src1=0 src2=0
	global_load_b32 v66 /*v322*/, v[4:5], off
	global_load_b32 v67 /*v323*/, v[6:7], off
	s_wait_xcnt 0x2
	s_set_vgpr_msb 0                        ;  msbs: dst=0 src0=0 src1=0 src2=0
	;; [unrolled: 6-line block ×3, first 2 shown]
	v_add_nc_u64_e32 v[4:5], v[100:101], v[162:163]
	s_wait_xcnt 0x2
	v_add_nc_u64_e32 v[6:7], v[102:103], v[162:163]
	s_set_vgpr_msb 64                       ;  msbs: dst=1 src0=0 src1=0 src2=0
	global_load_b32 v70 /*v326*/, v[10:11], off
	global_load_b32 v71 /*v327*/, v[14:15], off
	;; [unrolled: 1-line block ×4, first 2 shown]
	s_wait_xcnt 0x4
	s_set_vgpr_msb 0                        ;  msbs: dst=0 src0=0 src1=0 src2=0
	v_add_nc_u64_e32 v[8:9], v[106:107], v[162:163]
	v_add_nc_u64_e32 v[12:13], v[108:109], v[162:163]
	s_wait_xcnt 0x3
	v_add_nc_u64_e32 v[10:11], v[112:113], v[162:163]
	s_wait_xcnt 0x2
	v_add_nc_u64_e32 v[14:15], v[114:115], v[162:163]
	v_add_nc_u64_e32 v[20:21], v[116:117], v[162:163]
	s_wait_xcnt 0x1
	v_add_nc_u64_e32 v[4:5], v[118:119], v[162:163]
	s_set_vgpr_msb 64                       ;  msbs: dst=1 src0=0 src1=0 src2=0
	global_load_b32 v74 /*v330*/, v[16:17], off
	global_load_b32 v75 /*v331*/, v[8:9], off
	;; [unrolled: 1-line block ×4, first 2 shown]
	s_set_vgpr_msb 0                        ;  msbs: dst=0 src0=0 src1=0 src2=0
	global_load_b32 v22, v[10:11], off
	global_load_b32 v24, v[14:15], off
	;; [unrolled: 1-line block ×4, first 2 shown]
	s_wait_xcnt 0x8
	v_add_nc_u64_e32 v[6:7], v[120:121], v[162:163]
	s_wait_xcnt 0x0
	v_add_nc_u64_e32 v[4:5], v[122:123], v[162:163]
	v_add_nc_u64_e32 v[8:9], v[124:125], v[162:163]
	;; [unrolled: 1-line block ×3, first 2 shown]
	global_load_b32 v14, v[6:7], off
	global_load_b32 v16, v[4:5], off
	;; [unrolled: 1-line block ×4, first 2 shown]
	v_add_nc_u64_e32 v[12:13], v[128:129], v[162:163]
	s_wait_xcnt 0x2
	v_add_nc_u64_e32 v[4:5], v[130:131], v[162:163]
	v_add_nc_u64_e32 v[6:7], v[132:133], v[162:163]
	s_wait_xcnt 0x1
	v_add_nc_u64_e32 v[8:9], v[134:135], v[162:163]
	s_wait_xcnt 0x0
	v_add_nc_u64_e32 v[10:11], v[136:137], v[162:163]
	global_load_b32 v18, v[12:13], off
	global_load_b32 v20, v[4:5], off
	;; [unrolled: 1-line block ×4, first 2 shown]
	s_wait_xcnt 0x2
	v_add_nc_u64_e32 v[4:5], v[138:139], v[162:163]
	s_wait_xcnt 0x1
	v_add_nc_u64_e32 v[6:7], v[140:141], v[162:163]
	;; [unrolled: 2-line block ×3, first 2 shown]
	v_add_nc_u64_e32 v[12:13], v[144:145], v[162:163]
	global_load_b32 v26, v[10:11], off
	global_load_b32 v28, v[4:5], off
	;; [unrolled: 1-line block ×4, first 2 shown]
	s_wait_xcnt 0x2
	v_add_nc_u64_e32 v[4:5], v[148:149], v[162:163]
	s_wait_xcnt 0x1
	v_add_nc_u64_e32 v[6:7], v[150:151], v[162:163]
	;; [unrolled: 2-line block ×3, first 2 shown]
	global_load_b32 v10, v[12:13], off
	global_load_b32 v30, v[4:5], off
	;; [unrolled: 1-line block ×4, first 2 shown]
	s_wait_xcnt 0x2
	v_add_nc_u64_e32 v[4:5], v[154:155], v[162:163]
	s_wait_xcnt 0x1
	v_add_nc_u64_e32 v[6:7], v[156:157], v[162:163]
	;; [unrolled: 2-line block ×3, first 2 shown]
	v_add_nc_u64_e32 v[12:13], v[160:161], v[162:163]
	global_load_b32 v32, v[4:5], off
	global_load_b32 v34, v[6:7], off
	;; [unrolled: 1-line block ×4, first 2 shown]
	s_wait_loadcnt 0x3e
	s_wait_xcnt 0x3
	ds_bpermute_b32 v4, v2, v3
	ds_bpermute_b32 v5, v2, v3 offset:4
	s_wait_xcnt 0x2
	ds_bpermute_b32 v6, v2, v3 offset:8
	ds_bpermute_b32 v7, v2, v3 offset:12
	s_wait_xcnt 0x1
	ds_bpermute_b32 v9, v2, v3 offset:16
	s_wait_xcnt 0x0
	ds_bpermute_b32 v13, v2, v3 offset:68
	s_set_vgpr_msb 5                        ;  msbs: dst=0 src0=1 src1=1 src2=0
	v_mul_f32_e32 v8, v36 /*v292*/, v37 /*v293*/
	s_set_vgpr_msb 64                       ;  msbs: dst=1 src0=0 src1=0 src2=0
	ds_bpermute_b32 v36 /*v292*/, v2, v3 offset:72
	ds_bpermute_b32 v37 /*v293*/, v2, v3 offset:76
	s_wait_loadcnt 0x3c
	s_set_vgpr_msb 5                        ;  msbs: dst=0 src0=1 src1=1 src2=0
	v_mul_f32_e32 v12, v38 /*v294*/, v39 /*v295*/
	s_wait_dscnt 0x7
	s_set_vgpr_msb 64                       ;  msbs: dst=1 src0=0 src1=0 src2=0
	v_fmac_f32_e32 v51 /*v307*/, v8, v4
	s_set_vgpr_msb 0                        ;  msbs: dst=0 src0=0 src1=0 src2=0
	ds_bpermute_b32 v4, v2, v3 offset:20
	s_wait_loadcnt 0x3a
	s_set_vgpr_msb 5                        ;  msbs: dst=0 src0=1 src1=1 src2=0
	v_mul_f32_e32 v8, v40 /*v296*/, v41 /*v297*/
	s_wait_dscnt 0x7
	s_set_vgpr_msb 64                       ;  msbs: dst=1 src0=0 src1=0 src2=0
	v_fmac_f32_e32 v51 /*v307*/, v12, v5
	s_set_vgpr_msb 0                        ;  msbs: dst=0 src0=0 src1=0 src2=0
	ds_bpermute_b32 v5, v2, v3 offset:24
	;; [unrolled: 8-line block ×12, first 2 shown]
	s_wait_loadcnt 0x24
	s_set_vgpr_msb 5                        ;  msbs: dst=0 src0=1 src1=1 src2=0
	v_mul_f32_e32 v5, v64 /*v320*/, v65 /*v321*/
	s_wait_dscnt 0x4
	s_set_vgpr_msb 64                       ;  msbs: dst=1 src0=0 src1=0 src2=0
	v_fmac_f32_e32 v51 /*v307*/, v4, v6
	s_wait_loadcnt 0x20
	s_set_vgpr_msb 5                        ;  msbs: dst=0 src0=1 src1=1 src2=0
	v_dual_mul_f32 v4, v66 /*v322*/, v67 /*v323*/ :: v_dual_mul_f32 v6, v68 /*v324*/, v69 /*v325*/
	s_wait_loadcnt 0x18
	s_set_vgpr_msb 0x45                     ;  msbs: dst=1 src0=1 src1=1 src2=0
	v_mul_f32_e32 v38 /*v294*/, v76 /*v332*/, v77 /*v333*/
	s_wait_dscnt 0x3
	s_set_vgpr_msb 64                       ;  msbs: dst=1 src0=0 src1=0 src2=0
	v_fmac_f32_e32 v51 /*v307*/, v5, v7
	s_set_vgpr_msb 0                        ;  msbs: dst=0 src0=0 src1=0 src2=0
	ds_bpermute_b32 v5, v2, v3 offset:84
	s_set_vgpr_msb 5                        ;  msbs: dst=0 src0=1 src1=1 src2=0
	v_mul_f32_e32 v7, v70 /*v326*/, v71 /*v327*/
	s_wait_dscnt 0x3
	s_set_vgpr_msb 64                       ;  msbs: dst=1 src0=0 src1=0 src2=0
	v_fmac_f32_e32 v51 /*v307*/, v4, v8
	s_set_vgpr_msb 0                        ;  msbs: dst=0 src0=0 src1=0 src2=0
	ds_bpermute_b32 v4, v2, v3 offset:80
	s_set_vgpr_msb 5                        ;  msbs: dst=0 src0=1 src1=1 src2=0
	v_mul_f32_e32 v8, v72 /*v328*/, v73 /*v329*/
	s_wait_dscnt 0x3
	s_set_vgpr_msb 64                       ;  msbs: dst=1 src0=0 src1=0 src2=0
	v_fmac_f32_e32 v51 /*v307*/, v6, v9
	s_set_vgpr_msb 0                        ;  msbs: dst=0 src0=0 src1=0 src2=0
	ds_bpermute_b32 v6, v2, v3 offset:88
	s_wait_dscnt 0x3
	s_set_vgpr_msb 64                       ;  msbs: dst=1 src0=0 src1=0 src2=0
	v_fmac_f32_e32 v51 /*v307*/, v7, v12
	s_set_vgpr_msb 0                        ;  msbs: dst=0 src0=0 src1=0 src2=0
	ds_bpermute_b32 v7, v2, v3 offset:92
	s_set_vgpr_msb 5                        ;  msbs: dst=0 src0=1 src1=1 src2=0
	v_mul_f32_e32 v12, v74 /*v330*/, v75 /*v331*/
	s_set_vgpr_msb 64                       ;  msbs: dst=1 src0=0 src1=0 src2=0
	v_fmac_f32_e32 v51 /*v307*/, v8, v13
	s_wait_loadcnt 0x14
	s_set_vgpr_msb 0                        ;  msbs: dst=0 src0=0 src1=0 src2=0
	v_pk_mul_f32 v[8:9], v[22:23], v[24:25]
	ds_bpermute_b32 v13, v2, v3 offset:100
	s_set_vgpr_msb 0x44                     ;  msbs: dst=1 src0=0 src1=1 src2=0
	v_fmac_f32_e32 v51 /*v307*/, v12, v36 /*v292*/
	s_wait_dscnt 0x3
	s_set_vgpr_msb 0                        ;  msbs: dst=0 src0=0 src1=0 src2=0
	v_pk_mul_f32 v[4:5], v[8:9], v[4:5]
	s_wait_loadcnt 0x10
	v_pk_mul_f32 v[8:9], v[14:15], v[16:17]
	ds_bpermute_b32 v12, v2, v3 offset:96
	ds_bpermute_b32 v14, v2, v3 offset:104
	s_set_vgpr_msb 0x45                     ;  msbs: dst=1 src0=1 src1=1 src2=0
	v_fmac_f32_e32 v51 /*v307*/, v38 /*v294*/, v37 /*v293*/
	s_set_vgpr_msb 0                        ;  msbs: dst=0 src0=0 src1=0 src2=0
	ds_bpermute_b32 v15, v2, v3 offset:108
	s_wait_loadcnt 0x4
	v_pk_mul_f32 v[10:11], v[10:11], v[30:31]
	s_set_vgpr_msb 1                        ;  msbs: dst=0 src0=1 src1=0 src2=0
	v_add_f32_e32 v4, v51 /*v307*/, v4
	s_wait_dscnt 0x4
	s_set_vgpr_msb 0                        ;  msbs: dst=0 src0=0 src1=0 src2=0
	v_pk_mul_f32 v[6:7], v[8:9], v[6:7]
	ds_bpermute_b32 v9, v2, v3 offset:116
	v_add_f32_e32 v8, v4, v5
	v_pk_mul_f32 v[4:5], v[18:19], v[20:21]
	s_delay_alu instid0(VALU_DEP_2)
	v_add_f32_e32 v6, v8, v6
	ds_bpermute_b32 v8, v2, v3 offset:112
	s_wait_dscnt 0x4
	v_pk_mul_f32 v[4:5], v[4:5], v[12:13]
	v_add_f32_e32 v12, v6, v7
	v_pk_mul_f32 v[6:7], v[26:27], v[28:29]
	s_wait_dscnt 0x2
	s_delay_alu instid0(VALU_DEP_1)
	v_pk_mul_f32 v[6:7], v[6:7], v[14:15]
	s_wait_dscnt 0x0
	v_pk_mul_f32 v[8:9], v[10:11], v[8:9]
	v_add_f32_e32 v12, v12, v4
	ds_bpermute_b32 v4, v2, v3 offset:120
	v_add_f32_e32 v12, v12, v5
	ds_bpermute_b32 v5, v2, v3 offset:124
	v_add_f32_e32 v3, v12, v6
	s_delay_alu instid0(VALU_DEP_1) | instskip(SKIP_2) | instid1(VALU_DEP_2)
	v_add_f32_e32 v3, v3, v7
	s_wait_loadcnt 0x0
	v_pk_mul_f32 v[6:7], v[32:33], v[34:35]
	v_add_f32_e32 v3, v3, v8
	s_delay_alu instid0(VALU_DEP_1) | instskip(SKIP_1) | instid1(VALU_DEP_3)
	v_add_f32_e32 v3, v3, v9
	s_wait_dscnt 0x0
	v_pk_mul_f32 v[4:5], v[6:7], v[4:5]
	s_delay_alu instid0(VALU_DEP_1) | instskip(SKIP_1) | instid1(VALU_DEP_1)
	v_add_f32_e32 v3, v3, v4
	s_set_vgpr_msb 64                       ;  msbs: dst=1 src0=0 src1=0 src2=0
	v_add_f32_e32 v38 /*v294*/, v3, v5
.LBB143_217:                            ;   in Loop: Header=BB143_145 Depth=1
	s_add_nc_u64 s[24:25], s[24:25], s[20:21]
	s_set_vgpr_msb 0                        ;  msbs: dst=0 src0=0 src1=0 src2=0
	v_add_nc_u64_e32 v[164:165], s[8:9], v[164:165]
	v_cmp_ge_i64_e64 s13, s[24:25], s[4:5]
	v_add_nc_u64_e32 v[166:167], s[8:9], v[166:167]
	v_add_nc_u64_e32 v[36:37], s[8:9], v[36:37]
	;; [unrolled: 1-line block ×108, first 2 shown]
	s_set_vgpr_msb 0x44                     ;  msbs: dst=1 src0=0 src1=1 src2=0
	v_add_nc_u64_e32 v[0:1] /*v[256:257]*/, s[8:9], v[0:1] /*v[256:257]*/
	v_add_nc_u64_e32 v[2:3] /*v[258:259]*/, s[8:9], v[2:3] /*v[258:259]*/
	;; [unrolled: 1-line block ×18, first 2 shown]
	s_and_b32 vcc_lo, exec_lo, s13
	s_add_nc_u64 s[10:11], s[10:11], s[20:21]
	s_set_vgpr_msb 0                        ;  msbs: dst=0 src0=0 src1=0 src2=0
	s_cbranch_vccnz .LBB143_219
; %bb.218:                              ;   in Loop: Header=BB143_145 Depth=1
	s_set_vgpr_msb 0x41                     ;  msbs: dst=1 src0=1 src1=0 src2=0
	v_mov_b32_e32 v51 /*v307*/, v38 /*v294*/
	s_set_vgpr_msb 0                        ;  msbs: dst=0 src0=0 src1=0 src2=0
	s_branch .LBB143_145
.LBB143_219:
	s_mov_b32 s13, 0
	s_delay_alu instid0(SALU_CYCLE_1)
	s_lshl_b64 s[4:5], s[12:13], 6
	s_wait_kmcnt 0x0
	s_cmp_lg_u64 s[2:3], 0
	v_and_or_b32 v2, 0x3ff, v0, s4
	v_mov_b32_e32 v3, s5
	s_cselect_b32 s4, -1, 0
	s_delay_alu instid0(VALU_DEP_1) | instskip(SKIP_1) | instid1(SALU_CYCLE_1)
	v_cmp_gt_i64_e32 vcc_lo, s[6:7], v[2:3]
	s_and_b32 s4, vcc_lo, s4
	s_and_saveexec_b32 s5, s4
	s_cbranch_execz .LBB143_221
; %bb.220:
	s_load_u16 s0, s[0:1], 0x4e
	v_bfe_u32 v0, v0, 10, 10
	v_mov_b32_e32 v1, 0
	s_wait_kmcnt 0x0
	s_delay_alu instid0(VALU_DEP_1) | instskip(NEXT) | instid1(VALU_DEP_1)
	v_mad_nc_u64_u32 v[0:1], s0, s30, v[0:1]
	v_mul_u64_e32 v[0:1], s[6:7], v[0:1]
	s_delay_alu instid0(VALU_DEP_1) | instskip(NEXT) | instid1(VALU_DEP_1)
	v_lshl_add_u64 v[0:1], v[0:1], 2, s[2:3]
	v_lshl_add_u64 v[0:1], v[2:3], 2, v[0:1]
	s_set_vgpr_msb 4                        ;  msbs: dst=0 src0=0 src1=1 src2=0
	global_store_b32 v[0:1], v38 /*v294*/, off
.LBB143_221:
	s_sendmsg sendmsg(MSG_DEALLOC_VGPRS)
	s_endpgm
	.section	.rodata,"a",@progbits
	.p2align	6, 0x0
	.amdhsa_kernel _ZN2at6native12_GLOBAL__N_135GammaBetaBackwardCUDAKernelTemplateIffLj64ELj1ELj32ELb1ELb0ELb1EEEvllPKT_S5_PKT0_S8_PS3_S9_
		.amdhsa_group_segment_fixed_size 0
		.amdhsa_private_segment_fixed_size 0
		.amdhsa_kernarg_size 320
		.amdhsa_user_sgpr_count 2
		.amdhsa_user_sgpr_dispatch_ptr 0
		.amdhsa_user_sgpr_queue_ptr 0
		.amdhsa_user_sgpr_kernarg_segment_ptr 1
		.amdhsa_user_sgpr_dispatch_id 0
		.amdhsa_user_sgpr_kernarg_preload_length 0
		.amdhsa_user_sgpr_kernarg_preload_offset 0
		.amdhsa_user_sgpr_private_segment_size 0
		.amdhsa_wavefront_size32 1
		.amdhsa_uses_dynamic_stack 0
		.amdhsa_enable_private_segment 0
		.amdhsa_system_sgpr_workgroup_id_x 1
		.amdhsa_system_sgpr_workgroup_id_y 1
		.amdhsa_system_sgpr_workgroup_id_z 0
		.amdhsa_system_sgpr_workgroup_info 0
		.amdhsa_system_vgpr_workitem_id 1
		.amdhsa_next_free_vgpr 334
		.amdhsa_next_free_sgpr 36
		.amdhsa_named_barrier_count 0
		.amdhsa_reserve_vcc 1
		.amdhsa_float_round_mode_32 0
		.amdhsa_float_round_mode_16_64 0
		.amdhsa_float_denorm_mode_32 3
		.amdhsa_float_denorm_mode_16_64 3
		.amdhsa_fp16_overflow 0
		.amdhsa_memory_ordered 1
		.amdhsa_forward_progress 1
		.amdhsa_inst_pref_size 138
		.amdhsa_round_robin_scheduling 0
		.amdhsa_exception_fp_ieee_invalid_op 0
		.amdhsa_exception_fp_denorm_src 0
		.amdhsa_exception_fp_ieee_div_zero 0
		.amdhsa_exception_fp_ieee_overflow 0
		.amdhsa_exception_fp_ieee_underflow 0
		.amdhsa_exception_fp_ieee_inexact 0
		.amdhsa_exception_int_div_zero 0
	.end_amdhsa_kernel
	.section	.text._ZN2at6native12_GLOBAL__N_135GammaBetaBackwardCUDAKernelTemplateIffLj64ELj1ELj32ELb1ELb0ELb1EEEvllPKT_S5_PKT0_S8_PS3_S9_,"axG",@progbits,_ZN2at6native12_GLOBAL__N_135GammaBetaBackwardCUDAKernelTemplateIffLj64ELj1ELj32ELb1ELb0ELb1EEEvllPKT_S5_PKT0_S8_PS3_S9_,comdat
.Lfunc_end143:
	.size	_ZN2at6native12_GLOBAL__N_135GammaBetaBackwardCUDAKernelTemplateIffLj64ELj1ELj32ELb1ELb0ELb1EEEvllPKT_S5_PKT0_S8_PS3_S9_, .Lfunc_end143-_ZN2at6native12_GLOBAL__N_135GammaBetaBackwardCUDAKernelTemplateIffLj64ELj1ELj32ELb1ELb0ELb1EEEvllPKT_S5_PKT0_S8_PS3_S9_
                                        ; -- End function
	.set _ZN2at6native12_GLOBAL__N_135GammaBetaBackwardCUDAKernelTemplateIffLj64ELj1ELj32ELb1ELb0ELb1EEEvllPKT_S5_PKT0_S8_PS3_S9_.num_vgpr, 334
	.set _ZN2at6native12_GLOBAL__N_135GammaBetaBackwardCUDAKernelTemplateIffLj64ELj1ELj32ELb1ELb0ELb1EEEvllPKT_S5_PKT0_S8_PS3_S9_.num_agpr, 0
	.set _ZN2at6native12_GLOBAL__N_135GammaBetaBackwardCUDAKernelTemplateIffLj64ELj1ELj32ELb1ELb0ELb1EEEvllPKT_S5_PKT0_S8_PS3_S9_.numbered_sgpr, 36
	.set _ZN2at6native12_GLOBAL__N_135GammaBetaBackwardCUDAKernelTemplateIffLj64ELj1ELj32ELb1ELb0ELb1EEEvllPKT_S5_PKT0_S8_PS3_S9_.num_named_barrier, 0
	.set _ZN2at6native12_GLOBAL__N_135GammaBetaBackwardCUDAKernelTemplateIffLj64ELj1ELj32ELb1ELb0ELb1EEEvllPKT_S5_PKT0_S8_PS3_S9_.private_seg_size, 0
	.set _ZN2at6native12_GLOBAL__N_135GammaBetaBackwardCUDAKernelTemplateIffLj64ELj1ELj32ELb1ELb0ELb1EEEvllPKT_S5_PKT0_S8_PS3_S9_.uses_vcc, 1
	.set _ZN2at6native12_GLOBAL__N_135GammaBetaBackwardCUDAKernelTemplateIffLj64ELj1ELj32ELb1ELb0ELb1EEEvllPKT_S5_PKT0_S8_PS3_S9_.uses_flat_scratch, 0
	.set _ZN2at6native12_GLOBAL__N_135GammaBetaBackwardCUDAKernelTemplateIffLj64ELj1ELj32ELb1ELb0ELb1EEEvllPKT_S5_PKT0_S8_PS3_S9_.has_dyn_sized_stack, 0
	.set _ZN2at6native12_GLOBAL__N_135GammaBetaBackwardCUDAKernelTemplateIffLj64ELj1ELj32ELb1ELb0ELb1EEEvllPKT_S5_PKT0_S8_PS3_S9_.has_recursion, 0
	.set _ZN2at6native12_GLOBAL__N_135GammaBetaBackwardCUDAKernelTemplateIffLj64ELj1ELj32ELb1ELb0ELb1EEEvllPKT_S5_PKT0_S8_PS3_S9_.has_indirect_call, 0
	.section	.AMDGPU.csdata,"",@progbits
; Kernel info:
; codeLenInByte = 17552
; TotalNumSgprs: 38
; NumVgprs: 334
; ScratchSize: 0
; MemoryBound: 0
; FloatMode: 240
; IeeeMode: 1
; LDSByteSize: 0 bytes/workgroup (compile time only)
; SGPRBlocks: 0
; VGPRBlocks: 20
; NumSGPRsForWavesPerEU: 38
; NumVGPRsForWavesPerEU: 334
; NamedBarCnt: 0
; Occupancy: 3
; WaveLimiterHint : 0
; COMPUTE_PGM_RSRC2:SCRATCH_EN: 0
; COMPUTE_PGM_RSRC2:USER_SGPR: 2
; COMPUTE_PGM_RSRC2:TRAP_HANDLER: 0
; COMPUTE_PGM_RSRC2:TGID_X_EN: 1
; COMPUTE_PGM_RSRC2:TGID_Y_EN: 1
; COMPUTE_PGM_RSRC2:TGID_Z_EN: 0
; COMPUTE_PGM_RSRC2:TIDIG_COMP_CNT: 1
	.section	.text._ZN2at6native12_GLOBAL__N_135GammaBetaBackwardCUDAKernelTemplateIffLj64ELj1ELj8ELb1ELb1ELb1EEEvllPKT_S5_PKT0_S8_PS3_S9_,"axG",@progbits,_ZN2at6native12_GLOBAL__N_135GammaBetaBackwardCUDAKernelTemplateIffLj64ELj1ELj8ELb1ELb1ELb1EEEvllPKT_S5_PKT0_S8_PS3_S9_,comdat
	.globl	_ZN2at6native12_GLOBAL__N_135GammaBetaBackwardCUDAKernelTemplateIffLj64ELj1ELj8ELb1ELb1ELb1EEEvllPKT_S5_PKT0_S8_PS3_S9_ ; -- Begin function _ZN2at6native12_GLOBAL__N_135GammaBetaBackwardCUDAKernelTemplateIffLj64ELj1ELj8ELb1ELb1ELb1EEEvllPKT_S5_PKT0_S8_PS3_S9_
	.p2align	8
	.type	_ZN2at6native12_GLOBAL__N_135GammaBetaBackwardCUDAKernelTemplateIffLj64ELj1ELj8ELb1ELb1ELb1EEEvllPKT_S5_PKT0_S8_PS3_S9_,@function
_ZN2at6native12_GLOBAL__N_135GammaBetaBackwardCUDAKernelTemplateIffLj64ELj1ELj8ELb1ELb1ELb1EEEvllPKT_S5_PKT0_S8_PS3_S9_: ; @_ZN2at6native12_GLOBAL__N_135GammaBetaBackwardCUDAKernelTemplateIffLj64ELj1ELj8ELb1ELb1ELb1EEEvllPKT_S5_PKT0_S8_PS3_S9_
; %bb.0:
	s_load_b128 s[4:7], s[0:1], 0x0
	s_bfe_u32 s2, ttmp6, 0x40010
	s_bfe_u32 s3, ttmp6, 0x40004
	s_add_co_i32 s2, s2, 1
	s_getreg_b32 s22, hwreg(HW_REG_IB_STS2, 6, 4)
	s_mul_i32 s2, ttmp7, s2
	s_mov_b32 s13, 0
	s_add_co_i32 s3, s3, s2
	s_cmp_eq_u32 s22, 0
	v_mov_b32_e32 v16, 0
	s_cselect_b32 s23, ttmp7, s3
	v_bfe_u32 v2, v0, 10, 10
	s_lshl_b32 s12, s23, 3
	v_and_b32_e32 v10, 0x3ff, v0
	s_wait_kmcnt 0x0
	v_cmp_le_i64_e64 s2, s[4:5], s[12:13]
	s_and_b32 vcc_lo, exec_lo, s2
	s_cbranch_vccnz .LBB144_7
; %bb.1:
	v_dual_mov_b32 v1, 0 :: v_dual_lshlrev_b32 v0, 3, v2
	s_load_b32 s2, s[0:1], 0x4c
	s_bfe_u32 s15, ttmp6, 0x4000c
	s_clause 0x2
	s_load_b32 s3, s[0:1], 0x44
	s_load_b128 s[8:11], s[0:1], 0x10
	s_load_b64 s[16:17], s[0:1], 0x28
	s_add_co_i32 s15, s15, 1
	v_add_nc_u64_e32 v[4:5], s[12:13], v[0:1]
	s_and_b32 s14, ttmp6, 15
	s_mul_i32 s15, ttmp9, s15
	v_dual_mov_b32 v11, 12 :: v_dual_mov_b32 v7, v1
	s_add_co_i32 s14, s14, s15
	s_mov_b32 s15, s13
	s_delay_alu instid0(VALU_DEP_2)
	v_mul_u64_e32 v[8:9], s[6:7], v[4:5]
	v_dual_mov_b32 v0, 8 :: v_dual_mov_b32 v3, 4
	v_dual_mov_b32 v12, 16 :: v_dual_mov_b32 v13, 20
	;; [unrolled: 1-line block ×3, first 2 shown]
	s_wait_kmcnt 0x0
	s_and_b32 s2, s2, 0xffff
	s_cmp_eq_u32 s22, 0
	v_mad_u32_u24 v6, v2, s2, v10
	s_cselect_b32 s2, ttmp9, s14
	v_mov_b32_e32 v17, v1
	v_lshl_or_b32 v16, s2, 6, v10
	s_lshl_b32 s14, s3, 3
	v_and_b32_e32 v6, 31, v6
	s_mul_u64 s[18:19], s[6:7], s[14:15]
	s_lshl_b64 s[20:21], s[6:7], 2
	v_lshlrev_b64_e32 v[16:17], 2, v[16:17]
	s_lshl_b64 s[18:19], s[18:19], 2
	v_add_nc_u64_e32 v[4:5], v[4:5], v[6:7]
	v_cmp_gt_u32_e64 s2, 8, v6
	s_delay_alu instid0(VALU_DEP_2)
	v_lshl_add_u64 v[6:7], v[4:5], 2, s[16:17]
	s_lshl_b64 s[16:17], s[14:15], 2
	v_lshl_add_u64 v[8:9], v[8:9], 2, v[16:17]
	v_mov_b32_e32 v16, 0
	s_branch .LBB144_4
.LBB144_2:                              ;   in Loop: Header=BB144_4 Depth=1
	s_wait_xcnt 0x0
	s_or_b32 exec_lo, exec_lo, s24
.LBB144_3:                              ;   in Loop: Header=BB144_4 Depth=1
	s_delay_alu instid0(SALU_CYCLE_1)
	s_or_b32 exec_lo, exec_lo, s3
	v_add_nc_u64_e32 v[18:19], s[8:9], v[8:9]
	v_add_nc_u64_e32 v[20:21], s[10:11], v[8:9]
	s_add_nc_u64 s[12:13], s[12:13], s[14:15]
	v_add_nc_u64_e32 v[6:7], s[16:17], v[6:7]
	v_cmp_lt_i64_e64 s3, s[12:13], s[4:5]
	v_add_nc_u64_e32 v[4:5], s[14:15], v[4:5]
	v_add_nc_u64_e32 v[8:9], s[18:19], v[8:9]
	;; [unrolled: 1-line block ×4, first 2 shown]
	global_load_b32 v30, v[18:19], off
	global_load_b32 v32, v[20:21], off
	;; [unrolled: 1-line block ×4, first 2 shown]
	v_add_nc_u64_e32 v[26:27], s[20:21], v[22:23]
	v_add_nc_u64_e32 v[28:29], s[20:21], v[24:25]
	s_and_b32 vcc_lo, exec_lo, s3
	s_wait_xcnt 0x3
	s_delay_alu instid0(VALU_DEP_2) | instskip(SKIP_1) | instid1(VALU_DEP_2)
	v_add_nc_u64_e32 v[18:19], s[20:21], v[26:27]
	s_wait_xcnt 0x2
	v_add_nc_u64_e32 v[20:21], s[20:21], v[28:29]
	global_load_b32 v34, v[26:27], off
	global_load_b32 v36, v[28:29], off
	;; [unrolled: 1-line block ×4, first 2 shown]
	s_wait_xcnt 0x5
	v_add_nc_u64_e32 v[22:23], s[20:21], v[18:19]
	s_wait_xcnt 0x4
	v_add_nc_u64_e32 v[24:25], s[20:21], v[20:21]
	s_wait_xcnt 0x1
	s_delay_alu instid0(VALU_DEP_2) | instskip(SKIP_1) | instid1(VALU_DEP_2)
	v_add_nc_u64_e32 v[18:19], s[20:21], v[22:23]
	s_wait_xcnt 0x0
	v_add_nc_u64_e32 v[20:21], s[20:21], v[24:25]
	global_load_b32 v22, v[22:23], off
	global_load_b32 v38, v[24:25], off
	;; [unrolled: 1-line block ×4, first 2 shown]
	v_add_nc_u64_e32 v[26:27], s[20:21], v[18:19]
	v_add_nc_u64_e32 v[28:29], s[20:21], v[20:21]
	s_wait_xcnt 0x1
	s_delay_alu instid0(VALU_DEP_2) | instskip(SKIP_1) | instid1(VALU_DEP_2)
	v_add_nc_u64_e32 v[18:19], s[20:21], v[26:27]
	s_wait_xcnt 0x0
	v_add_nc_u64_e32 v[20:21], s[20:21], v[28:29]
	global_load_b32 v24, v[26:27], off
	global_load_b32 v40, v[28:29], off
	;; [unrolled: 1-line block ×4, first 2 shown]
	s_wait_loadcnt 0x10
	s_wait_xcnt 0x1
	ds_bpermute_b32 v18, v1, v17
	ds_bpermute_b32 v19, v3, v17
	s_wait_xcnt 0x0
	ds_bpermute_b32 v20, v0, v17
	ds_bpermute_b32 v21, v11, v17
	s_wait_loadcnt 0xc
	v_pk_mul_f32 v[26:27], v[30:31], v[32:33]
	s_wait_dscnt 0x2
	s_delay_alu instid0(VALU_DEP_1)
	v_pk_mul_f32 v[18:19], v[26:27], v[18:19]
	ds_bpermute_b32 v26, v12, v17
	ds_bpermute_b32 v27, v13, v17
	v_add_f32_e32 v16, v16, v18
	s_wait_loadcnt 0x8
	v_pk_mul_f32 v[28:29], v[34:35], v[36:37]
	s_delay_alu instid0(VALU_DEP_2) | instskip(SKIP_4) | instid1(VALU_DEP_1)
	v_add_f32_e32 v30, v16, v19
	ds_bpermute_b32 v16, v14, v17
	ds_bpermute_b32 v17, v15, v17
	s_wait_dscnt 0x4
	v_pk_mul_f32 v[18:19], v[28:29], v[20:21]
	v_add_f32_e32 v18, v30, v18
	s_wait_loadcnt 0x4
	v_pk_mul_f32 v[20:21], v[22:23], v[38:39]
	s_delay_alu instid0(VALU_DEP_2) | instskip(SKIP_1) | instid1(VALU_DEP_2)
	v_add_f32_e32 v22, v18, v19
	s_wait_dscnt 0x2
	v_pk_mul_f32 v[18:19], v[20:21], v[26:27]
	s_wait_loadcnt 0x0
	v_pk_mul_f32 v[20:21], v[24:25], v[40:41]
	s_wait_dscnt 0x0
	s_delay_alu instid0(VALU_DEP_1) | instskip(SKIP_1) | instid1(VALU_DEP_1)
	v_pk_mul_f32 v[16:17], v[20:21], v[16:17]
	v_add_f32_e32 v18, v22, v18
	v_add_f32_e32 v18, v18, v19
	s_delay_alu instid0(VALU_DEP_1) | instskip(NEXT) | instid1(VALU_DEP_1)
	v_add_f32_e32 v16, v18, v16
	v_add_f32_e32 v16, v16, v17
	s_cbranch_vccz .LBB144_7
.LBB144_4:                              ; =>This Inner Loop Header: Depth=1
	v_mov_b32_e32 v17, 0
	s_and_saveexec_b32 s3, s2
	s_cbranch_execz .LBB144_3
; %bb.5:                                ;   in Loop: Header=BB144_4 Depth=1
	v_mov_b32_e32 v17, 0
	s_mov_b32 s24, exec_lo
	v_cmpx_gt_i64_e64 s[4:5], v[4:5]
	s_cbranch_execz .LBB144_2
; %bb.6:                                ;   in Loop: Header=BB144_4 Depth=1
	global_load_b32 v17, v[6:7], off
	s_branch .LBB144_2
.LBB144_7:
	s_load_b64 s[2:3], s[0:1], 0x30
	s_wait_kmcnt 0x0
	s_cmp_eq_u64 s[2:3], 0
	s_cbranch_scc1 .LBB144_9
; %bb.8:
	s_load_u16 s0, s[0:1], 0x4e
	v_mov_b32_e32 v3, 0
	s_and_b32 s4, ttmp6, 15
	s_wait_xcnt 0x0
	s_mov_b32 s1, 0
	s_wait_kmcnt 0x0
	v_mad_nc_u64_u32 v[0:1], s0, s23, v[2:3]
	s_bfe_u32 s0, ttmp6, 0x4000c
	v_lshlrev_b32_e32 v2, 2, v10
	s_add_co_i32 s0, s0, 1
	s_delay_alu instid0(SALU_CYCLE_1) | instskip(NEXT) | instid1(SALU_CYCLE_1)
	s_mul_i32 s0, ttmp9, s0
	s_add_co_i32 s4, s4, s0
	s_cmp_eq_u32 s22, 0
	s_cselect_b32 s0, ttmp9, s4
	s_delay_alu instid0(VALU_DEP_2) | instskip(SKIP_1) | instid1(VALU_DEP_1)
	v_mul_u64_e32 v[0:1], s[6:7], v[0:1]
	s_lshl_b64 s[0:1], s[0:1], 8
	v_lshl_add_u64 v[0:1], v[0:1], 2, s[2:3]
	s_delay_alu instid0(VALU_DEP_1) | instskip(NEXT) | instid1(VALU_DEP_1)
	v_add_nc_u64_e32 v[0:1], s[0:1], v[0:1]
	v_add_nc_u64_e32 v[0:1], v[0:1], v[2:3]
	global_store_b32 v[0:1], v16, off
.LBB144_9:
	s_endpgm
	.section	.rodata,"a",@progbits
	.p2align	6, 0x0
	.amdhsa_kernel _ZN2at6native12_GLOBAL__N_135GammaBetaBackwardCUDAKernelTemplateIffLj64ELj1ELj8ELb1ELb1ELb1EEEvllPKT_S5_PKT0_S8_PS3_S9_
		.amdhsa_group_segment_fixed_size 0
		.amdhsa_private_segment_fixed_size 0
		.amdhsa_kernarg_size 320
		.amdhsa_user_sgpr_count 2
		.amdhsa_user_sgpr_dispatch_ptr 0
		.amdhsa_user_sgpr_queue_ptr 0
		.amdhsa_user_sgpr_kernarg_segment_ptr 1
		.amdhsa_user_sgpr_dispatch_id 0
		.amdhsa_user_sgpr_kernarg_preload_length 0
		.amdhsa_user_sgpr_kernarg_preload_offset 0
		.amdhsa_user_sgpr_private_segment_size 0
		.amdhsa_wavefront_size32 1
		.amdhsa_uses_dynamic_stack 0
		.amdhsa_enable_private_segment 0
		.amdhsa_system_sgpr_workgroup_id_x 1
		.amdhsa_system_sgpr_workgroup_id_y 1
		.amdhsa_system_sgpr_workgroup_id_z 0
		.amdhsa_system_sgpr_workgroup_info 0
		.amdhsa_system_vgpr_workitem_id 1
		.amdhsa_next_free_vgpr 42
		.amdhsa_next_free_sgpr 25
		.amdhsa_named_barrier_count 0
		.amdhsa_reserve_vcc 1
		.amdhsa_float_round_mode_32 0
		.amdhsa_float_round_mode_16_64 0
		.amdhsa_float_denorm_mode_32 3
		.amdhsa_float_denorm_mode_16_64 3
		.amdhsa_fp16_overflow 0
		.amdhsa_memory_ordered 1
		.amdhsa_forward_progress 1
		.amdhsa_inst_pref_size 9
		.amdhsa_round_robin_scheduling 0
		.amdhsa_exception_fp_ieee_invalid_op 0
		.amdhsa_exception_fp_denorm_src 0
		.amdhsa_exception_fp_ieee_div_zero 0
		.amdhsa_exception_fp_ieee_overflow 0
		.amdhsa_exception_fp_ieee_underflow 0
		.amdhsa_exception_fp_ieee_inexact 0
		.amdhsa_exception_int_div_zero 0
	.end_amdhsa_kernel
	.section	.text._ZN2at6native12_GLOBAL__N_135GammaBetaBackwardCUDAKernelTemplateIffLj64ELj1ELj8ELb1ELb1ELb1EEEvllPKT_S5_PKT0_S8_PS3_S9_,"axG",@progbits,_ZN2at6native12_GLOBAL__N_135GammaBetaBackwardCUDAKernelTemplateIffLj64ELj1ELj8ELb1ELb1ELb1EEEvllPKT_S5_PKT0_S8_PS3_S9_,comdat
.Lfunc_end144:
	.size	_ZN2at6native12_GLOBAL__N_135GammaBetaBackwardCUDAKernelTemplateIffLj64ELj1ELj8ELb1ELb1ELb1EEEvllPKT_S5_PKT0_S8_PS3_S9_, .Lfunc_end144-_ZN2at6native12_GLOBAL__N_135GammaBetaBackwardCUDAKernelTemplateIffLj64ELj1ELj8ELb1ELb1ELb1EEEvllPKT_S5_PKT0_S8_PS3_S9_
                                        ; -- End function
	.set _ZN2at6native12_GLOBAL__N_135GammaBetaBackwardCUDAKernelTemplateIffLj64ELj1ELj8ELb1ELb1ELb1EEEvllPKT_S5_PKT0_S8_PS3_S9_.num_vgpr, 42
	.set _ZN2at6native12_GLOBAL__N_135GammaBetaBackwardCUDAKernelTemplateIffLj64ELj1ELj8ELb1ELb1ELb1EEEvllPKT_S5_PKT0_S8_PS3_S9_.num_agpr, 0
	.set _ZN2at6native12_GLOBAL__N_135GammaBetaBackwardCUDAKernelTemplateIffLj64ELj1ELj8ELb1ELb1ELb1EEEvllPKT_S5_PKT0_S8_PS3_S9_.numbered_sgpr, 25
	.set _ZN2at6native12_GLOBAL__N_135GammaBetaBackwardCUDAKernelTemplateIffLj64ELj1ELj8ELb1ELb1ELb1EEEvllPKT_S5_PKT0_S8_PS3_S9_.num_named_barrier, 0
	.set _ZN2at6native12_GLOBAL__N_135GammaBetaBackwardCUDAKernelTemplateIffLj64ELj1ELj8ELb1ELb1ELb1EEEvllPKT_S5_PKT0_S8_PS3_S9_.private_seg_size, 0
	.set _ZN2at6native12_GLOBAL__N_135GammaBetaBackwardCUDAKernelTemplateIffLj64ELj1ELj8ELb1ELb1ELb1EEEvllPKT_S5_PKT0_S8_PS3_S9_.uses_vcc, 1
	.set _ZN2at6native12_GLOBAL__N_135GammaBetaBackwardCUDAKernelTemplateIffLj64ELj1ELj8ELb1ELb1ELb1EEEvllPKT_S5_PKT0_S8_PS3_S9_.uses_flat_scratch, 0
	.set _ZN2at6native12_GLOBAL__N_135GammaBetaBackwardCUDAKernelTemplateIffLj64ELj1ELj8ELb1ELb1ELb1EEEvllPKT_S5_PKT0_S8_PS3_S9_.has_dyn_sized_stack, 0
	.set _ZN2at6native12_GLOBAL__N_135GammaBetaBackwardCUDAKernelTemplateIffLj64ELj1ELj8ELb1ELb1ELb1EEEvllPKT_S5_PKT0_S8_PS3_S9_.has_recursion, 0
	.set _ZN2at6native12_GLOBAL__N_135GammaBetaBackwardCUDAKernelTemplateIffLj64ELj1ELj8ELb1ELb1ELb1EEEvllPKT_S5_PKT0_S8_PS3_S9_.has_indirect_call, 0
	.section	.AMDGPU.csdata,"",@progbits
; Kernel info:
; codeLenInByte = 1084
; TotalNumSgprs: 27
; NumVgprs: 42
; ScratchSize: 0
; MemoryBound: 0
; FloatMode: 240
; IeeeMode: 1
; LDSByteSize: 0 bytes/workgroup (compile time only)
; SGPRBlocks: 0
; VGPRBlocks: 2
; NumSGPRsForWavesPerEU: 27
; NumVGPRsForWavesPerEU: 42
; NamedBarCnt: 0
; Occupancy: 16
; WaveLimiterHint : 0
; COMPUTE_PGM_RSRC2:SCRATCH_EN: 0
; COMPUTE_PGM_RSRC2:USER_SGPR: 2
; COMPUTE_PGM_RSRC2:TRAP_HANDLER: 0
; COMPUTE_PGM_RSRC2:TGID_X_EN: 1
; COMPUTE_PGM_RSRC2:TGID_Y_EN: 1
; COMPUTE_PGM_RSRC2:TGID_Z_EN: 0
; COMPUTE_PGM_RSRC2:TIDIG_COMP_CNT: 1
	.section	.text._ZN2at6native12_GLOBAL__N_135GammaBetaBackwardCUDAKernelTemplateIffLj64ELj1ELj8ELb1ELb0ELb1EEEvllPKT_S5_PKT0_S8_PS3_S9_,"axG",@progbits,_ZN2at6native12_GLOBAL__N_135GammaBetaBackwardCUDAKernelTemplateIffLj64ELj1ELj8ELb1ELb0ELb1EEEvllPKT_S5_PKT0_S8_PS3_S9_,comdat
	.globl	_ZN2at6native12_GLOBAL__N_135GammaBetaBackwardCUDAKernelTemplateIffLj64ELj1ELj8ELb1ELb0ELb1EEEvllPKT_S5_PKT0_S8_PS3_S9_ ; -- Begin function _ZN2at6native12_GLOBAL__N_135GammaBetaBackwardCUDAKernelTemplateIffLj64ELj1ELj8ELb1ELb0ELb1EEEvllPKT_S5_PKT0_S8_PS3_S9_
	.p2align	8
	.type	_ZN2at6native12_GLOBAL__N_135GammaBetaBackwardCUDAKernelTemplateIffLj64ELj1ELj8ELb1ELb0ELb1EEEvllPKT_S5_PKT0_S8_PS3_S9_,@function
_ZN2at6native12_GLOBAL__N_135GammaBetaBackwardCUDAKernelTemplateIffLj64ELj1ELj8ELb1ELb0ELb1EEEvllPKT_S5_PKT0_S8_PS3_S9_: ; @_ZN2at6native12_GLOBAL__N_135GammaBetaBackwardCUDAKernelTemplateIffLj64ELj1ELj8ELb1ELb0ELb1EEEvllPKT_S5_PKT0_S8_PS3_S9_
; %bb.0:
	s_load_b256 s[4:11], s[0:1], 0x0
	s_bfe_u32 s3, ttmp6, 0x4000c
	s_bfe_u32 s12, ttmp6, 0x40010
	s_add_co_i32 s3, s3, 1
	s_add_co_i32 s12, s12, 1
	s_and_b32 s2, ttmp6, 15
	s_bfe_u32 s13, ttmp6, 0x40004
	s_mul_i32 s3, ttmp9, s3
	s_mul_i32 s12, ttmp7, s12
	s_getreg_b32 s14, hwreg(HW_REG_IB_STS2, 6, 4)
	s_add_co_i32 s2, s2, s3
	s_add_co_i32 s13, s13, s12
	s_cmp_eq_u32 s14, 0
	s_mov_b32 s17, 0
	s_cselect_b32 s12, ttmp9, s2
	s_cselect_b32 s30, ttmp7, s13
	s_lshl_b32 s13, s12, 6
	s_load_b64 s[14:15], s[0:1], 0x28
	s_or_b32 s16, s13, 63
	s_wait_kmcnt 0x0
	v_cmp_le_i64_e64 s2, s[6:7], s[16:17]
	s_lshl_b32 s16, s30, 3
	s_delay_alu instid0(SALU_CYCLE_1) | instskip(SKIP_2) | instid1(VALU_DEP_1)
	v_cmp_gt_i64_e64 s31, s[4:5], s[16:17]
	s_and_b32 vcc_lo, exec_lo, s2
	v_cndmask_b32_e64 v1, 0, 1, s31
	v_cmp_ne_u32_e64 s2, 1, v1
	s_cbranch_vccz .LBB145_49
; %bb.1:
	v_mov_b32_e32 v4, 0
	s_and_b32 vcc_lo, exec_lo, s2
	s_cbranch_vccnz .LBB145_50
; %bb.2:
	v_bfe_u32 v1, v0, 10, 10
	v_mov_b32_e32 v2, 0
	v_and_b32_e32 v64, 0x3ff, v0
	s_load_b32 s3, s[0:1], 0x44
	s_mov_b32 s19, 0
	s_delay_alu instid0(VALU_DEP_2) | instskip(NEXT) | instid1(VALU_DEP_2)
	v_dual_mov_b32 v27, v2 :: v_dual_lshlrev_b32 v26, 3, v1
	v_dual_mov_b32 v19, v2 :: v_dual_add_nc_u32 v18, s13, v64
	v_mov_b32_e32 v65, 0
	s_mov_b32 s23, s19
	s_delay_alu instid0(VALU_DEP_3)
	v_add_nc_u64_e32 v[4:5], s[16:17], v[26:27]
	s_add_nc_u64 s[20:21], s[0:1], 64
	v_cmp_gt_i64_e64 s2, s[6:7], v[18:19]
	v_lshlrev_b64_e32 v[28:29], 2, v[18:19]
	s_mov_b64 s[26:27], 7
	s_mov_b64 s[28:29], s[16:17]
	v_mul_u64_e32 v[6:7], s[6:7], v[4:5]
	v_add_nc_u64_e32 v[8:9], 7, v[4:5]
	v_add_nc_u64_e32 v[10:11], 6, v[4:5]
	;; [unrolled: 1-line block ×6, first 2 shown]
	s_wait_kmcnt 0x0
	s_lshl_b32 s22, s3, 3
	v_mul_u64_e32 v[8:9], s[6:7], v[8:9]
	v_mul_u64_e32 v[10:11], s[6:7], v[10:11]
	;; [unrolled: 1-line block ×6, first 2 shown]
	s_mul_u64 s[24:25], s[6:7], s[22:23]
	s_delay_alu instid0(SALU_CYCLE_1) | instskip(SKIP_2) | instid1(VALU_DEP_2)
	s_lshl_b64 s[24:25], s[24:25], 2
	v_lshlrev_b64_e32 v[20:21], 2, v[6:7]
	v_add_nc_u64_e32 v[6:7], s[6:7], v[6:7]
	v_add_nc_u64_e32 v[30:31], s[8:9], v[20:21]
	v_lshlrev_b64_e32 v[8:9], 2, v[8:9]
	v_lshlrev_b64_e32 v[10:11], 2, v[10:11]
	;; [unrolled: 1-line block ×7, first 2 shown]
	v_add_nc_u64_e32 v[32:33], s[10:11], v[20:21]
	v_add_nc_u64_e32 v[34:35], s[8:9], v[8:9]
	;; [unrolled: 1-line block ×15, first 2 shown]
.LBB145_3:                              ; =>This Inner Loop Header: Depth=1
	s_add_nc_u64 s[34:35], s[16:17], s[26:27]
	v_add_nc_u64_e32 v[62:63], s[16:17], v[26:27]
	v_cmp_ge_i64_e64 s3, s[34:35], s[4:5]
                                        ; implicit-def: $vgpr4
                                        ; implicit-def: $vgpr10_vgpr11_vgpr12_vgpr13_vgpr14_vgpr15_vgpr16_vgpr17
                                        ; implicit-def: $vgpr18_vgpr19_vgpr20_vgpr21_vgpr22_vgpr23_vgpr24_vgpr25
                                        ; implicit-def: $vgpr3
	s_and_b32 vcc_lo, exec_lo, s3
	s_mov_b32 s3, -1
	s_cbranch_vccz .LBB145_25
; %bb.4:                                ;   in Loop: Header=BB145_3 Depth=1
	s_load_b32 s3, s[20:21], 0xc
	v_mov_b32_e32 v66, 0
	s_wait_kmcnt 0x0
	s_and_b32 s3, s3, 0xffff
	s_delay_alu instid0(SALU_CYCLE_1) | instskip(SKIP_1) | instid1(VALU_DEP_1)
	v_mad_u32_u24 v3, v1, s3, v64
	s_mov_b32 s3, exec_lo
	v_and_b32_e32 v4, 31, v3
	s_delay_alu instid0(VALU_DEP_1)
	v_cmpx_gt_u32_e32 8, v4
	s_cbranch_execz .LBB145_8
; %bb.5:                                ;   in Loop: Header=BB145_3 Depth=1
	v_dual_mov_b32 v5, v2 :: v_dual_mov_b32 v66, 0
	s_mov_b32 s18, exec_lo
	s_delay_alu instid0(VALU_DEP_1) | instskip(NEXT) | instid1(VALU_DEP_1)
	v_add_nc_u64_e32 v[4:5], v[62:63], v[4:5]
	v_cmpx_gt_i64_e64 s[4:5], v[4:5]
	s_cbranch_execz .LBB145_7
; %bb.6:                                ;   in Loop: Header=BB145_3 Depth=1
	v_lshl_add_u64 v[4:5], v[4:5], 2, s[14:15]
	global_load_b32 v66, v[4:5], off
.LBB145_7:                              ;   in Loop: Header=BB145_3 Depth=1
	s_wait_xcnt 0x0
	s_or_b32 exec_lo, exec_lo, s18
.LBB145_8:                              ;   in Loop: Header=BB145_3 Depth=1
	s_delay_alu instid0(SALU_CYCLE_1)
	s_or_b32 exec_lo, exec_lo, s3
	v_dual_mov_b32 v7, v2 :: v_dual_mov_b32 v8, v2
	v_dual_mov_b32 v9, v2 :: v_dual_mov_b32 v3, v2
	;; [unrolled: 1-line block ×3, first 2 shown]
	v_mov_b32_e32 v6, v2
	v_cmp_gt_i64_e32 vcc_lo, s[4:5], v[62:63]
	s_delay_alu instid0(VALU_DEP_4)
	v_mov_b64_e32 v[16:17], v[8:9]
	v_mov_b64_e32 v[24:25], v[8:9]
	;; [unrolled: 1-line block ×8, first 2 shown]
	s_and_b32 s18, s2, vcc_lo
	s_delay_alu instid0(SALU_CYCLE_1)
	s_and_saveexec_b32 s3, s18
	s_cbranch_execz .LBB145_10
; %bb.9:                                ;   in Loop: Header=BB145_3 Depth=1
	v_add_nc_u64_e32 v[4:5], v[30:31], v[28:29]
	v_add_nc_u64_e32 v[6:7], v[32:33], v[28:29]
	v_dual_mov_b32 v19, v2 :: v_dual_mov_b32 v20, v2
	v_dual_mov_b32 v21, v2 :: v_dual_mov_b32 v22, v2
	;; [unrolled: 1-line block ×3, first 2 shown]
	global_load_b32 v18, v[4:5], off
	global_load_b32 v10, v[6:7], off
	v_dual_mov_b32 v25, v2 :: v_dual_mov_b32 v11, v2
	v_dual_mov_b32 v12, v2 :: v_dual_mov_b32 v13, v2
	;; [unrolled: 1-line block ×4, first 2 shown]
.LBB145_10:                             ;   in Loop: Header=BB145_3 Depth=1
	s_wait_xcnt 0x0
	s_or_b32 exec_lo, exec_lo, s3
	v_add_nc_u64_e32 v[4:5], 1, v[62:63]
	s_delay_alu instid0(VALU_DEP_1) | instskip(SKIP_1) | instid1(SALU_CYCLE_1)
	v_cmp_gt_i64_e32 vcc_lo, s[4:5], v[4:5]
	s_and_b32 s18, s2, vcc_lo
	s_and_saveexec_b32 s3, s18
	s_cbranch_execz .LBB145_12
; %bb.11:                               ;   in Loop: Header=BB145_3 Depth=1
	v_add_nc_u64_e32 v[4:5], v[58:59], v[28:29]
	v_add_nc_u64_e32 v[6:7], v[60:61], v[28:29]
	global_load_b32 v19, v[4:5], off
	global_load_b32 v11, v[6:7], off
.LBB145_12:                             ;   in Loop: Header=BB145_3 Depth=1
	s_wait_xcnt 0x0
	s_or_b32 exec_lo, exec_lo, s3
	v_add_nc_u64_e32 v[4:5], 2, v[62:63]
	s_delay_alu instid0(VALU_DEP_1) | instskip(SKIP_1) | instid1(SALU_CYCLE_1)
	v_cmp_gt_i64_e32 vcc_lo, s[4:5], v[4:5]
	s_and_b32 s18, s2, vcc_lo
	s_and_saveexec_b32 s3, s18
	s_cbranch_execz .LBB145_14
; %bb.13:                               ;   in Loop: Header=BB145_3 Depth=1
	v_add_nc_u64_e32 v[4:5], v[54:55], v[28:29]
	v_add_nc_u64_e32 v[6:7], v[56:57], v[28:29]
	global_load_b32 v20, v[4:5], off
	global_load_b32 v12, v[6:7], off
.LBB145_14:                             ;   in Loop: Header=BB145_3 Depth=1
	;; [unrolled: 14-line block ×7, first 2 shown]
	s_wait_xcnt 0x0
	s_or_b32 exec_lo, exec_lo, s3
	s_wait_loadcnt 0x0
	ds_bpermute_b32 v3, v2, v66
	ds_bpermute_b32 v4, v2, v66 offset:4
	ds_bpermute_b32 v5, v2, v66 offset:8
	;; [unrolled: 1-line block ×4, first 2 shown]
	v_pk_mul_f32 v[8:9], v[12:13], v[20:21]
	v_dual_mul_f32 v18, v10, v18 :: v_dual_mul_f32 v10, v11, v19
	v_pk_mul_f32 v[12:13], v[14:15], v[22:23]
	ds_bpermute_b32 v14, v2, v66 offset:20
	v_mov_b32_e32 v11, v8
	ds_bpermute_b32 v15, v2, v66 offset:24
	v_dual_mov_b32 v8, v9 :: v_dual_mov_b32 v9, v12
	s_mov_b32 s3, 0
	s_wait_dscnt 0x6
	v_fma_f32 v3, v18, v3, v65
	s_wait_dscnt 0x4
	v_pk_mul_f32 v[4:5], v[10:11], v[4:5]
	s_wait_dscnt 0x2
	v_pk_mul_f32 v[6:7], v[8:9], v[6:7]
	s_delay_alu instid0(VALU_DEP_2) | instskip(NEXT) | instid1(VALU_DEP_1)
	v_add_f32_e32 v3, v3, v4
	v_dual_add_f32 v4, v3, v5 :: v_dual_mul_f32 v5, v16, v24
	ds_bpermute_b32 v3, v2, v66 offset:28
	v_dual_add_f32 v6, v4, v6 :: v_dual_mov_b32 v4, v13
	s_delay_alu instid0(VALU_DEP_1) | instskip(SKIP_1) | instid1(VALU_DEP_2)
	v_add_f32_e32 v6, v6, v7
	s_wait_dscnt 0x1
	v_pk_mul_f32 v[4:5], v[4:5], v[14:15]
	s_delay_alu instid0(VALU_DEP_1) | instskip(NEXT) | instid1(VALU_DEP_1)
	v_add_f32_e32 v4, v6, v4
	v_add_f32_e32 v4, v4, v5
.LBB145_25:                             ;   in Loop: Header=BB145_3 Depth=1
	s_and_b32 vcc_lo, exec_lo, s3
	s_cbranch_vccz .LBB145_40
; %bb.26:                               ;   in Loop: Header=BB145_3 Depth=1
	s_load_b32 s3, s[20:21], 0x0
	v_mov_b32_e32 v66, 0
	s_wait_kmcnt 0x0
	s_cmp_lt_u32 s12, s3
	s_cselect_b32 s18, 12, 18
	s_delay_alu instid0(SALU_CYCLE_1)
	s_add_nc_u64 s[34:35], s[20:21], s[18:19]
	s_load_u16 s3, s[34:35], 0x0
	s_wait_dscnt 0x0
	s_wait_kmcnt 0x0
	v_mad_u32_u24 v3, v1, s3, v64
	s_mov_b32 s3, exec_lo
	s_delay_alu instid0(VALU_DEP_1) | instskip(NEXT) | instid1(VALU_DEP_1)
	v_and_b32_e32 v4, 31, v3
	v_cmpx_gt_u32_e32 8, v4
	s_cbranch_execz .LBB145_30
; %bb.27:                               ;   in Loop: Header=BB145_3 Depth=1
	v_dual_mov_b32 v5, v2 :: v_dual_mov_b32 v66, 0
	s_mov_b32 s18, exec_lo
	s_delay_alu instid0(VALU_DEP_1) | instskip(NEXT) | instid1(VALU_DEP_1)
	v_add_nc_u64_e32 v[4:5], v[62:63], v[4:5]
	v_cmpx_gt_i64_e64 s[4:5], v[4:5]
	s_cbranch_execz .LBB145_29
; %bb.28:                               ;   in Loop: Header=BB145_3 Depth=1
	v_lshl_add_u64 v[4:5], v[4:5], 2, s[14:15]
	global_load_b32 v66, v[4:5], off
.LBB145_29:                             ;   in Loop: Header=BB145_3 Depth=1
	s_wait_xcnt 0x0
	s_or_b32 exec_lo, exec_lo, s18
.LBB145_30:                             ;   in Loop: Header=BB145_3 Depth=1
	s_delay_alu instid0(SALU_CYCLE_1) | instskip(SKIP_4) | instid1(VALU_DEP_3)
	s_or_b32 exec_lo, exec_lo, s3
	v_dual_mov_b32 v7, v2 :: v_dual_mov_b32 v8, v2
	v_dual_mov_b32 v9, v2 :: v_dual_mov_b32 v3, v2
	;; [unrolled: 1-line block ×3, first 2 shown]
	v_mov_b32_e32 v6, v2
	v_mov_b64_e32 v[16:17], v[8:9]
	v_mov_b64_e32 v[24:25], v[8:9]
	;; [unrolled: 1-line block ×8, first 2 shown]
	s_and_saveexec_b32 s3, s2
	s_cbranch_execnz .LBB145_42
; %bb.31:                               ;   in Loop: Header=BB145_3 Depth=1
	s_or_b32 exec_lo, exec_lo, s3
	s_and_saveexec_b32 s3, s2
	s_cbranch_execnz .LBB145_43
.LBB145_32:                             ;   in Loop: Header=BB145_3 Depth=1
	s_or_b32 exec_lo, exec_lo, s3
	s_and_saveexec_b32 s3, s2
	s_cbranch_execnz .LBB145_44
.LBB145_33:                             ;   in Loop: Header=BB145_3 Depth=1
	s_or_b32 exec_lo, exec_lo, s3
	s_and_saveexec_b32 s3, s2
	s_cbranch_execnz .LBB145_45
.LBB145_34:                             ;   in Loop: Header=BB145_3 Depth=1
	s_or_b32 exec_lo, exec_lo, s3
	s_and_saveexec_b32 s3, s2
	s_cbranch_execnz .LBB145_46
.LBB145_35:                             ;   in Loop: Header=BB145_3 Depth=1
	s_or_b32 exec_lo, exec_lo, s3
	s_and_saveexec_b32 s3, s2
	s_cbranch_execnz .LBB145_47
.LBB145_36:                             ;   in Loop: Header=BB145_3 Depth=1
	s_or_b32 exec_lo, exec_lo, s3
	s_and_saveexec_b32 s3, s2
	s_cbranch_execnz .LBB145_48
.LBB145_37:                             ;   in Loop: Header=BB145_3 Depth=1
	s_or_b32 exec_lo, exec_lo, s3
	s_and_saveexec_b32 s3, s2
	s_cbranch_execz .LBB145_39
.LBB145_38:                             ;   in Loop: Header=BB145_3 Depth=1
	v_add_nc_u64_e32 v[4:5], v[34:35], v[28:29]
	v_add_nc_u64_e32 v[6:7], v[36:37], v[28:29]
	global_load_b32 v25, v[4:5], off
	global_load_b32 v17, v[6:7], off
.LBB145_39:                             ;   in Loop: Header=BB145_3 Depth=1
	s_wait_xcnt 0x0
	s_or_b32 exec_lo, exec_lo, s3
	s_wait_loadcnt 0x0
	ds_bpermute_b32 v3, v2, v66
	ds_bpermute_b32 v4, v2, v66 offset:4
	ds_bpermute_b32 v5, v2, v66 offset:8
	;; [unrolled: 1-line block ×4, first 2 shown]
	v_pk_mul_f32 v[8:9], v[12:13], v[20:21]
	v_dual_mul_f32 v18, v10, v18 :: v_dual_mul_f32 v10, v11, v19
	v_pk_mul_f32 v[12:13], v[14:15], v[22:23]
	ds_bpermute_b32 v14, v2, v66 offset:20
	v_mov_b32_e32 v11, v8
	ds_bpermute_b32 v15, v2, v66 offset:24
	v_dual_mov_b32 v8, v9 :: v_dual_mov_b32 v9, v12
	s_wait_dscnt 0x6
	v_fmac_f32_e32 v65, v18, v3
	s_wait_dscnt 0x4
	v_pk_mul_f32 v[4:5], v[10:11], v[4:5]
	s_wait_dscnt 0x2
	v_pk_mul_f32 v[6:7], v[8:9], v[6:7]
	s_delay_alu instid0(VALU_DEP_2) | instskip(NEXT) | instid1(VALU_DEP_1)
	v_add_f32_e32 v3, v65, v4
	v_dual_add_f32 v4, v3, v5 :: v_dual_mul_f32 v5, v16, v24
	ds_bpermute_b32 v3, v2, v66 offset:28
	v_dual_add_f32 v6, v4, v6 :: v_dual_mov_b32 v4, v13
	s_delay_alu instid0(VALU_DEP_1) | instskip(SKIP_1) | instid1(VALU_DEP_2)
	v_add_f32_e32 v6, v6, v7
	s_wait_dscnt 0x1
	v_pk_mul_f32 v[4:5], v[4:5], v[14:15]
	s_delay_alu instid0(VALU_DEP_1) | instskip(NEXT) | instid1(VALU_DEP_1)
	v_add_f32_e32 v4, v6, v4
	v_add_f32_e32 v4, v4, v5
.LBB145_40:                             ;   in Loop: Header=BB145_3 Depth=1
	s_add_nc_u64 s[28:29], s[28:29], s[22:23]
	v_mul_f32_e32 v5, v25, v17
	v_cmp_lt_i64_e64 s3, s[28:29], s[4:5]
	v_add_nc_u64_e32 v[30:31], s[24:25], v[30:31]
	v_add_nc_u64_e32 v[32:33], s[24:25], v[32:33]
	;; [unrolled: 1-line block ×17, first 2 shown]
	s_wait_dscnt 0x0
	v_fmac_f32_e32 v4, v5, v3
	s_and_b32 vcc_lo, exec_lo, s3
	s_add_nc_u64 s[26:27], s[26:27], s[22:23]
	s_cbranch_vccz .LBB145_50
; %bb.41:                               ;   in Loop: Header=BB145_3 Depth=1
	s_delay_alu instid0(VALU_DEP_1)
	v_mov_b32_e32 v65, v4
	s_branch .LBB145_3
.LBB145_42:                             ;   in Loop: Header=BB145_3 Depth=1
	v_add_nc_u64_e32 v[4:5], v[30:31], v[28:29]
	v_add_nc_u64_e32 v[6:7], v[32:33], v[28:29]
	v_dual_mov_b32 v19, v2 :: v_dual_mov_b32 v20, v2
	v_dual_mov_b32 v21, v2 :: v_dual_mov_b32 v22, v2
	;; [unrolled: 1-line block ×3, first 2 shown]
	global_load_b32 v18, v[4:5], off
	global_load_b32 v10, v[6:7], off
	v_dual_mov_b32 v25, v2 :: v_dual_mov_b32 v11, v2
	v_dual_mov_b32 v12, v2 :: v_dual_mov_b32 v13, v2
	v_dual_mov_b32 v14, v2 :: v_dual_mov_b32 v15, v2
	v_dual_mov_b32 v16, v2 :: v_dual_mov_b32 v17, v2
	s_wait_xcnt 0x0
	s_or_b32 exec_lo, exec_lo, s3
	s_and_saveexec_b32 s3, s2
	s_cbranch_execz .LBB145_32
.LBB145_43:                             ;   in Loop: Header=BB145_3 Depth=1
	v_add_nc_u64_e32 v[4:5], v[58:59], v[28:29]
	v_add_nc_u64_e32 v[6:7], v[60:61], v[28:29]
	global_load_b32 v19, v[4:5], off
	global_load_b32 v11, v[6:7], off
	s_wait_xcnt 0x0
	s_or_b32 exec_lo, exec_lo, s3
	s_and_saveexec_b32 s3, s2
	s_cbranch_execz .LBB145_33
.LBB145_44:                             ;   in Loop: Header=BB145_3 Depth=1
	v_add_nc_u64_e32 v[4:5], v[54:55], v[28:29]
	v_add_nc_u64_e32 v[6:7], v[56:57], v[28:29]
	global_load_b32 v20, v[4:5], off
	global_load_b32 v12, v[6:7], off
	s_wait_xcnt 0x0
	s_or_b32 exec_lo, exec_lo, s3
	s_and_saveexec_b32 s3, s2
	s_cbranch_execz .LBB145_34
.LBB145_45:                             ;   in Loop: Header=BB145_3 Depth=1
	v_add_nc_u64_e32 v[4:5], v[50:51], v[28:29]
	v_add_nc_u64_e32 v[6:7], v[52:53], v[28:29]
	global_load_b32 v21, v[4:5], off
	global_load_b32 v13, v[6:7], off
	s_wait_xcnt 0x0
	s_or_b32 exec_lo, exec_lo, s3
	s_and_saveexec_b32 s3, s2
	s_cbranch_execz .LBB145_35
.LBB145_46:                             ;   in Loop: Header=BB145_3 Depth=1
	v_add_nc_u64_e32 v[4:5], v[46:47], v[28:29]
	v_add_nc_u64_e32 v[6:7], v[48:49], v[28:29]
	global_load_b32 v22, v[4:5], off
	global_load_b32 v14, v[6:7], off
	s_wait_xcnt 0x0
	s_or_b32 exec_lo, exec_lo, s3
	s_and_saveexec_b32 s3, s2
	s_cbranch_execz .LBB145_36
.LBB145_47:                             ;   in Loop: Header=BB145_3 Depth=1
	v_add_nc_u64_e32 v[4:5], v[42:43], v[28:29]
	v_add_nc_u64_e32 v[6:7], v[44:45], v[28:29]
	global_load_b32 v23, v[4:5], off
	global_load_b32 v15, v[6:7], off
	s_wait_xcnt 0x0
	s_or_b32 exec_lo, exec_lo, s3
	s_and_saveexec_b32 s3, s2
	s_cbranch_execz .LBB145_37
.LBB145_48:                             ;   in Loop: Header=BB145_3 Depth=1
	v_add_nc_u64_e32 v[4:5], v[38:39], v[28:29]
	v_add_nc_u64_e32 v[6:7], v[40:41], v[28:29]
	global_load_b32 v24, v[4:5], off
	global_load_b32 v16, v[6:7], off
	s_wait_xcnt 0x0
	s_or_b32 exec_lo, exec_lo, s3
	s_and_saveexec_b32 s3, s2
	s_cbranch_execnz .LBB145_38
	s_branch .LBB145_39
.LBB145_49:
                                        ; implicit-def: $vgpr4
	s_load_b64 s[2:3], s[0:1], 0x30
	s_branch .LBB145_51
.LBB145_50:
	s_load_b64 s[2:3], s[0:1], 0x30
	s_cbranch_execnz .LBB145_83
.LBB145_51:
	v_mov_b32_e32 v4, 0
	s_and_not1_b32 vcc_lo, exec_lo, s31
	s_cbranch_vccnz .LBB145_83
; %bb.52:
	v_bfe_u32 v1, v0, 10, 10
	v_mov_b32_e32 v2, 0
	v_and_b32_e32 v92, 0x3ff, v0
	s_load_b32 s18, s[0:1], 0x44
	s_mov_b32 s19, 0
	s_delay_alu instid0(VALU_DEP_2) | instskip(SKIP_3) | instid1(VALU_DEP_2)
	v_dual_mov_b32 v5, v2 :: v_dual_lshlrev_b32 v4, 5, v1
	v_dual_mov_b32 v27, v2 :: v_dual_lshlrev_b32 v26, 3, v1
	s_mov_b32 s21, s19
	s_add_nc_u64 s[22:23], s[0:1], 64
	v_lshl_add_u64 v[4:5], s[16:17], 2, v[4:5]
	s_mov_b64 s[24:25], s[16:17]
	v_add_nc_u64_e32 v[8:9], s[16:17], v[26:27]
	v_mov_b32_e32 v93, 0
	s_delay_alu instid0(VALU_DEP_3)
	v_add_nc_u64_e32 v[6:7], 4, v[4:5]
	v_add_nc_u64_e32 v[10:11], 8, v[4:5]
	;; [unrolled: 1-line block ×5, first 2 shown]
	v_mul_u64_e32 v[20:21], s[6:7], v[8:9]
	v_add_nc_u64_e32 v[18:19], 24, v[4:5]
	v_mad_nc_u64_u32 v[28:29], s6, v6, s[8:9]
	v_mul_lo_u32 v3, s6, v7
	v_mul_lo_u32 v22, s7, v6
	v_mad_nc_u64_u32 v[38:39], s6, v6, s[10:11]
	v_add_nc_u64_e32 v[6:7], 7, v[8:9]
	v_mad_nc_u64_u32 v[30:31], s6, v10, s[8:9]
	v_mul_lo_u32 v24, s6, v11
	v_mul_lo_u32 v25, s7, v10
	v_mad_nc_u64_u32 v[32:33], s6, v12, s[8:9]
	v_mul_lo_u32 v54, s6, v13
	v_mul_lo_u32 v55, s7, v12
	v_mad_nc_u64_u32 v[40:41], s6, v10, s[10:11]
	v_mad_nc_u64_u32 v[42:43], s6, v12, s[10:11]
	v_add_nc_u64_e32 v[10:11], 6, v[8:9]
	v_mul_u64_e32 v[6:7], s[6:7], v[6:7]
	v_add_nc_u64_e32 v[12:13], 5, v[8:9]
	v_mad_nc_u64_u32 v[34:35], s6, v14, s[8:9]
	v_mul_lo_u32 v56, s6, v15
	v_mul_lo_u32 v57, s7, v14
	v_add3_u32 v29, v22, v29, v3
	v_mad_nc_u64_u32 v[46:47], s6, v14, s[10:11]
	v_add_nc_u64_e32 v[14:15], 4, v[8:9]
	v_mul_u64_e32 v[10:11], s[6:7], v[10:11]
	v_add3_u32 v39, v22, v39, v3
	v_add_nc_u64_e32 v[22:23], 3, v[8:9]
	v_add_nc_u64_e32 v[8:9], 2, v[8:9]
	v_mul_u64_e32 v[12:13], s[6:7], v[12:13]
	v_mad_nc_u64_u32 v[36:37], s6, v16, s[8:9]
	v_mul_lo_u32 v58, s6, v17
	v_mul_lo_u32 v59, s7, v16
	v_mul_u64_e32 v[14:15], s[6:7], v[14:15]
	v_mad_nc_u64_u32 v[50:51], s6, v16, s[10:11]
	v_mul_u64_e32 v[16:17], s[6:7], v[22:23]
	v_mul_u64_e32 v[8:9], s[6:7], v[8:9]
	v_add_nc_u64_e32 v[4:5], 28, v[4:5]
	v_add3_u32 v33, v55, v33, v54
	v_add3_u32 v43, v55, v43, v54
	v_mad_nc_u64_u32 v[44:45], s6, v18, s[8:9]
	v_mul_lo_u32 v19, s6, v19
	v_mul_lo_u32 v60, s7, v18
	v_mad_nc_u64_u32 v[52:53], s6, v18, s[10:11]
	v_mad_nc_u64_u32 v[48:49], s6, v4, s[8:9]
	v_mul_lo_u32 v3, s6, v5
	v_mul_lo_u32 v22, s7, v4
	v_mad_nc_u64_u32 v[54:55], s6, v4, s[10:11]
	v_add_nc_u32_e32 v4, s13, v92
	v_lshlrev_b64_e32 v[6:7], 2, v[6:7]
	v_mov_b32_e32 v5, v2
	v_add3_u32 v35, v57, v35, v56
	v_add3_u32 v47, v57, v47, v56
	v_add3_u32 v45, v60, v45, v19
	v_add3_u32 v53, v60, v53, v19
	v_lshlrev_b64_e32 v[56:57], 2, v[4:5]
	v_add_nc_u64_e32 v[62:63], s[8:9], v[6:7]
	v_lshlrev_b64_e32 v[4:5], 2, v[10:11]
	v_add_nc_u64_e32 v[64:65], s[10:11], v[6:7]
	v_lshlrev_b64_e32 v[18:19], 2, v[20:21]
	v_add3_u32 v37, v59, v37, v58
	v_lshlrev_b64_e32 v[6:7], 2, v[12:13]
	v_add_nc_u64_e32 v[12:13], s[6:7], v[20:21]
	v_add3_u32 v51, v59, v51, v58
	v_add_nc_u64_e32 v[66:67], s[8:9], v[4:5]
	v_lshlrev_b64_e32 v[10:11], 2, v[14:15]
	v_add_nc_u64_e32 v[68:69], s[10:11], v[4:5]
	v_lshlrev_b64_e32 v[4:5], 2, v[16:17]
	v_lshlrev_b64_e32 v[8:9], 2, v[8:9]
	v_add_nc_u64_e32 v[70:71], s[8:9], v[6:7]
	v_add_nc_u64_e32 v[72:73], s[10:11], v[6:7]
	v_lshlrev_b64_e32 v[6:7], 2, v[12:13]
	v_add_nc_u64_e32 v[58:59], s[8:9], v[18:19]
	v_add_nc_u64_e32 v[60:61], s[10:11], v[18:19]
	;; [unrolled: 1-line block ×10, first 2 shown]
	s_wait_kmcnt 0x0
	s_lshl_b32 s20, s18, 3
	v_add3_u32 v31, v25, v31, v24
	v_add3_u32 v41, v25, v41, v24
	;; [unrolled: 1-line block ×4, first 2 shown]
	s_mul_u64 s[8:9], s[6:7], s[20:21]
	s_mov_b64 s[10:11], 7
	s_lshl_b64 s[8:9], s[8:9], 2
.LBB145_53:                             ; =>This Inner Loop Header: Depth=1
	s_add_nc_u64 s[26:27], s[16:17], s[10:11]
	v_add_nc_u64_e32 v[90:91], s[16:17], v[26:27]
	v_cmp_ge_i64_e64 s13, s[26:27], s[4:5]
                                        ; implicit-def: $vgpr4
	s_and_b32 vcc_lo, exec_lo, s13
	s_mov_b32 s13, -1
	s_cbranch_vccz .LBB145_75
; %bb.54:                               ;   in Loop: Header=BB145_53 Depth=1
	s_load_b32 s13, s[22:23], 0xc
	v_mov_b32_e32 v94, 0
	s_wait_kmcnt 0x0
	s_and_b32 s13, s13, 0xffff
	s_delay_alu instid0(SALU_CYCLE_1) | instskip(SKIP_1) | instid1(VALU_DEP_1)
	v_mad_u32_u24 v3, v1, s13, v92
	s_mov_b32 s13, exec_lo
	v_and_b32_e32 v4, 31, v3
	s_delay_alu instid0(VALU_DEP_1)
	v_cmpx_gt_u32_e32 8, v4
	s_cbranch_execz .LBB145_58
; %bb.55:                               ;   in Loop: Header=BB145_53 Depth=1
	v_dual_mov_b32 v5, v2 :: v_dual_mov_b32 v94, 0
	s_mov_b32 s18, exec_lo
	s_delay_alu instid0(VALU_DEP_1) | instskip(NEXT) | instid1(VALU_DEP_1)
	v_add_nc_u64_e32 v[4:5], v[90:91], v[4:5]
	v_cmpx_gt_i64_e64 s[4:5], v[4:5]
	s_cbranch_execz .LBB145_57
; %bb.56:                               ;   in Loop: Header=BB145_53 Depth=1
	v_lshl_add_u64 v[4:5], v[4:5], 2, s[14:15]
	global_load_b32 v94, v[4:5], off
.LBB145_57:                             ;   in Loop: Header=BB145_53 Depth=1
	s_wait_xcnt 0x0
	s_or_b32 exec_lo, exec_lo, s18
.LBB145_58:                             ;   in Loop: Header=BB145_53 Depth=1
	s_delay_alu instid0(SALU_CYCLE_1) | instskip(SKIP_4) | instid1(VALU_DEP_3)
	s_or_b32 exec_lo, exec_lo, s13
	v_dual_mov_b32 v7, v2 :: v_dual_mov_b32 v8, v2
	v_dual_mov_b32 v9, v2 :: v_dual_mov_b32 v3, v2
	;; [unrolled: 1-line block ×3, first 2 shown]
	v_mov_b32_e32 v6, v2
	v_mov_b64_e32 v[16:17], v[8:9]
	v_mov_b64_e32 v[24:25], v[8:9]
	;; [unrolled: 1-line block ×8, first 2 shown]
	s_mov_b32 s13, exec_lo
	v_cmpx_gt_i64_e64 s[4:5], v[90:91]
	s_cbranch_execz .LBB145_60
; %bb.59:                               ;   in Loop: Header=BB145_53 Depth=1
	v_add_nc_u64_e32 v[4:5], v[58:59], v[56:57]
	v_add_nc_u64_e32 v[6:7], v[60:61], v[56:57]
	v_dual_mov_b32 v19, v2 :: v_dual_mov_b32 v20, v2
	v_dual_mov_b32 v21, v2 :: v_dual_mov_b32 v22, v2
	v_dual_mov_b32 v23, v2 :: v_dual_mov_b32 v24, v2
	global_load_b32 v18, v[4:5], off
	global_load_b32 v10, v[6:7], off
	v_dual_mov_b32 v25, v2 :: v_dual_mov_b32 v11, v2
	v_dual_mov_b32 v12, v2 :: v_dual_mov_b32 v13, v2
	;; [unrolled: 1-line block ×4, first 2 shown]
.LBB145_60:                             ;   in Loop: Header=BB145_53 Depth=1
	s_wait_xcnt 0x0
	s_or_b32 exec_lo, exec_lo, s13
	v_add_nc_u64_e32 v[4:5], 1, v[90:91]
	s_mov_b32 s13, exec_lo
	s_delay_alu instid0(VALU_DEP_1)
	v_cmpx_gt_i64_e64 s[4:5], v[4:5]
	s_cbranch_execz .LBB145_62
; %bb.61:                               ;   in Loop: Header=BB145_53 Depth=1
	v_add_nc_u64_e32 v[4:5], v[86:87], v[56:57]
	v_add_nc_u64_e32 v[6:7], v[88:89], v[56:57]
	global_load_b32 v19, v[4:5], off
	global_load_b32 v11, v[6:7], off
.LBB145_62:                             ;   in Loop: Header=BB145_53 Depth=1
	s_wait_xcnt 0x0
	s_or_b32 exec_lo, exec_lo, s13
	v_add_nc_u64_e32 v[4:5], 2, v[90:91]
	s_mov_b32 s13, exec_lo
	s_delay_alu instid0(VALU_DEP_1)
	v_cmpx_gt_i64_e64 s[4:5], v[4:5]
	s_cbranch_execz .LBB145_64
; %bb.63:                               ;   in Loop: Header=BB145_53 Depth=1
	v_add_nc_u64_e32 v[4:5], v[82:83], v[56:57]
	v_add_nc_u64_e32 v[6:7], v[84:85], v[56:57]
	global_load_b32 v20, v[4:5], off
	global_load_b32 v12, v[6:7], off
.LBB145_64:                             ;   in Loop: Header=BB145_53 Depth=1
	;; [unrolled: 13-line block ×7, first 2 shown]
	s_wait_xcnt 0x0
	s_or_b32 exec_lo, exec_lo, s13
	s_wait_loadcnt 0x0
	ds_bpermute_b32 v4, v2, v94
	ds_bpermute_b32 v5, v2, v94 offset:4
	ds_bpermute_b32 v6, v2, v94 offset:8
	ds_bpermute_b32 v7, v2, v94 offset:12
	v_pk_mul_f32 v[8:9], v[10:11], v[18:19]
	ds_bpermute_b32 v10, v2, v94 offset:16
	ds_bpermute_b32 v11, v2, v94 offset:20
	s_mov_b32 s13, 0
	s_wait_dscnt 0x4
	v_pk_mul_f32 v[4:5], v[8:9], v[4:5]
	v_pk_mul_f32 v[8:9], v[12:13], v[20:21]
	s_delay_alu instid0(VALU_DEP_2)
	v_add_f32_e32 v3, v93, v4
	ds_bpermute_b32 v4, v2, v94 offset:24
	s_wait_dscnt 0x3
	v_pk_mul_f32 v[6:7], v[8:9], v[6:7]
	v_pk_mul_f32 v[8:9], v[14:15], v[22:23]
	v_add_f32_e32 v3, v3, v5
	ds_bpermute_b32 v5, v2, v94 offset:28
	s_wait_dscnt 0x2
	v_pk_mul_f32 v[8:9], v[8:9], v[10:11]
	v_add_f32_e32 v3, v3, v6
	s_delay_alu instid0(VALU_DEP_1) | instskip(SKIP_1) | instid1(VALU_DEP_2)
	v_add_f32_e32 v3, v3, v7
	v_pk_mul_f32 v[6:7], v[16:17], v[24:25]
	v_add_f32_e32 v3, v3, v8
	s_delay_alu instid0(VALU_DEP_1) | instskip(SKIP_1) | instid1(VALU_DEP_3)
	v_add_f32_e32 v3, v3, v9
	s_wait_dscnt 0x0
	v_pk_mul_f32 v[4:5], v[6:7], v[4:5]
	s_delay_alu instid0(VALU_DEP_1) | instskip(NEXT) | instid1(VALU_DEP_1)
	v_add_f32_e32 v3, v3, v4
	v_add_f32_e32 v4, v3, v5
.LBB145_75:                             ;   in Loop: Header=BB145_53 Depth=1
	s_and_b32 vcc_lo, exec_lo, s13
	s_cbranch_vccz .LBB145_81
; %bb.76:                               ;   in Loop: Header=BB145_53 Depth=1
	s_load_b32 s13, s[22:23], 0x0
	s_wait_kmcnt 0x0
	s_cmp_lt_u32 s12, s13
	s_cselect_b32 s18, 12, 18
	s_delay_alu instid0(SALU_CYCLE_1) | instskip(SKIP_4) | instid1(VALU_DEP_1)
	s_add_nc_u64 s[26:27], s[22:23], s[18:19]
	s_load_u16 s13, s[26:27], 0x0
	s_wait_kmcnt 0x0
	v_mad_u32_u24 v3, v1, s13, v92
	s_mov_b32 s13, exec_lo
	v_dual_mov_b32 v3, 0 :: v_dual_bitop2_b32 v4, 31, v3 bitop3:0x40
	s_delay_alu instid0(VALU_DEP_1)
	v_cmpx_gt_u32_e32 8, v4
	s_cbranch_execz .LBB145_80
; %bb.77:                               ;   in Loop: Header=BB145_53 Depth=1
	v_dual_mov_b32 v5, v2 :: v_dual_mov_b32 v3, 0
	s_mov_b32 s18, exec_lo
	s_delay_alu instid0(VALU_DEP_1) | instskip(NEXT) | instid1(VALU_DEP_1)
	v_add_nc_u64_e32 v[4:5], v[90:91], v[4:5]
	v_cmpx_gt_i64_e64 s[4:5], v[4:5]
	s_cbranch_execz .LBB145_79
; %bb.78:                               ;   in Loop: Header=BB145_53 Depth=1
	v_lshl_add_u64 v[4:5], v[4:5], 2, s[14:15]
	global_load_b32 v3, v[4:5], off
.LBB145_79:                             ;   in Loop: Header=BB145_53 Depth=1
	s_wait_xcnt 0x0
	s_or_b32 exec_lo, exec_lo, s18
.LBB145_80:                             ;   in Loop: Header=BB145_53 Depth=1
	s_delay_alu instid0(SALU_CYCLE_1)
	s_or_b32 exec_lo, exec_lo, s13
	v_add_nc_u64_e32 v[4:5], v[58:59], v[56:57]
	v_add_nc_u64_e32 v[6:7], v[60:61], v[56:57]
	;; [unrolled: 1-line block ×5, first 2 shown]
	global_load_b32 v12, v[4:5], off
	global_load_b32 v14, v[6:7], off
	;; [unrolled: 1-line block ×4, first 2 shown]
	s_wait_xcnt 0x3
	v_add_nc_u64_e32 v[4:5], v[30:31], v[56:57]
	s_wait_xcnt 0x2
	v_add_nc_u64_e32 v[6:7], v[40:41], v[56:57]
	;; [unrolled: 2-line block ×4, first 2 shown]
	global_load_b32 v18, v[4:5], off
	global_load_b32 v20, v[6:7], off
	;; [unrolled: 1-line block ×4, first 2 shown]
	s_wait_xcnt 0x3
	v_add_nc_u64_e32 v[4:5], v[46:47], v[56:57]
	s_wait_xcnt 0x2
	v_add_nc_u64_e32 v[6:7], v[36:37], v[56:57]
	;; [unrolled: 2-line block ×3, first 2 shown]
	global_load_b32 v10, v[16:17], off
	global_load_b32 v22, v[4:5], off
	;; [unrolled: 1-line block ×4, first 2 shown]
	s_wait_xcnt 0x2
	v_add_nc_u64_e32 v[4:5], v[44:45], v[56:57]
	s_wait_xcnt 0x1
	v_add_nc_u64_e32 v[6:7], v[52:53], v[56:57]
	;; [unrolled: 2-line block ×3, first 2 shown]
	v_add_nc_u64_e32 v[16:17], v[54:55], v[56:57]
	global_load_b32 v24, v[4:5], off
	global_load_b32 v90, v[6:7], off
	;; [unrolled: 1-line block ×4, first 2 shown]
	s_wait_loadcnt 0x10
	s_wait_xcnt 0x3
	ds_bpermute_b32 v4, v2, v3
	ds_bpermute_b32 v5, v2, v3 offset:4
	s_wait_xcnt 0x2
	ds_bpermute_b32 v6, v2, v3 offset:8
	ds_bpermute_b32 v7, v2, v3 offset:12
	s_wait_loadcnt 0xc
	s_wait_xcnt 0x1
	v_pk_mul_f32 v[8:9], v[12:13], v[14:15]
	ds_bpermute_b32 v12, v2, v3 offset:16
	ds_bpermute_b32 v13, v2, v3 offset:20
	s_wait_dscnt 0x4
	v_pk_mul_f32 v[4:5], v[8:9], v[4:5]
	s_wait_loadcnt 0x8
	v_pk_mul_f32 v[8:9], v[18:19], v[20:21]
	s_wait_dscnt 0x2
	s_delay_alu instid0(VALU_DEP_1)
	v_pk_mul_f32 v[6:7], v[8:9], v[6:7]
	v_add_f32_e32 v14, v93, v4
	s_wait_loadcnt 0x4
	v_pk_mul_f32 v[8:9], v[10:11], v[22:23]
	ds_bpermute_b32 v4, v2, v3 offset:24
	s_wait_dscnt 0x1
	v_pk_mul_f32 v[8:9], v[8:9], v[12:13]
	v_add_f32_e32 v14, v14, v5
	ds_bpermute_b32 v5, v2, v3 offset:28
	v_add_f32_e32 v3, v14, v6
	s_delay_alu instid0(VALU_DEP_1) | instskip(SKIP_2) | instid1(VALU_DEP_2)
	v_add_f32_e32 v3, v3, v7
	s_wait_loadcnt 0x0
	v_pk_mul_f32 v[6:7], v[24:25], v[90:91]
	v_add_f32_e32 v3, v3, v8
	s_delay_alu instid0(VALU_DEP_1) | instskip(SKIP_1) | instid1(VALU_DEP_3)
	v_add_f32_e32 v3, v3, v9
	s_wait_dscnt 0x0
	v_pk_mul_f32 v[4:5], v[6:7], v[4:5]
	s_delay_alu instid0(VALU_DEP_1) | instskip(NEXT) | instid1(VALU_DEP_1)
	v_add_f32_e32 v3, v3, v4
	v_add_f32_e32 v4, v3, v5
.LBB145_81:                             ;   in Loop: Header=BB145_53 Depth=1
	s_add_nc_u64 s[24:25], s[24:25], s[20:21]
	v_add_nc_u64_e32 v[58:59], s[8:9], v[58:59]
	v_cmp_ge_i64_e64 s13, s[24:25], s[4:5]
	v_add_nc_u64_e32 v[60:61], s[8:9], v[60:61]
	v_add_nc_u64_e32 v[26:27], s[20:21], v[26:27]
	;; [unrolled: 1-line block ×30, first 2 shown]
	s_and_b32 vcc_lo, exec_lo, s13
	s_add_nc_u64 s[10:11], s[10:11], s[20:21]
	s_cbranch_vccnz .LBB145_83
; %bb.82:                               ;   in Loop: Header=BB145_53 Depth=1
	v_mov_b32_e32 v93, v4
	s_branch .LBB145_53
.LBB145_83:
	s_mov_b32 s13, 0
	s_delay_alu instid0(SALU_CYCLE_1)
	s_lshl_b64 s[4:5], s[12:13], 6
	s_wait_kmcnt 0x0
	s_cmp_lg_u64 s[2:3], 0
	v_and_or_b32 v2, 0x3ff, v0, s4
	v_mov_b32_e32 v3, s5
	s_cselect_b32 s4, -1, 0
	s_delay_alu instid0(VALU_DEP_1) | instskip(SKIP_1) | instid1(SALU_CYCLE_1)
	v_cmp_gt_i64_e32 vcc_lo, s[6:7], v[2:3]
	s_and_b32 s4, vcc_lo, s4
	s_and_saveexec_b32 s5, s4
	s_cbranch_execz .LBB145_85
; %bb.84:
	s_load_u16 s0, s[0:1], 0x4e
	v_bfe_u32 v0, v0, 10, 10
	v_mov_b32_e32 v1, 0
	s_wait_kmcnt 0x0
	s_delay_alu instid0(VALU_DEP_1) | instskip(NEXT) | instid1(VALU_DEP_1)
	v_mad_nc_u64_u32 v[0:1], s0, s30, v[0:1]
	v_mul_u64_e32 v[0:1], s[6:7], v[0:1]
	s_delay_alu instid0(VALU_DEP_1) | instskip(NEXT) | instid1(VALU_DEP_1)
	v_lshl_add_u64 v[0:1], v[0:1], 2, s[2:3]
	v_lshl_add_u64 v[0:1], v[2:3], 2, v[0:1]
	global_store_b32 v[0:1], v4, off
.LBB145_85:
	s_sendmsg sendmsg(MSG_DEALLOC_VGPRS)
	s_endpgm
	.section	.rodata,"a",@progbits
	.p2align	6, 0x0
	.amdhsa_kernel _ZN2at6native12_GLOBAL__N_135GammaBetaBackwardCUDAKernelTemplateIffLj64ELj1ELj8ELb1ELb0ELb1EEEvllPKT_S5_PKT0_S8_PS3_S9_
		.amdhsa_group_segment_fixed_size 0
		.amdhsa_private_segment_fixed_size 0
		.amdhsa_kernarg_size 320
		.amdhsa_user_sgpr_count 2
		.amdhsa_user_sgpr_dispatch_ptr 0
		.amdhsa_user_sgpr_queue_ptr 0
		.amdhsa_user_sgpr_kernarg_segment_ptr 1
		.amdhsa_user_sgpr_dispatch_id 0
		.amdhsa_user_sgpr_kernarg_preload_length 0
		.amdhsa_user_sgpr_kernarg_preload_offset 0
		.amdhsa_user_sgpr_private_segment_size 0
		.amdhsa_wavefront_size32 1
		.amdhsa_uses_dynamic_stack 0
		.amdhsa_enable_private_segment 0
		.amdhsa_system_sgpr_workgroup_id_x 1
		.amdhsa_system_sgpr_workgroup_id_y 1
		.amdhsa_system_sgpr_workgroup_id_z 0
		.amdhsa_system_sgpr_workgroup_info 0
		.amdhsa_system_vgpr_workitem_id 1
		.amdhsa_next_free_vgpr 95
		.amdhsa_next_free_sgpr 36
		.amdhsa_named_barrier_count 0
		.amdhsa_reserve_vcc 1
		.amdhsa_float_round_mode_32 0
		.amdhsa_float_round_mode_16_64 0
		.amdhsa_float_denorm_mode_32 3
		.amdhsa_float_denorm_mode_16_64 3
		.amdhsa_fp16_overflow 0
		.amdhsa_memory_ordered 1
		.amdhsa_forward_progress 1
		.amdhsa_inst_pref_size 40
		.amdhsa_round_robin_scheduling 0
		.amdhsa_exception_fp_ieee_invalid_op 0
		.amdhsa_exception_fp_denorm_src 0
		.amdhsa_exception_fp_ieee_div_zero 0
		.amdhsa_exception_fp_ieee_overflow 0
		.amdhsa_exception_fp_ieee_underflow 0
		.amdhsa_exception_fp_ieee_inexact 0
		.amdhsa_exception_int_div_zero 0
	.end_amdhsa_kernel
	.section	.text._ZN2at6native12_GLOBAL__N_135GammaBetaBackwardCUDAKernelTemplateIffLj64ELj1ELj8ELb1ELb0ELb1EEEvllPKT_S5_PKT0_S8_PS3_S9_,"axG",@progbits,_ZN2at6native12_GLOBAL__N_135GammaBetaBackwardCUDAKernelTemplateIffLj64ELj1ELj8ELb1ELb0ELb1EEEvllPKT_S5_PKT0_S8_PS3_S9_,comdat
.Lfunc_end145:
	.size	_ZN2at6native12_GLOBAL__N_135GammaBetaBackwardCUDAKernelTemplateIffLj64ELj1ELj8ELb1ELb0ELb1EEEvllPKT_S5_PKT0_S8_PS3_S9_, .Lfunc_end145-_ZN2at6native12_GLOBAL__N_135GammaBetaBackwardCUDAKernelTemplateIffLj64ELj1ELj8ELb1ELb0ELb1EEEvllPKT_S5_PKT0_S8_PS3_S9_
                                        ; -- End function
	.set _ZN2at6native12_GLOBAL__N_135GammaBetaBackwardCUDAKernelTemplateIffLj64ELj1ELj8ELb1ELb0ELb1EEEvllPKT_S5_PKT0_S8_PS3_S9_.num_vgpr, 95
	.set _ZN2at6native12_GLOBAL__N_135GammaBetaBackwardCUDAKernelTemplateIffLj64ELj1ELj8ELb1ELb0ELb1EEEvllPKT_S5_PKT0_S8_PS3_S9_.num_agpr, 0
	.set _ZN2at6native12_GLOBAL__N_135GammaBetaBackwardCUDAKernelTemplateIffLj64ELj1ELj8ELb1ELb0ELb1EEEvllPKT_S5_PKT0_S8_PS3_S9_.numbered_sgpr, 36
	.set _ZN2at6native12_GLOBAL__N_135GammaBetaBackwardCUDAKernelTemplateIffLj64ELj1ELj8ELb1ELb0ELb1EEEvllPKT_S5_PKT0_S8_PS3_S9_.num_named_barrier, 0
	.set _ZN2at6native12_GLOBAL__N_135GammaBetaBackwardCUDAKernelTemplateIffLj64ELj1ELj8ELb1ELb0ELb1EEEvllPKT_S5_PKT0_S8_PS3_S9_.private_seg_size, 0
	.set _ZN2at6native12_GLOBAL__N_135GammaBetaBackwardCUDAKernelTemplateIffLj64ELj1ELj8ELb1ELb0ELb1EEEvllPKT_S5_PKT0_S8_PS3_S9_.uses_vcc, 1
	.set _ZN2at6native12_GLOBAL__N_135GammaBetaBackwardCUDAKernelTemplateIffLj64ELj1ELj8ELb1ELb0ELb1EEEvllPKT_S5_PKT0_S8_PS3_S9_.uses_flat_scratch, 0
	.set _ZN2at6native12_GLOBAL__N_135GammaBetaBackwardCUDAKernelTemplateIffLj64ELj1ELj8ELb1ELb0ELb1EEEvllPKT_S5_PKT0_S8_PS3_S9_.has_dyn_sized_stack, 0
	.set _ZN2at6native12_GLOBAL__N_135GammaBetaBackwardCUDAKernelTemplateIffLj64ELj1ELj8ELb1ELb0ELb1EEEvllPKT_S5_PKT0_S8_PS3_S9_.has_recursion, 0
	.set _ZN2at6native12_GLOBAL__N_135GammaBetaBackwardCUDAKernelTemplateIffLj64ELj1ELj8ELb1ELb0ELb1EEEvllPKT_S5_PKT0_S8_PS3_S9_.has_indirect_call, 0
	.section	.AMDGPU.csdata,"",@progbits
; Kernel info:
; codeLenInByte = 5104
; TotalNumSgprs: 38
; NumVgprs: 95
; ScratchSize: 0
; MemoryBound: 0
; FloatMode: 240
; IeeeMode: 1
; LDSByteSize: 0 bytes/workgroup (compile time only)
; SGPRBlocks: 0
; VGPRBlocks: 5
; NumSGPRsForWavesPerEU: 38
; NumVGPRsForWavesPerEU: 95
; NamedBarCnt: 0
; Occupancy: 10
; WaveLimiterHint : 0
; COMPUTE_PGM_RSRC2:SCRATCH_EN: 0
; COMPUTE_PGM_RSRC2:USER_SGPR: 2
; COMPUTE_PGM_RSRC2:TRAP_HANDLER: 0
; COMPUTE_PGM_RSRC2:TGID_X_EN: 1
; COMPUTE_PGM_RSRC2:TGID_Y_EN: 1
; COMPUTE_PGM_RSRC2:TGID_Z_EN: 0
; COMPUTE_PGM_RSRC2:TIDIG_COMP_CNT: 1
	.section	.text._ZN2at6native12_GLOBAL__N_135GammaBetaBackwardCUDAKernelTemplateIffLj64ELj8ELj64ELb0ELb1ELb1EEEvllPKT_S5_PKT0_S8_PS3_S9_,"axG",@progbits,_ZN2at6native12_GLOBAL__N_135GammaBetaBackwardCUDAKernelTemplateIffLj64ELj8ELj64ELb0ELb1ELb1EEEvllPKT_S5_PKT0_S8_PS3_S9_,comdat
	.globl	_ZN2at6native12_GLOBAL__N_135GammaBetaBackwardCUDAKernelTemplateIffLj64ELj8ELj64ELb0ELb1ELb1EEEvllPKT_S5_PKT0_S8_PS3_S9_ ; -- Begin function _ZN2at6native12_GLOBAL__N_135GammaBetaBackwardCUDAKernelTemplateIffLj64ELj8ELj64ELb0ELb1ELb1EEEvllPKT_S5_PKT0_S8_PS3_S9_
	.p2align	8
	.type	_ZN2at6native12_GLOBAL__N_135GammaBetaBackwardCUDAKernelTemplateIffLj64ELj8ELj64ELb0ELb1ELb1EEEvllPKT_S5_PKT0_S8_PS3_S9_,@function
_ZN2at6native12_GLOBAL__N_135GammaBetaBackwardCUDAKernelTemplateIffLj64ELj8ELj64ELb0ELb1ELb1EEEvllPKT_S5_PKT0_S8_PS3_S9_: ; @_ZN2at6native12_GLOBAL__N_135GammaBetaBackwardCUDAKernelTemplateIffLj64ELj8ELj64ELb0ELb1ELb1EEEvllPKT_S5_PKT0_S8_PS3_S9_
; %bb.0:
	s_load_b128 s[4:7], s[0:1], 0x0
	s_bfe_u32 s2, ttmp6, 0x40010
	s_bfe_u32 s3, ttmp6, 0x40004
	s_add_co_i32 s2, s2, 1
	s_getreg_b32 s20, hwreg(HW_REG_IB_STS2, 6, 4)
	s_mul_i32 s2, ttmp7, s2
	s_mov_b32 s13, 0
	s_add_co_i32 s3, s3, s2
	s_cmp_eq_u32 s20, 0
	v_bfe_u32 v9, v0, 10, 10
	s_cselect_b32 s2, ttmp7, s3
	s_delay_alu instid0(SALU_CYCLE_1)
	s_lshl_b32 s12, s2, 6
	s_wait_kmcnt 0x0
	v_cmp_gt_i64_e64 s2, s[4:5], s[12:13]
	s_and_b32 vcc_lo, exec_lo, s2
	s_cbranch_vccnz .LBB146_2
; %bb.1:
	v_bfe_u32 v1, v0, 10, 10
	s_mov_b32 s2, s13
	v_and_b32_e32 v8, 0x3ff, v0
	v_mov_b32_e32 v16, 0
	s_and_not1_b32 vcc_lo, exec_lo, s2
	s_cbranch_vccz .LBB146_3
	s_branch .LBB146_10
.LBB146_2:
                                        ; implicit-def: $vgpr1
	v_and_b32_e32 v8, 0x3ff, v0
	v_mov_b32_e32 v16, 0
.LBB146_3:
	v_dual_mov_b32 v1, 0 :: v_dual_lshlrev_b32 v0, 3, v9
	s_load_b32 s2, s[0:1], 0x4c
	s_bfe_u32 s14, ttmp6, 0x4000c
	s_clause 0x2
	s_load_b32 s3, s[0:1], 0x44
	s_load_b128 s[8:11], s[0:1], 0x10
	s_load_b64 s[16:17], s[0:1], 0x28
	s_add_co_i32 s14, s14, 1
	v_add_nc_u64_e32 v[2:3], s[12:13], v[0:1]
	s_and_b32 s18, ttmp6, 15
	s_mul_i32 s14, ttmp9, s14
	v_dual_mov_b32 v5, v1 :: v_dual_mov_b32 v15, v1
	s_add_co_i32 s18, s18, s14
	s_mov_b32 s15, 0
	s_delay_alu instid0(VALU_DEP_2)
	v_mul_u64_e32 v[6:7], s[6:7], v[2:3]
	v_dual_mov_b32 v0, 8 :: v_dual_mov_b32 v10, 4
	v_dual_mov_b32 v12, 16 :: v_dual_mov_b32 v13, 20
	v_mov_b32_e32 v11, 12
	s_wait_kmcnt 0x0
	s_and_b32 s2, s2, 0xffff
	s_cmp_eq_u32 s20, 0
	v_mad_u32_u24 v4, v9, s2, v8
	s_cselect_b32 s2, ttmp9, s18
	s_lshl_b32 s14, s3, 6
	v_lshl_add_u32 v14, s2, 6, v8
	s_mul_u64 s[18:19], s[6:7], s[14:15]
	v_and_b32_e32 v4, 31, v4
	s_lshl_b64 s[18:19], s[18:19], 2
	s_lshl_b64 s[6:7], s[6:7], 2
	v_lshlrev_b64_e32 v[16:17], 2, v[14:15]
	v_dual_mov_b32 v14, 24 :: v_dual_mov_b32 v15, 28
	v_add_nc_u64_e32 v[2:3], v[2:3], v[4:5]
	v_cmp_gt_u32_e64 s2, 8, v4
	s_delay_alu instid0(VALU_DEP_2)
	v_lshl_add_u64 v[4:5], v[2:3], 2, s[16:17]
	s_lshl_b64 s[16:17], s[14:15], 2
	v_lshl_add_u64 v[6:7], v[6:7], 2, v[16:17]
	v_mov_b32_e32 v16, 0
	s_branch .LBB146_6
.LBB146_4:                              ;   in Loop: Header=BB146_6 Depth=1
	s_wait_xcnt 0x0
	s_or_b32 exec_lo, exec_lo, s21
.LBB146_5:                              ;   in Loop: Header=BB146_6 Depth=1
	s_delay_alu instid0(SALU_CYCLE_1)
	s_or_b32 exec_lo, exec_lo, s3
	v_add_nc_u64_e32 v[18:19], s[8:9], v[6:7]
	v_add_nc_u64_e32 v[20:21], s[10:11], v[6:7]
	s_add_nc_u64 s[12:13], s[12:13], s[14:15]
	v_add_nc_u64_e32 v[4:5], s[16:17], v[4:5]
	v_cmp_lt_i64_e64 s3, s[12:13], s[4:5]
	v_add_nc_u64_e32 v[2:3], s[14:15], v[2:3]
	v_add_nc_u64_e32 v[6:7], s[18:19], v[6:7]
	;; [unrolled: 1-line block ×4, first 2 shown]
	global_load_b32 v30, v[18:19], off
	global_load_b32 v32, v[20:21], off
	;; [unrolled: 1-line block ×4, first 2 shown]
	v_add_nc_u64_e32 v[26:27], s[6:7], v[22:23]
	v_add_nc_u64_e32 v[28:29], s[6:7], v[24:25]
	s_and_b32 vcc_lo, exec_lo, s3
	s_wait_xcnt 0x3
	s_delay_alu instid0(VALU_DEP_2) | instskip(SKIP_1) | instid1(VALU_DEP_2)
	v_add_nc_u64_e32 v[18:19], s[6:7], v[26:27]
	s_wait_xcnt 0x2
	v_add_nc_u64_e32 v[20:21], s[6:7], v[28:29]
	global_load_b32 v34, v[26:27], off
	global_load_b32 v36, v[28:29], off
	;; [unrolled: 1-line block ×4, first 2 shown]
	s_wait_xcnt 0x5
	v_add_nc_u64_e32 v[22:23], s[6:7], v[18:19]
	s_wait_xcnt 0x4
	v_add_nc_u64_e32 v[24:25], s[6:7], v[20:21]
	s_wait_xcnt 0x1
	s_delay_alu instid0(VALU_DEP_2) | instskip(SKIP_1) | instid1(VALU_DEP_2)
	v_add_nc_u64_e32 v[18:19], s[6:7], v[22:23]
	s_wait_xcnt 0x0
	v_add_nc_u64_e32 v[20:21], s[6:7], v[24:25]
	global_load_b32 v22, v[22:23], off
	global_load_b32 v38, v[24:25], off
	;; [unrolled: 1-line block ×4, first 2 shown]
	v_add_nc_u64_e32 v[26:27], s[6:7], v[18:19]
	v_add_nc_u64_e32 v[28:29], s[6:7], v[20:21]
	s_wait_xcnt 0x1
	s_delay_alu instid0(VALU_DEP_2) | instskip(SKIP_1) | instid1(VALU_DEP_2)
	v_add_nc_u64_e32 v[18:19], s[6:7], v[26:27]
	s_wait_xcnt 0x0
	v_add_nc_u64_e32 v[20:21], s[6:7], v[28:29]
	global_load_b32 v24, v[26:27], off
	global_load_b32 v40, v[28:29], off
	;; [unrolled: 1-line block ×4, first 2 shown]
	s_wait_loadcnt 0x10
	s_wait_xcnt 0x1
	ds_bpermute_b32 v18, v1, v17
	ds_bpermute_b32 v19, v10, v17
	s_wait_xcnt 0x0
	ds_bpermute_b32 v20, v0, v17
	ds_bpermute_b32 v21, v11, v17
	s_wait_loadcnt 0xc
	v_pk_mul_f32 v[26:27], v[30:31], v[32:33]
	s_wait_dscnt 0x2
	s_delay_alu instid0(VALU_DEP_1)
	v_pk_mul_f32 v[18:19], v[26:27], v[18:19]
	ds_bpermute_b32 v26, v12, v17
	ds_bpermute_b32 v27, v13, v17
	v_add_f32_e32 v16, v16, v18
	s_wait_loadcnt 0x8
	v_pk_mul_f32 v[28:29], v[34:35], v[36:37]
	s_delay_alu instid0(VALU_DEP_2) | instskip(SKIP_4) | instid1(VALU_DEP_1)
	v_add_f32_e32 v30, v16, v19
	ds_bpermute_b32 v16, v14, v17
	ds_bpermute_b32 v17, v15, v17
	s_wait_dscnt 0x4
	v_pk_mul_f32 v[18:19], v[28:29], v[20:21]
	v_add_f32_e32 v18, v30, v18
	s_wait_loadcnt 0x4
	v_pk_mul_f32 v[20:21], v[22:23], v[38:39]
	s_delay_alu instid0(VALU_DEP_2) | instskip(SKIP_1) | instid1(VALU_DEP_2)
	v_add_f32_e32 v22, v18, v19
	s_wait_dscnt 0x2
	v_pk_mul_f32 v[18:19], v[20:21], v[26:27]
	s_wait_loadcnt 0x0
	v_pk_mul_f32 v[20:21], v[24:25], v[40:41]
	s_wait_dscnt 0x0
	s_delay_alu instid0(VALU_DEP_1) | instskip(SKIP_1) | instid1(VALU_DEP_1)
	v_pk_mul_f32 v[16:17], v[20:21], v[16:17]
	v_add_f32_e32 v18, v22, v18
	v_add_f32_e32 v18, v18, v19
	s_delay_alu instid0(VALU_DEP_1) | instskip(NEXT) | instid1(VALU_DEP_1)
	v_add_f32_e32 v16, v18, v16
	v_add_f32_e32 v16, v16, v17
	s_cbranch_vccz .LBB146_9
.LBB146_6:                              ; =>This Inner Loop Header: Depth=1
	v_mov_b32_e32 v17, 0
	s_and_saveexec_b32 s3, s2
	s_cbranch_execz .LBB146_5
; %bb.7:                                ;   in Loop: Header=BB146_6 Depth=1
	v_mov_b32_e32 v17, 0
	s_mov_b32 s21, exec_lo
	v_cmpx_gt_i64_e64 s[4:5], v[2:3]
	s_cbranch_execz .LBB146_4
; %bb.8:                                ;   in Loop: Header=BB146_6 Depth=1
	global_load_b32 v17, v[4:5], off
	s_branch .LBB146_4
.LBB146_9:
	v_mov_b32_e32 v1, v9
.LBB146_10:
	s_load_b64 s[2:3], s[0:1], 0x30
	s_delay_alu instid0(VALU_DEP_1) | instskip(SKIP_3) | instid1(VALU_DEP_2)
	v_mad_u32_u24 v0, 0x41, v1, v8
	v_mov_b32_e32 v3, 0
	s_wait_xcnt 0x0
	s_mov_b32 s0, exec_lo
	v_lshl_add_u32 v2, v0, 2, 0
	v_sub_nc_u32_e32 v1, v0, v1
	ds_store_b32 v2, v16
	ds_store_b32 v2, v3 offset:2080
	s_wait_dscnt 0x0
	s_barrier_signal -1
	s_barrier_wait -1
	v_cmpx_gt_u32_e32 0x800, v1
	s_cbranch_execz .LBB146_30
; %bb.11:
	v_dual_lshrrev_b32 v0, 5, v1 :: v_dual_bitop2_b32 v2, 31, v8 bitop3:0x40
                                        ; implicit-def: $vgpr5
	s_delay_alu instid0(VALU_DEP_1)
	v_cmp_gt_u32_e32 vcc_lo, 8, v2
	v_mul_u32_u24_e32 v2, 0x41, v2
	s_and_saveexec_b32 s0, vcc_lo
; %bb.12:
	s_delay_alu instid0(VALU_DEP_1) | instskip(NEXT) | instid1(VALU_DEP_1)
	v_dual_lshlrev_b32 v3, 2, v0 :: v_dual_lshlrev_b32 v4, 2, v2
	v_add3_u32 v3, 0, v3, v4
	ds_load_b32 v5, v3
; %bb.13:
	s_or_b32 exec_lo, exec_lo, s0
	v_mbcnt_lo_u32_b32 v6, -1, 0
	s_wait_kmcnt 0x0
	s_cmp_lg_u64 s[2:3], 0
	s_cselect_b32 s1, -1, 0
	s_bfe_u32 s4, ttmp6, 0x4000c
	v_xor_b32_e32 v4, 2, v6
	v_xor_b32_e32 v3, 4, v6
	s_add_co_i32 s4, s4, 1
	s_and_b32 s5, ttmp6, 15
	s_mul_i32 s4, ttmp9, s4
	v_xor_b32_e32 v9, 1, v6
	v_cmp_gt_i32_e64 s0, 32, v3
	s_delay_alu instid0(VALU_DEP_1) | instskip(SKIP_1) | instid1(VALU_DEP_1)
	v_cndmask_b32_e64 v3, v6, v3, s0
	v_cmp_gt_i32_e64 s0, 32, v4
	v_cndmask_b32_e64 v4, v6, v4, s0
	v_cmp_gt_i32_e64 s0, 32, v9
	s_delay_alu instid0(VALU_DEP_2)
	v_dual_lshlrev_b32 v4, 2, v4 :: v_dual_lshlrev_b32 v3, 2, v3
	s_wait_dscnt 0x0
	ds_bpermute_b32 v7, v3, v5
	s_wait_dscnt 0x0
	v_add_f32_e32 v5, v5, v7
	ds_bpermute_b32 v7, v4, v5
	v_cndmask_b32_e64 v6, v6, v9, s0
	v_cmp_eq_u32_e64 s0, 0, v8
	s_and_b32 s1, s0, s1
	s_add_co_i32 s0, s5, s4
	s_cmp_eq_u32 s20, 0
	s_mov_b32 s5, 0
	s_cselect_b32 s4, ttmp9, s0
	s_delay_alu instid0(SALU_CYCLE_1) | instskip(NEXT) | instid1(SALU_CYCLE_1)
	s_lshl_b64 s[4:5], s[4:5], 8
	s_add_nc_u64 s[2:3], s[2:3], s[4:5]
	s_wait_dscnt 0x0
	v_dual_add_f32 v7, v5, v7 :: v_dual_lshlrev_b32 v5, 2, v6
	ds_bpermute_b32 v6, v5, v7
	s_wait_dscnt 0x0
	v_add_f32_e32 v6, v7, v6
	s_and_saveexec_b32 s0, s1
	s_cbranch_execz .LBB146_15
; %bb.14:
	global_store_b32 v0, v6, s[2:3] scale_offset
.LBB146_15:
	s_wait_xcnt 0x0
	s_or_b32 exec_lo, exec_lo, s0
	v_cmp_gt_u32_e64 s0, 0x600, v1
	s_and_b32 exec_lo, exec_lo, s0
	s_cbranch_execz .LBB146_30
; %bb.16:
	s_and_saveexec_b32 s0, vcc_lo
; %bb.17:
	v_dual_lshlrev_b32 v6, 2, v0 :: v_dual_lshlrev_b32 v7, 2, v2
	s_delay_alu instid0(VALU_DEP_1)
	v_add3_u32 v6, 0, v6, v7
	ds_load_b32 v6, v6 offset:64
; %bb.18:
	s_or_b32 exec_lo, exec_lo, s0
	s_wait_dscnt 0x0
	ds_bpermute_b32 v7, v3, v6
	s_wait_dscnt 0x0
	v_add_f32_e32 v6, v6, v7
	ds_bpermute_b32 v7, v4, v6
	s_wait_dscnt 0x0
	v_add_f32_e32 v6, v6, v7
	;; [unrolled: 3-line block ×3, first 2 shown]
	s_and_saveexec_b32 s0, s1
	s_cbranch_execz .LBB146_20
; %bb.19:
	global_store_b32 v0, v6, s[2:3] offset:64 scale_offset
.LBB146_20:
	s_wait_xcnt 0x0
	s_or_b32 exec_lo, exec_lo, s0
	v_cmp_gt_u32_e64 s0, 0x400, v1
	s_and_b32 exec_lo, exec_lo, s0
	s_cbranch_execz .LBB146_30
; %bb.21:
	s_and_saveexec_b32 s0, vcc_lo
; %bb.22:
	v_dual_lshlrev_b32 v6, 2, v0 :: v_dual_lshlrev_b32 v7, 2, v2
	s_delay_alu instid0(VALU_DEP_1)
	v_add3_u32 v6, 0, v6, v7
	ds_load_b32 v6, v6 offset:128
; %bb.23:
	s_or_b32 exec_lo, exec_lo, s0
	s_wait_dscnt 0x0
	ds_bpermute_b32 v7, v3, v6
	s_wait_dscnt 0x0
	v_add_f32_e32 v6, v6, v7
	ds_bpermute_b32 v7, v4, v6
	s_wait_dscnt 0x0
	v_add_f32_e32 v6, v6, v7
	;; [unrolled: 3-line block ×3, first 2 shown]
	s_and_saveexec_b32 s0, s1
	s_cbranch_execz .LBB146_25
; %bb.24:
	global_store_b32 v0, v6, s[2:3] offset:128 scale_offset
.LBB146_25:
	s_wait_xcnt 0x0
	s_or_b32 exec_lo, exec_lo, s0
	v_cmp_gt_u32_e64 s0, 0x200, v1
	s_and_b32 exec_lo, exec_lo, s0
	s_cbranch_execz .LBB146_30
; %bb.26:
	s_and_saveexec_b32 s0, vcc_lo
; %bb.27:
	v_dual_lshlrev_b32 v1, 2, v0 :: v_dual_lshlrev_b32 v2, 2, v2
	s_delay_alu instid0(VALU_DEP_1)
	v_add3_u32 v1, 0, v1, v2
	ds_load_b32 v6, v1 offset:192
; %bb.28:
	s_or_b32 exec_lo, exec_lo, s0
	s_wait_dscnt 0x0
	ds_bpermute_b32 v1, v3, v6
	s_wait_dscnt 0x0
	v_add_f32_e32 v1, v6, v1
	ds_bpermute_b32 v2, v4, v1
	s_wait_dscnt 0x0
	v_add_f32_e32 v1, v1, v2
	ds_bpermute_b32 v2, v5, v1
	s_and_saveexec_b32 s0, s1
	s_delay_alu instid0(SALU_CYCLE_1)
	s_xor_b32 s0, exec_lo, s0
	s_cbranch_execz .LBB146_30
; %bb.29:
	s_wait_dscnt 0x0
	v_add_f32_e32 v1, v1, v2
	global_store_b32 v0, v1, s[2:3] offset:192 scale_offset
.LBB146_30:
	s_endpgm
	.section	.rodata,"a",@progbits
	.p2align	6, 0x0
	.amdhsa_kernel _ZN2at6native12_GLOBAL__N_135GammaBetaBackwardCUDAKernelTemplateIffLj64ELj8ELj64ELb0ELb1ELb1EEEvllPKT_S5_PKT0_S8_PS3_S9_
		.amdhsa_group_segment_fixed_size 0
		.amdhsa_private_segment_fixed_size 0
		.amdhsa_kernarg_size 320
		.amdhsa_user_sgpr_count 2
		.amdhsa_user_sgpr_dispatch_ptr 0
		.amdhsa_user_sgpr_queue_ptr 0
		.amdhsa_user_sgpr_kernarg_segment_ptr 1
		.amdhsa_user_sgpr_dispatch_id 0
		.amdhsa_user_sgpr_kernarg_preload_length 0
		.amdhsa_user_sgpr_kernarg_preload_offset 0
		.amdhsa_user_sgpr_private_segment_size 0
		.amdhsa_wavefront_size32 1
		.amdhsa_uses_dynamic_stack 0
		.amdhsa_enable_private_segment 0
		.amdhsa_system_sgpr_workgroup_id_x 1
		.amdhsa_system_sgpr_workgroup_id_y 1
		.amdhsa_system_sgpr_workgroup_id_z 0
		.amdhsa_system_sgpr_workgroup_info 0
		.amdhsa_system_vgpr_workitem_id 1
		.amdhsa_next_free_vgpr 42
		.amdhsa_next_free_sgpr 22
		.amdhsa_named_barrier_count 0
		.amdhsa_reserve_vcc 1
		.amdhsa_float_round_mode_32 0
		.amdhsa_float_round_mode_16_64 0
		.amdhsa_float_denorm_mode_32 3
		.amdhsa_float_denorm_mode_16_64 3
		.amdhsa_fp16_overflow 0
		.amdhsa_memory_ordered 1
		.amdhsa_forward_progress 1
		.amdhsa_inst_pref_size 15
		.amdhsa_round_robin_scheduling 0
		.amdhsa_exception_fp_ieee_invalid_op 0
		.amdhsa_exception_fp_denorm_src 0
		.amdhsa_exception_fp_ieee_div_zero 0
		.amdhsa_exception_fp_ieee_overflow 0
		.amdhsa_exception_fp_ieee_underflow 0
		.amdhsa_exception_fp_ieee_inexact 0
		.amdhsa_exception_int_div_zero 0
	.end_amdhsa_kernel
	.section	.text._ZN2at6native12_GLOBAL__N_135GammaBetaBackwardCUDAKernelTemplateIffLj64ELj8ELj64ELb0ELb1ELb1EEEvllPKT_S5_PKT0_S8_PS3_S9_,"axG",@progbits,_ZN2at6native12_GLOBAL__N_135GammaBetaBackwardCUDAKernelTemplateIffLj64ELj8ELj64ELb0ELb1ELb1EEEvllPKT_S5_PKT0_S8_PS3_S9_,comdat
.Lfunc_end146:
	.size	_ZN2at6native12_GLOBAL__N_135GammaBetaBackwardCUDAKernelTemplateIffLj64ELj8ELj64ELb0ELb1ELb1EEEvllPKT_S5_PKT0_S8_PS3_S9_, .Lfunc_end146-_ZN2at6native12_GLOBAL__N_135GammaBetaBackwardCUDAKernelTemplateIffLj64ELj8ELj64ELb0ELb1ELb1EEEvllPKT_S5_PKT0_S8_PS3_S9_
                                        ; -- End function
	.set _ZN2at6native12_GLOBAL__N_135GammaBetaBackwardCUDAKernelTemplateIffLj64ELj8ELj64ELb0ELb1ELb1EEEvllPKT_S5_PKT0_S8_PS3_S9_.num_vgpr, 42
	.set _ZN2at6native12_GLOBAL__N_135GammaBetaBackwardCUDAKernelTemplateIffLj64ELj8ELj64ELb0ELb1ELb1EEEvllPKT_S5_PKT0_S8_PS3_S9_.num_agpr, 0
	.set _ZN2at6native12_GLOBAL__N_135GammaBetaBackwardCUDAKernelTemplateIffLj64ELj8ELj64ELb0ELb1ELb1EEEvllPKT_S5_PKT0_S8_PS3_S9_.numbered_sgpr, 22
	.set _ZN2at6native12_GLOBAL__N_135GammaBetaBackwardCUDAKernelTemplateIffLj64ELj8ELj64ELb0ELb1ELb1EEEvllPKT_S5_PKT0_S8_PS3_S9_.num_named_barrier, 0
	.set _ZN2at6native12_GLOBAL__N_135GammaBetaBackwardCUDAKernelTemplateIffLj64ELj8ELj64ELb0ELb1ELb1EEEvllPKT_S5_PKT0_S8_PS3_S9_.private_seg_size, 0
	.set _ZN2at6native12_GLOBAL__N_135GammaBetaBackwardCUDAKernelTemplateIffLj64ELj8ELj64ELb0ELb1ELb1EEEvllPKT_S5_PKT0_S8_PS3_S9_.uses_vcc, 1
	.set _ZN2at6native12_GLOBAL__N_135GammaBetaBackwardCUDAKernelTemplateIffLj64ELj8ELj64ELb0ELb1ELb1EEEvllPKT_S5_PKT0_S8_PS3_S9_.uses_flat_scratch, 0
	.set _ZN2at6native12_GLOBAL__N_135GammaBetaBackwardCUDAKernelTemplateIffLj64ELj8ELj64ELb0ELb1ELb1EEEvllPKT_S5_PKT0_S8_PS3_S9_.has_dyn_sized_stack, 0
	.set _ZN2at6native12_GLOBAL__N_135GammaBetaBackwardCUDAKernelTemplateIffLj64ELj8ELj64ELb0ELb1ELb1EEEvllPKT_S5_PKT0_S8_PS3_S9_.has_recursion, 0
	.set _ZN2at6native12_GLOBAL__N_135GammaBetaBackwardCUDAKernelTemplateIffLj64ELj8ELj64ELb0ELb1ELb1EEEvllPKT_S5_PKT0_S8_PS3_S9_.has_indirect_call, 0
	.section	.AMDGPU.csdata,"",@progbits
; Kernel info:
; codeLenInByte = 1820
; TotalNumSgprs: 24
; NumVgprs: 42
; ScratchSize: 0
; MemoryBound: 0
; FloatMode: 240
; IeeeMode: 1
; LDSByteSize: 0 bytes/workgroup (compile time only)
; SGPRBlocks: 0
; VGPRBlocks: 2
; NumSGPRsForWavesPerEU: 24
; NumVGPRsForWavesPerEU: 42
; NamedBarCnt: 0
; Occupancy: 16
; WaveLimiterHint : 0
; COMPUTE_PGM_RSRC2:SCRATCH_EN: 0
; COMPUTE_PGM_RSRC2:USER_SGPR: 2
; COMPUTE_PGM_RSRC2:TRAP_HANDLER: 0
; COMPUTE_PGM_RSRC2:TGID_X_EN: 1
; COMPUTE_PGM_RSRC2:TGID_Y_EN: 1
; COMPUTE_PGM_RSRC2:TGID_Z_EN: 0
; COMPUTE_PGM_RSRC2:TIDIG_COMP_CNT: 1
	.section	.text._ZN2at6native12_GLOBAL__N_135GammaBetaBackwardCUDAKernelTemplateIffLj64ELj8ELj64ELb0ELb0ELb1EEEvllPKT_S5_PKT0_S8_PS3_S9_,"axG",@progbits,_ZN2at6native12_GLOBAL__N_135GammaBetaBackwardCUDAKernelTemplateIffLj64ELj8ELj64ELb0ELb0ELb1EEEvllPKT_S5_PKT0_S8_PS3_S9_,comdat
	.globl	_ZN2at6native12_GLOBAL__N_135GammaBetaBackwardCUDAKernelTemplateIffLj64ELj8ELj64ELb0ELb0ELb1EEEvllPKT_S5_PKT0_S8_PS3_S9_ ; -- Begin function _ZN2at6native12_GLOBAL__N_135GammaBetaBackwardCUDAKernelTemplateIffLj64ELj8ELj64ELb0ELb0ELb1EEEvllPKT_S5_PKT0_S8_PS3_S9_
	.p2align	8
	.type	_ZN2at6native12_GLOBAL__N_135GammaBetaBackwardCUDAKernelTemplateIffLj64ELj8ELj64ELb0ELb0ELb1EEEvllPKT_S5_PKT0_S8_PS3_S9_,@function
_ZN2at6native12_GLOBAL__N_135GammaBetaBackwardCUDAKernelTemplateIffLj64ELj8ELj64ELb0ELb0ELb1EEEvllPKT_S5_PKT0_S8_PS3_S9_: ; @_ZN2at6native12_GLOBAL__N_135GammaBetaBackwardCUDAKernelTemplateIffLj64ELj8ELj64ELb0ELb0ELb1EEEvllPKT_S5_PKT0_S8_PS3_S9_
; %bb.0:
	s_load_b256 s[4:11], s[0:1], 0x0
	s_bfe_u32 s3, ttmp6, 0x4000c
	s_bfe_u32 s12, ttmp6, 0x40010
	s_add_co_i32 s3, s3, 1
	s_add_co_i32 s12, s12, 1
	s_and_b32 s2, ttmp6, 15
	s_bfe_u32 s13, ttmp6, 0x40004
	s_mul_i32 s3, ttmp9, s3
	s_mul_i32 s12, ttmp7, s12
	s_getreg_b32 s14, hwreg(HW_REG_IB_STS2, 6, 4)
	s_add_co_i32 s2, s2, s3
	s_add_co_i32 s13, s13, s12
	s_cmp_eq_u32 s14, 0
	s_mov_b32 s17, 0
	s_cselect_b32 s12, ttmp9, s2
	s_cselect_b32 s2, ttmp7, s13
	s_lshl_b32 s3, s12, 6
	s_load_b64 s[14:15], s[0:1], 0x28
	s_or_b32 s16, s3, 63
	s_wait_kmcnt 0x0
	v_cmp_le_i64_e64 s18, s[6:7], s[16:17]
	s_lshl_b32 s16, s2, 6
	s_delay_alu instid0(SALU_CYCLE_1) | instskip(SKIP_2) | instid1(VALU_DEP_1)
	v_cmp_gt_i64_e64 s13, s[4:5], s[16:17]
	s_and_b32 vcc_lo, exec_lo, s18
	v_cndmask_b32_e64 v1, 0, 1, s13
	v_cmp_ne_u32_e64 s2, 1, v1
	s_cbranch_vccz .LBB147_49
; %bb.1:
	v_mov_b32_e32 v3, 0
	s_and_b32 vcc_lo, exec_lo, s2
	s_cbranch_vccnz .LBB147_50
; %bb.2:
	v_bfe_u32 v1, v0, 10, 10
	v_mov_b32_e32 v2, 0
	v_and_b32_e32 v64, 0x3ff, v0
	s_load_b32 s18, s[0:1], 0x44
	s_mov_b32 s19, 0
	s_delay_alu instid0(VALU_DEP_2) | instskip(NEXT) | instid1(VALU_DEP_2)
	v_dual_mov_b32 v27, v2 :: v_dual_lshlrev_b32 v26, 3, v1
	v_dual_mov_b32 v19, v2 :: v_dual_add_nc_u32 v18, s3, v64
	v_mov_b32_e32 v65, 0
	s_mov_b32 s35, s19
	s_delay_alu instid0(VALU_DEP_3)
	v_add_nc_u64_e32 v[4:5], s[16:17], v[26:27]
	s_add_nc_u64 s[20:21], s[0:1], 64
	v_cmp_gt_i64_e64 s2, s[6:7], v[18:19]
	v_lshlrev_b64_e32 v[28:29], 2, v[18:19]
	s_mov_b64 s[22:23], 0xffffffffffffffc1
	s_mov_b64 s[24:25], 0xffffffffffffffc2
	;; [unrolled: 1-line block ×3, first 2 shown]
	v_mul_u64_e32 v[6:7], s[6:7], v[4:5]
	v_add_nc_u64_e32 v[8:9], 7, v[4:5]
	v_add_nc_u64_e32 v[10:11], 6, v[4:5]
	;; [unrolled: 1-line block ×6, first 2 shown]
	s_wait_kmcnt 0x0
	s_lshl_b32 s34, s18, 6
	v_mul_u64_e32 v[8:9], s[6:7], v[8:9]
	v_mul_u64_e32 v[10:11], s[6:7], v[10:11]
	;; [unrolled: 1-line block ×6, first 2 shown]
	s_mul_u64 s[42:43], s[6:7], s[34:35]
	s_mov_b64 s[28:29], 0xffffffffffffffc4
	s_mov_b64 s[30:31], 0xffffffffffffffc5
	;; [unrolled: 1-line block ×5, first 2 shown]
	s_lshl_b64 s[42:43], s[42:43], 2
	s_add_nc_u64 s[44:45], s[16:17], 63
	s_mov_b64 s[46:47], s[16:17]
	v_lshlrev_b64_e32 v[20:21], 2, v[6:7]
	v_add_nc_u64_e32 v[6:7], s[6:7], v[6:7]
	s_delay_alu instid0(VALU_DEP_2)
	v_add_nc_u64_e32 v[30:31], s[8:9], v[20:21]
	v_lshlrev_b64_e32 v[8:9], 2, v[8:9]
	v_lshlrev_b64_e32 v[10:11], 2, v[10:11]
	;; [unrolled: 1-line block ×7, first 2 shown]
	v_add_nc_u64_e32 v[32:33], s[10:11], v[20:21]
	v_add_nc_u64_e32 v[34:35], s[8:9], v[8:9]
	;; [unrolled: 1-line block ×15, first 2 shown]
.LBB147_3:                              ; =>This Inner Loop Header: Depth=1
	v_cmp_ge_i64_e64 s18, s[44:45], s[4:5]
	v_add_nc_u64_e32 v[62:63], s[44:45], v[26:27]
                                        ; implicit-def: $vgpr3
                                        ; implicit-def: $vgpr10_vgpr11_vgpr12_vgpr13_vgpr14_vgpr15_vgpr16_vgpr17
                                        ; implicit-def: $vgpr18_vgpr19_vgpr20_vgpr21_vgpr22_vgpr23_vgpr24_vgpr25
                                        ; implicit-def: $vgpr4
	s_and_b32 vcc_lo, exec_lo, s18
	s_mov_b32 s18, -1
	s_cbranch_vccz .LBB147_25
; %bb.4:                                ;   in Loop: Header=BB147_3 Depth=1
	s_load_b32 s18, s[20:21], 0xc
	v_mov_b32_e32 v66, 0
	s_wait_kmcnt 0x0
	s_and_b32 s18, s18, 0xffff
	s_delay_alu instid0(SALU_CYCLE_1) | instskip(SKIP_1) | instid1(VALU_DEP_1)
	v_mad_u32_u24 v3, v1, s18, v64
	s_mov_b32 s18, exec_lo
	v_and_b32_e32 v4, 31, v3
	s_delay_alu instid0(VALU_DEP_1)
	v_cmpx_gt_u32_e32 8, v4
	s_cbranch_execz .LBB147_8
; %bb.5:                                ;   in Loop: Header=BB147_3 Depth=1
	v_dual_mov_b32 v5, v2 :: v_dual_mov_b32 v66, 0
	s_mov_b32 s33, exec_lo
	s_delay_alu instid0(VALU_DEP_1) | instskip(NEXT) | instid1(VALU_DEP_1)
	v_add_nc_u64_e32 v[4:5], v[62:63], v[4:5]
	v_add_nc_u64_e32 v[4:5], s[22:23], v[4:5]
	s_delay_alu instid0(VALU_DEP_1)
	v_cmpx_gt_i64_e64 s[4:5], v[4:5]
	s_cbranch_execz .LBB147_7
; %bb.6:                                ;   in Loop: Header=BB147_3 Depth=1
	v_lshl_add_u64 v[4:5], v[4:5], 2, s[14:15]
	global_load_b32 v66, v[4:5], off
.LBB147_7:                              ;   in Loop: Header=BB147_3 Depth=1
	s_wait_xcnt 0x0
	s_or_b32 exec_lo, exec_lo, s33
.LBB147_8:                              ;   in Loop: Header=BB147_3 Depth=1
	s_delay_alu instid0(SALU_CYCLE_1)
	s_or_b32 exec_lo, exec_lo, s18
	v_add_nc_u64_e32 v[10:11], s[22:23], v[62:63]
	v_dual_mov_b32 v7, v2 :: v_dual_mov_b32 v8, v2
	v_dual_mov_b32 v9, v2 :: v_dual_mov_b32 v3, v2
	;; [unrolled: 1-line block ×3, first 2 shown]
	v_mov_b32_e32 v6, v2
	v_cmp_gt_i64_e32 vcc_lo, s[4:5], v[10:11]
	s_delay_alu instid0(VALU_DEP_4)
	v_mov_b64_e32 v[16:17], v[8:9]
	v_mov_b64_e32 v[24:25], v[8:9]
	;; [unrolled: 1-line block ×8, first 2 shown]
	s_and_b32 s33, s2, vcc_lo
	s_delay_alu instid0(SALU_CYCLE_1)
	s_and_saveexec_b32 s18, s33
	s_cbranch_execz .LBB147_10
; %bb.9:                                ;   in Loop: Header=BB147_3 Depth=1
	v_add_nc_u64_e32 v[4:5], v[30:31], v[28:29]
	v_add_nc_u64_e32 v[6:7], v[32:33], v[28:29]
	v_dual_mov_b32 v19, v2 :: v_dual_mov_b32 v20, v2
	v_dual_mov_b32 v21, v2 :: v_dual_mov_b32 v22, v2
	;; [unrolled: 1-line block ×3, first 2 shown]
	global_load_b32 v18, v[4:5], off
	global_load_b32 v10, v[6:7], off
	v_dual_mov_b32 v25, v2 :: v_dual_mov_b32 v11, v2
	v_dual_mov_b32 v12, v2 :: v_dual_mov_b32 v13, v2
	;; [unrolled: 1-line block ×4, first 2 shown]
.LBB147_10:                             ;   in Loop: Header=BB147_3 Depth=1
	s_wait_xcnt 0x0
	s_or_b32 exec_lo, exec_lo, s18
	v_add_nc_u64_e32 v[4:5], s[24:25], v[62:63]
	s_delay_alu instid0(VALU_DEP_1) | instskip(SKIP_1) | instid1(SALU_CYCLE_1)
	v_cmp_gt_i64_e32 vcc_lo, s[4:5], v[4:5]
	s_and_b32 s33, s2, vcc_lo
	s_and_saveexec_b32 s18, s33
	s_cbranch_execz .LBB147_12
; %bb.11:                               ;   in Loop: Header=BB147_3 Depth=1
	v_add_nc_u64_e32 v[4:5], v[58:59], v[28:29]
	v_add_nc_u64_e32 v[6:7], v[60:61], v[28:29]
	global_load_b32 v19, v[4:5], off
	global_load_b32 v11, v[6:7], off
.LBB147_12:                             ;   in Loop: Header=BB147_3 Depth=1
	s_wait_xcnt 0x0
	s_or_b32 exec_lo, exec_lo, s18
	v_add_nc_u64_e32 v[4:5], s[26:27], v[62:63]
	s_delay_alu instid0(VALU_DEP_1) | instskip(SKIP_1) | instid1(SALU_CYCLE_1)
	v_cmp_gt_i64_e32 vcc_lo, s[4:5], v[4:5]
	s_and_b32 s33, s2, vcc_lo
	s_and_saveexec_b32 s18, s33
	s_cbranch_execz .LBB147_14
; %bb.13:                               ;   in Loop: Header=BB147_3 Depth=1
	v_add_nc_u64_e32 v[4:5], v[54:55], v[28:29]
	v_add_nc_u64_e32 v[6:7], v[56:57], v[28:29]
	global_load_b32 v20, v[4:5], off
	global_load_b32 v12, v[6:7], off
.LBB147_14:                             ;   in Loop: Header=BB147_3 Depth=1
	;; [unrolled: 14-line block ×7, first 2 shown]
	s_wait_xcnt 0x0
	s_or_b32 exec_lo, exec_lo, s18
	s_wait_loadcnt 0x0
	ds_bpermute_b32 v3, v2, v66
	ds_bpermute_b32 v4, v2, v66 offset:4
	ds_bpermute_b32 v5, v2, v66 offset:8
	;; [unrolled: 1-line block ×4, first 2 shown]
	v_pk_mul_f32 v[8:9], v[12:13], v[20:21]
	v_dual_mul_f32 v18, v10, v18 :: v_dual_mul_f32 v10, v11, v19
	v_pk_mul_f32 v[12:13], v[14:15], v[22:23]
	ds_bpermute_b32 v14, v2, v66 offset:20
	v_mov_b32_e32 v11, v8
	ds_bpermute_b32 v15, v2, v66 offset:24
	v_dual_mov_b32 v8, v9 :: v_dual_mov_b32 v9, v12
	s_mov_b32 s18, 0
	s_wait_dscnt 0x6
	v_fma_f32 v3, v18, v3, v65
	s_wait_dscnt 0x4
	v_pk_mul_f32 v[4:5], v[10:11], v[4:5]
	s_wait_dscnt 0x2
	v_pk_mul_f32 v[6:7], v[8:9], v[6:7]
	v_dual_mov_b32 v8, v13 :: v_dual_mul_f32 v9, v16, v24
	s_delay_alu instid0(VALU_DEP_3) | instskip(SKIP_2) | instid1(VALU_DEP_1)
	v_add_f32_e32 v3, v3, v4
	ds_bpermute_b32 v4, v2, v66 offset:28
	v_add_f32_e32 v3, v3, v5
	v_add_f32_e32 v3, v3, v6
	s_delay_alu instid0(VALU_DEP_1) | instskip(SKIP_2) | instid1(VALU_DEP_1)
	v_add_f32_e32 v3, v3, v7
	s_wait_dscnt 0x1
	v_pk_mul_f32 v[6:7], v[8:9], v[14:15]
	v_add_f32_e32 v3, v3, v6
	s_delay_alu instid0(VALU_DEP_1)
	v_add_f32_e32 v3, v3, v7
.LBB147_25:                             ;   in Loop: Header=BB147_3 Depth=1
	s_and_b32 vcc_lo, exec_lo, s18
	s_cbranch_vccz .LBB147_40
; %bb.26:                               ;   in Loop: Header=BB147_3 Depth=1
	s_load_b32 s18, s[20:21], 0x0
	v_mov_b32_e32 v66, 0
	s_wait_kmcnt 0x0
	s_cmp_lt_u32 s12, s18
	s_cselect_b32 s18, 12, 18
	s_delay_alu instid0(SALU_CYCLE_1)
	s_add_nc_u64 s[48:49], s[20:21], s[18:19]
	s_load_u16 s18, s[48:49], 0x0
	s_wait_kmcnt 0x0
	v_mad_u32_u24 v3, v1, s18, v64
	s_mov_b32 s18, exec_lo
	s_wait_dscnt 0x0
	s_delay_alu instid0(VALU_DEP_1) | instskip(NEXT) | instid1(VALU_DEP_1)
	v_and_b32_e32 v4, 31, v3
	v_cmpx_gt_u32_e32 8, v4
	s_cbranch_execz .LBB147_30
; %bb.27:                               ;   in Loop: Header=BB147_3 Depth=1
	v_dual_mov_b32 v5, v2 :: v_dual_mov_b32 v66, 0
	s_mov_b32 s33, exec_lo
	s_delay_alu instid0(VALU_DEP_1) | instskip(NEXT) | instid1(VALU_DEP_1)
	v_add_nc_u64_e32 v[4:5], v[62:63], v[4:5]
	v_add_nc_u64_e32 v[4:5], s[22:23], v[4:5]
	s_delay_alu instid0(VALU_DEP_1)
	v_cmpx_gt_i64_e64 s[4:5], v[4:5]
	s_cbranch_execz .LBB147_29
; %bb.28:                               ;   in Loop: Header=BB147_3 Depth=1
	v_lshl_add_u64 v[4:5], v[4:5], 2, s[14:15]
	global_load_b32 v66, v[4:5], off
.LBB147_29:                             ;   in Loop: Header=BB147_3 Depth=1
	s_wait_xcnt 0x0
	s_or_b32 exec_lo, exec_lo, s33
.LBB147_30:                             ;   in Loop: Header=BB147_3 Depth=1
	s_delay_alu instid0(SALU_CYCLE_1) | instskip(SKIP_4) | instid1(VALU_DEP_3)
	s_or_b32 exec_lo, exec_lo, s18
	v_dual_mov_b32 v7, v2 :: v_dual_mov_b32 v8, v2
	v_dual_mov_b32 v9, v2 :: v_dual_mov_b32 v3, v2
	;; [unrolled: 1-line block ×3, first 2 shown]
	v_mov_b32_e32 v6, v2
	v_mov_b64_e32 v[16:17], v[8:9]
	v_mov_b64_e32 v[24:25], v[8:9]
	;; [unrolled: 1-line block ×8, first 2 shown]
	s_and_saveexec_b32 s18, s2
	s_cbranch_execnz .LBB147_42
; %bb.31:                               ;   in Loop: Header=BB147_3 Depth=1
	s_or_b32 exec_lo, exec_lo, s18
	s_and_saveexec_b32 s18, s2
	s_cbranch_execnz .LBB147_43
.LBB147_32:                             ;   in Loop: Header=BB147_3 Depth=1
	s_or_b32 exec_lo, exec_lo, s18
	s_and_saveexec_b32 s18, s2
	s_cbranch_execnz .LBB147_44
.LBB147_33:                             ;   in Loop: Header=BB147_3 Depth=1
	s_or_b32 exec_lo, exec_lo, s18
	s_and_saveexec_b32 s18, s2
	s_cbranch_execnz .LBB147_45
.LBB147_34:                             ;   in Loop: Header=BB147_3 Depth=1
	s_or_b32 exec_lo, exec_lo, s18
	s_and_saveexec_b32 s18, s2
	s_cbranch_execnz .LBB147_46
.LBB147_35:                             ;   in Loop: Header=BB147_3 Depth=1
	s_or_b32 exec_lo, exec_lo, s18
	s_and_saveexec_b32 s18, s2
	s_cbranch_execnz .LBB147_47
.LBB147_36:                             ;   in Loop: Header=BB147_3 Depth=1
	s_or_b32 exec_lo, exec_lo, s18
	s_and_saveexec_b32 s18, s2
	s_cbranch_execnz .LBB147_48
.LBB147_37:                             ;   in Loop: Header=BB147_3 Depth=1
	s_or_b32 exec_lo, exec_lo, s18
	s_and_saveexec_b32 s18, s2
	s_cbranch_execz .LBB147_39
.LBB147_38:                             ;   in Loop: Header=BB147_3 Depth=1
	v_add_nc_u64_e32 v[4:5], v[34:35], v[28:29]
	v_add_nc_u64_e32 v[6:7], v[36:37], v[28:29]
	global_load_b32 v25, v[4:5], off
	global_load_b32 v17, v[6:7], off
.LBB147_39:                             ;   in Loop: Header=BB147_3 Depth=1
	s_wait_xcnt 0x0
	s_or_b32 exec_lo, exec_lo, s18
	s_wait_loadcnt 0x0
	ds_bpermute_b32 v3, v2, v66
	ds_bpermute_b32 v4, v2, v66 offset:4
	ds_bpermute_b32 v5, v2, v66 offset:8
	;; [unrolled: 1-line block ×4, first 2 shown]
	v_pk_mul_f32 v[8:9], v[12:13], v[20:21]
	v_dual_mul_f32 v18, v10, v18 :: v_dual_mul_f32 v10, v11, v19
	v_pk_mul_f32 v[12:13], v[14:15], v[22:23]
	ds_bpermute_b32 v14, v2, v66 offset:20
	v_mov_b32_e32 v11, v8
	ds_bpermute_b32 v15, v2, v66 offset:24
	v_dual_mov_b32 v8, v9 :: v_dual_mov_b32 v9, v12
	s_wait_dscnt 0x6
	v_fmac_f32_e32 v65, v18, v3
	s_wait_dscnt 0x4
	v_pk_mul_f32 v[4:5], v[10:11], v[4:5]
	s_wait_dscnt 0x2
	v_pk_mul_f32 v[6:7], v[8:9], v[6:7]
	v_dual_mul_f32 v9, v16, v24 :: v_dual_mov_b32 v8, v13
	s_delay_alu instid0(VALU_DEP_3) | instskip(SKIP_2) | instid1(VALU_DEP_1)
	v_add_f32_e32 v3, v65, v4
	ds_bpermute_b32 v4, v2, v66 offset:28
	v_add_f32_e32 v3, v3, v5
	v_add_f32_e32 v3, v3, v6
	s_delay_alu instid0(VALU_DEP_1) | instskip(SKIP_2) | instid1(VALU_DEP_1)
	v_add_f32_e32 v3, v3, v7
	s_wait_dscnt 0x1
	v_pk_mul_f32 v[6:7], v[8:9], v[14:15]
	v_add_f32_e32 v3, v3, v6
	s_delay_alu instid0(VALU_DEP_1)
	v_add_f32_e32 v3, v3, v7
.LBB147_40:                             ;   in Loop: Header=BB147_3 Depth=1
	s_add_nc_u64 s[46:47], s[46:47], s[34:35]
	v_mul_f32_e32 v5, v25, v17
	v_cmp_lt_i64_e64 s18, s[46:47], s[4:5]
	v_add_nc_u64_e32 v[30:31], s[42:43], v[30:31]
	v_add_nc_u64_e32 v[32:33], s[42:43], v[32:33]
	;; [unrolled: 1-line block ×16, first 2 shown]
	s_wait_dscnt 0x0
	v_fmac_f32_e32 v3, v5, v4
	s_and_b32 vcc_lo, exec_lo, s18
	s_add_nc_u64 s[44:45], s[44:45], s[34:35]
	s_cbranch_vccz .LBB147_50
; %bb.41:                               ;   in Loop: Header=BB147_3 Depth=1
	s_delay_alu instid0(VALU_DEP_1)
	v_mov_b32_e32 v65, v3
	s_branch .LBB147_3
.LBB147_42:                             ;   in Loop: Header=BB147_3 Depth=1
	v_add_nc_u64_e32 v[4:5], v[30:31], v[28:29]
	v_add_nc_u64_e32 v[6:7], v[32:33], v[28:29]
	v_dual_mov_b32 v19, v2 :: v_dual_mov_b32 v20, v2
	v_dual_mov_b32 v21, v2 :: v_dual_mov_b32 v22, v2
	;; [unrolled: 1-line block ×3, first 2 shown]
	global_load_b32 v18, v[4:5], off
	global_load_b32 v10, v[6:7], off
	v_dual_mov_b32 v25, v2 :: v_dual_mov_b32 v11, v2
	v_dual_mov_b32 v12, v2 :: v_dual_mov_b32 v13, v2
	v_dual_mov_b32 v14, v2 :: v_dual_mov_b32 v15, v2
	v_dual_mov_b32 v16, v2 :: v_dual_mov_b32 v17, v2
	s_wait_xcnt 0x0
	s_or_b32 exec_lo, exec_lo, s18
	s_and_saveexec_b32 s18, s2
	s_cbranch_execz .LBB147_32
.LBB147_43:                             ;   in Loop: Header=BB147_3 Depth=1
	v_add_nc_u64_e32 v[4:5], v[58:59], v[28:29]
	v_add_nc_u64_e32 v[6:7], v[60:61], v[28:29]
	global_load_b32 v19, v[4:5], off
	global_load_b32 v11, v[6:7], off
	s_wait_xcnt 0x0
	s_or_b32 exec_lo, exec_lo, s18
	s_and_saveexec_b32 s18, s2
	s_cbranch_execz .LBB147_33
.LBB147_44:                             ;   in Loop: Header=BB147_3 Depth=1
	v_add_nc_u64_e32 v[4:5], v[54:55], v[28:29]
	v_add_nc_u64_e32 v[6:7], v[56:57], v[28:29]
	global_load_b32 v20, v[4:5], off
	global_load_b32 v12, v[6:7], off
	s_wait_xcnt 0x0
	s_or_b32 exec_lo, exec_lo, s18
	s_and_saveexec_b32 s18, s2
	s_cbranch_execz .LBB147_34
.LBB147_45:                             ;   in Loop: Header=BB147_3 Depth=1
	v_add_nc_u64_e32 v[4:5], v[50:51], v[28:29]
	v_add_nc_u64_e32 v[6:7], v[52:53], v[28:29]
	global_load_b32 v21, v[4:5], off
	global_load_b32 v13, v[6:7], off
	s_wait_xcnt 0x0
	s_or_b32 exec_lo, exec_lo, s18
	s_and_saveexec_b32 s18, s2
	s_cbranch_execz .LBB147_35
.LBB147_46:                             ;   in Loop: Header=BB147_3 Depth=1
	v_add_nc_u64_e32 v[4:5], v[46:47], v[28:29]
	v_add_nc_u64_e32 v[6:7], v[48:49], v[28:29]
	global_load_b32 v22, v[4:5], off
	global_load_b32 v14, v[6:7], off
	s_wait_xcnt 0x0
	s_or_b32 exec_lo, exec_lo, s18
	s_and_saveexec_b32 s18, s2
	s_cbranch_execz .LBB147_36
.LBB147_47:                             ;   in Loop: Header=BB147_3 Depth=1
	v_add_nc_u64_e32 v[4:5], v[42:43], v[28:29]
	v_add_nc_u64_e32 v[6:7], v[44:45], v[28:29]
	global_load_b32 v23, v[4:5], off
	global_load_b32 v15, v[6:7], off
	s_wait_xcnt 0x0
	s_or_b32 exec_lo, exec_lo, s18
	s_and_saveexec_b32 s18, s2
	s_cbranch_execz .LBB147_37
.LBB147_48:                             ;   in Loop: Header=BB147_3 Depth=1
	v_add_nc_u64_e32 v[4:5], v[38:39], v[28:29]
	v_add_nc_u64_e32 v[6:7], v[40:41], v[28:29]
	global_load_b32 v24, v[4:5], off
	global_load_b32 v16, v[6:7], off
	s_wait_xcnt 0x0
	s_or_b32 exec_lo, exec_lo, s18
	s_and_saveexec_b32 s18, s2
	s_cbranch_execnz .LBB147_38
	s_branch .LBB147_39
.LBB147_49:
                                        ; implicit-def: $vgpr3
	s_branch .LBB147_51
.LBB147_50:
	s_cbranch_execnz .LBB147_83
.LBB147_51:
	v_mov_b32_e32 v3, 0
	s_and_not1_b32 vcc_lo, exec_lo, s13
	s_cbranch_vccnz .LBB147_83
; %bb.52:
	v_bfe_u32 v1, v0, 10, 10
	v_mov_b32_e32 v2, 0
	v_and_b32_e32 v92, 0x3ff, v0
	s_load_b32 s2, s[0:1], 0x44
	s_mov_b64 s[20:21], 0xffffffffffffffc3
	s_delay_alu instid0(VALU_DEP_2) | instskip(SKIP_3) | instid1(VALU_DEP_2)
	v_dual_mov_b32 v5, v2 :: v_dual_lshlrev_b32 v4, 5, v1
	v_dual_mov_b32 v27, v2 :: v_dual_lshlrev_b32 v26, 3, v1
	s_mov_b64 s[22:23], 0xffffffffffffffc4
	s_mov_b64 s[24:25], 0xffffffffffffffc5
	v_lshl_add_u64 v[4:5], s[16:17], 2, v[4:5]
	s_mov_b64 s[26:27], 0xffffffffffffffc6
	s_mov_b64 s[28:29], 0xffffffffffffffc7
	s_mov_b64 s[30:31], 0xffffffffffffffc8
	s_add_nc_u64 s[34:35], s[0:1], 64
	v_add_nc_u64_e32 v[10:11], 8, v[4:5]
	v_add_nc_u64_e32 v[12:13], 12, v[4:5]
	;; [unrolled: 1-line block ×7, first 2 shown]
	v_mad_nc_u64_u32 v[30:31], s6, v10, s[8:9]
	v_mul_lo_u32 v25, s6, v11
	v_mul_lo_u32 v52, s7, v10
	v_mad_nc_u64_u32 v[32:33], s6, v12, s[8:9]
	v_mul_lo_u32 v53, s6, v13
	v_mul_lo_u32 v54, s7, v12
	;; [unrolled: 3-line block ×3, first 2 shown]
	v_mad_nc_u64_u32 v[40:41], s6, v10, s[10:11]
	v_mad_nc_u64_u32 v[42:43], s6, v12, s[10:11]
	;; [unrolled: 1-line block ×4, first 2 shown]
	v_add3_u32 v31, v52, v31, v25
	v_mul_lo_u32 v58, s7, v18
	v_mad_nc_u64_u32 v[50:51], s6, v18, s[10:11]
	v_add3_u32 v33, v54, v33, v53
	v_mul_lo_u32 v18, s7, v4
	v_mad_nc_u64_u32 v[28:29], s6, v6, s[8:9]
	v_add3_u32 v35, v56, v35, v55
	v_add3_u32 v41, v52, v41, v25
	;; [unrolled: 1-line block ×3, first 2 shown]
	v_mad_nc_u64_u32 v[52:53], s6, v4, s[8:9]
	v_add3_u32 v47, v56, v47, v55
	v_mad_nc_u64_u32 v[54:55], s6, v4, s[10:11]
	v_add_nc_u32_e32 v4, s3, v92
	v_add_nc_u64_e32 v[8:9], s[16:17], v[26:27]
	v_mul_lo_u32 v3, s6, v7
	v_mul_lo_u32 v24, s7, v6
	v_mad_nc_u64_u32 v[38:39], s6, v6, s[10:11]
	v_mad_nc_u64_u32 v[36:37], s6, v16, s[8:9]
	v_mul_lo_u32 v17, s6, v17
	v_mul_lo_u32 v57, s7, v16
	v_add_nc_u64_e32 v[6:7], 7, v[8:9]
	v_add_nc_u64_e32 v[10:11], 6, v[8:9]
	;; [unrolled: 1-line block ×3, first 2 shown]
	v_mul_u64_e32 v[20:21], s[6:7], v[8:9]
	v_add_nc_u64_e32 v[22:23], 4, v[8:9]
	v_add_nc_u64_e32 v[14:15], 3, v[8:9]
	;; [unrolled: 1-line block ×3, first 2 shown]
	v_mul_u64_e32 v[6:7], s[6:7], v[6:7]
	v_mul_u64_e32 v[10:11], s[6:7], v[10:11]
	;; [unrolled: 1-line block ×3, first 2 shown]
	v_mad_nc_u64_u32 v[48:49], s6, v16, s[10:11]
	v_mul_u64_e32 v[22:23], s[6:7], v[22:23]
	v_mul_u64_e32 v[14:15], s[6:7], v[14:15]
	;; [unrolled: 1-line block ×3, first 2 shown]
	v_add3_u32 v29, v24, v29, v3
	v_add3_u32 v39, v24, v39, v3
	v_mul_lo_u32 v3, s6, v5
	v_dual_mov_b32 v5, v2 :: v_dual_mov_b32 v93, 0
	v_add3_u32 v37, v57, v37, v17
	v_mul_lo_u32 v19, s6, v19
	v_add3_u32 v49, v57, v49, v17
	s_delay_alu instid0(VALU_DEP_4)
	v_lshlrev_b64_e32 v[56:57], 2, v[4:5]
	s_mov_b32 s3, 0
	s_wait_kmcnt 0x0
	s_lshl_b32 s18, s2, 6
	s_mov_b32 s19, s3
	s_add_nc_u64 s[38:39], s[16:17], 63
	v_add3_u32 v53, v18, v53, v3
	v_add3_u32 v55, v18, v55, v3
	s_mul_u64 s[36:37], s[6:7], s[18:19]
	v_add3_u32 v45, v58, v45, v19
	v_add3_u32 v51, v58, v51, v19
	s_lshl_b64 s[36:37], s[36:37], 2
	v_lshlrev_b64_e32 v[16:17], 2, v[20:21]
	v_lshlrev_b64_e32 v[6:7], 2, v[6:7]
	;; [unrolled: 1-line block ×3, first 2 shown]
	s_delay_alu instid0(VALU_DEP_3)
	v_add_nc_u64_e32 v[58:59], s[8:9], v[16:17]
	v_lshlrev_b64_e32 v[10:11], 2, v[22:23]
	v_add_nc_u64_e32 v[60:61], s[10:11], v[16:17]
	v_lshlrev_b64_e32 v[8:9], 2, v[8:9]
	v_add_nc_u64_e32 v[62:63], s[8:9], v[6:7]
	v_add_nc_u64_e32 v[64:65], s[10:11], v[6:7]
	v_lshlrev_b64_e32 v[6:7], 2, v[12:13]
	v_add_nc_u64_e32 v[12:13], s[6:7], v[20:21]
	v_add_nc_u64_e32 v[66:67], s[8:9], v[4:5]
	;; [unrolled: 1-line block ×3, first 2 shown]
	v_lshlrev_b64_e32 v[4:5], 2, v[14:15]
	v_add_nc_u64_e32 v[74:75], s[8:9], v[10:11]
	v_add_nc_u64_e32 v[76:77], s[10:11], v[10:11]
	;; [unrolled: 1-line block ×4, first 2 shown]
	v_lshlrev_b64_e32 v[6:7], 2, v[12:13]
	v_add_nc_u64_e32 v[82:83], s[8:9], v[8:9]
	v_add_nc_u64_e32 v[78:79], s[8:9], v[4:5]
	;; [unrolled: 1-line block ×6, first 2 shown]
	s_mov_b64 s[8:9], 0xffffffffffffffc1
	s_mov_b64 s[10:11], 0xffffffffffffffc2
.LBB147_53:                             ; =>This Inner Loop Header: Depth=1
	v_cmp_ge_i64_e64 s2, s[38:39], s[4:5]
	v_add_nc_u64_e32 v[90:91], s[38:39], v[26:27]
                                        ; implicit-def: $vgpr3
	s_and_b32 vcc_lo, exec_lo, s2
	s_mov_b32 s2, -1
	s_cbranch_vccz .LBB147_75
; %bb.54:                               ;   in Loop: Header=BB147_53 Depth=1
	s_load_b32 s2, s[34:35], 0xc
	v_mov_b32_e32 v94, 0
	s_wait_kmcnt 0x0
	s_and_b32 s2, s2, 0xffff
	s_delay_alu instid0(SALU_CYCLE_1) | instskip(SKIP_1) | instid1(VALU_DEP_1)
	v_mad_u32_u24 v3, v1, s2, v92
	s_mov_b32 s2, exec_lo
	v_and_b32_e32 v4, 31, v3
	s_delay_alu instid0(VALU_DEP_1)
	v_cmpx_gt_u32_e32 8, v4
	s_cbranch_execz .LBB147_58
; %bb.55:                               ;   in Loop: Header=BB147_53 Depth=1
	v_dual_mov_b32 v5, v2 :: v_dual_mov_b32 v94, 0
	s_mov_b32 s13, exec_lo
	s_delay_alu instid0(VALU_DEP_1) | instskip(NEXT) | instid1(VALU_DEP_1)
	v_add_nc_u64_e32 v[4:5], v[90:91], v[4:5]
	v_add_nc_u64_e32 v[4:5], s[8:9], v[4:5]
	s_delay_alu instid0(VALU_DEP_1)
	v_cmpx_gt_i64_e64 s[4:5], v[4:5]
	s_cbranch_execz .LBB147_57
; %bb.56:                               ;   in Loop: Header=BB147_53 Depth=1
	v_lshl_add_u64 v[4:5], v[4:5], 2, s[14:15]
	global_load_b32 v94, v[4:5], off
.LBB147_57:                             ;   in Loop: Header=BB147_53 Depth=1
	s_wait_xcnt 0x0
	s_or_b32 exec_lo, exec_lo, s13
.LBB147_58:                             ;   in Loop: Header=BB147_53 Depth=1
	s_delay_alu instid0(SALU_CYCLE_1)
	s_or_b32 exec_lo, exec_lo, s2
	v_add_nc_u64_e32 v[10:11], s[8:9], v[90:91]
	v_dual_mov_b32 v7, v2 :: v_dual_mov_b32 v8, v2
	v_dual_mov_b32 v9, v2 :: v_dual_mov_b32 v3, v2
	;; [unrolled: 1-line block ×3, first 2 shown]
	v_mov_b32_e32 v6, v2
	v_cmp_gt_i64_e32 vcc_lo, s[4:5], v[10:11]
	s_delay_alu instid0(VALU_DEP_4)
	v_mov_b64_e32 v[16:17], v[8:9]
	v_mov_b64_e32 v[24:25], v[8:9]
	;; [unrolled: 1-line block ×8, first 2 shown]
	s_and_saveexec_b32 s2, vcc_lo
	s_cbranch_execz .LBB147_60
; %bb.59:                               ;   in Loop: Header=BB147_53 Depth=1
	v_add_nc_u64_e32 v[4:5], v[58:59], v[56:57]
	v_add_nc_u64_e32 v[6:7], v[60:61], v[56:57]
	v_dual_mov_b32 v19, v2 :: v_dual_mov_b32 v20, v2
	v_dual_mov_b32 v21, v2 :: v_dual_mov_b32 v22, v2
	;; [unrolled: 1-line block ×3, first 2 shown]
	global_load_b32 v18, v[4:5], off
	global_load_b32 v10, v[6:7], off
	v_dual_mov_b32 v25, v2 :: v_dual_mov_b32 v11, v2
	v_dual_mov_b32 v12, v2 :: v_dual_mov_b32 v13, v2
	;; [unrolled: 1-line block ×4, first 2 shown]
.LBB147_60:                             ;   in Loop: Header=BB147_53 Depth=1
	s_wait_xcnt 0x0
	s_or_b32 exec_lo, exec_lo, s2
	v_add_nc_u64_e32 v[4:5], s[10:11], v[90:91]
	s_mov_b32 s2, exec_lo
	s_delay_alu instid0(VALU_DEP_1)
	v_cmpx_gt_i64_e64 s[4:5], v[4:5]
	s_cbranch_execz .LBB147_62
; %bb.61:                               ;   in Loop: Header=BB147_53 Depth=1
	v_add_nc_u64_e32 v[4:5], v[86:87], v[56:57]
	v_add_nc_u64_e32 v[6:7], v[88:89], v[56:57]
	global_load_b32 v19, v[4:5], off
	global_load_b32 v11, v[6:7], off
.LBB147_62:                             ;   in Loop: Header=BB147_53 Depth=1
	s_wait_xcnt 0x0
	s_or_b32 exec_lo, exec_lo, s2
	v_add_nc_u64_e32 v[4:5], s[20:21], v[90:91]
	s_mov_b32 s2, exec_lo
	s_delay_alu instid0(VALU_DEP_1)
	v_cmpx_gt_i64_e64 s[4:5], v[4:5]
	s_cbranch_execz .LBB147_64
; %bb.63:                               ;   in Loop: Header=BB147_53 Depth=1
	v_add_nc_u64_e32 v[4:5], v[82:83], v[56:57]
	v_add_nc_u64_e32 v[6:7], v[84:85], v[56:57]
	global_load_b32 v20, v[4:5], off
	global_load_b32 v12, v[6:7], off
.LBB147_64:                             ;   in Loop: Header=BB147_53 Depth=1
	s_wait_xcnt 0x0
	s_or_b32 exec_lo, exec_lo, s2
	v_add_nc_u64_e32 v[4:5], s[22:23], v[90:91]
	s_mov_b32 s2, exec_lo
	s_delay_alu instid0(VALU_DEP_1)
	v_cmpx_gt_i64_e64 s[4:5], v[4:5]
	s_cbranch_execz .LBB147_66
; %bb.65:                               ;   in Loop: Header=BB147_53 Depth=1
	v_add_nc_u64_e32 v[4:5], v[78:79], v[56:57]
	v_add_nc_u64_e32 v[6:7], v[80:81], v[56:57]
	global_load_b32 v21, v[4:5], off
	global_load_b32 v13, v[6:7], off
.LBB147_66:                             ;   in Loop: Header=BB147_53 Depth=1
	s_wait_xcnt 0x0
	s_or_b32 exec_lo, exec_lo, s2
	v_add_nc_u64_e32 v[4:5], s[24:25], v[90:91]
	s_mov_b32 s2, exec_lo
	s_delay_alu instid0(VALU_DEP_1)
	v_cmpx_gt_i64_e64 s[4:5], v[4:5]
	s_cbranch_execz .LBB147_68
; %bb.67:                               ;   in Loop: Header=BB147_53 Depth=1
	v_add_nc_u64_e32 v[4:5], v[74:75], v[56:57]
	v_add_nc_u64_e32 v[6:7], v[76:77], v[56:57]
	global_load_b32 v22, v[4:5], off
	global_load_b32 v14, v[6:7], off
.LBB147_68:                             ;   in Loop: Header=BB147_53 Depth=1
	s_wait_xcnt 0x0
	s_or_b32 exec_lo, exec_lo, s2
	v_add_nc_u64_e32 v[4:5], s[26:27], v[90:91]
	s_mov_b32 s2, exec_lo
	s_delay_alu instid0(VALU_DEP_1)
	v_cmpx_gt_i64_e64 s[4:5], v[4:5]
	s_cbranch_execz .LBB147_70
; %bb.69:                               ;   in Loop: Header=BB147_53 Depth=1
	v_add_nc_u64_e32 v[4:5], v[70:71], v[56:57]
	v_add_nc_u64_e32 v[6:7], v[72:73], v[56:57]
	global_load_b32 v23, v[4:5], off
	global_load_b32 v15, v[6:7], off
.LBB147_70:                             ;   in Loop: Header=BB147_53 Depth=1
	s_wait_xcnt 0x0
	s_or_b32 exec_lo, exec_lo, s2
	v_add_nc_u64_e32 v[4:5], s[28:29], v[90:91]
	s_mov_b32 s2, exec_lo
	s_delay_alu instid0(VALU_DEP_1)
	v_cmpx_gt_i64_e64 s[4:5], v[4:5]
	s_cbranch_execz .LBB147_72
; %bb.71:                               ;   in Loop: Header=BB147_53 Depth=1
	v_add_nc_u64_e32 v[4:5], v[66:67], v[56:57]
	v_add_nc_u64_e32 v[6:7], v[68:69], v[56:57]
	global_load_b32 v24, v[4:5], off
	global_load_b32 v16, v[6:7], off
.LBB147_72:                             ;   in Loop: Header=BB147_53 Depth=1
	s_wait_xcnt 0x0
	s_or_b32 exec_lo, exec_lo, s2
	v_add_nc_u64_e32 v[4:5], s[30:31], v[90:91]
	s_mov_b32 s2, exec_lo
	s_delay_alu instid0(VALU_DEP_1)
	v_cmpx_gt_i64_e64 s[4:5], v[4:5]
	s_cbranch_execz .LBB147_74
; %bb.73:                               ;   in Loop: Header=BB147_53 Depth=1
	v_add_nc_u64_e32 v[4:5], v[62:63], v[56:57]
	v_add_nc_u64_e32 v[6:7], v[64:65], v[56:57]
	global_load_b32 v25, v[4:5], off
	global_load_b32 v17, v[6:7], off
.LBB147_74:                             ;   in Loop: Header=BB147_53 Depth=1
	s_wait_xcnt 0x0
	s_or_b32 exec_lo, exec_lo, s2
	s_wait_loadcnt 0x0
	ds_bpermute_b32 v4, v2, v94
	ds_bpermute_b32 v5, v2, v94 offset:4
	ds_bpermute_b32 v6, v2, v94 offset:8
	;; [unrolled: 1-line block ×3, first 2 shown]
	v_pk_mul_f32 v[8:9], v[10:11], v[18:19]
	ds_bpermute_b32 v10, v2, v94 offset:16
	ds_bpermute_b32 v11, v2, v94 offset:20
	s_mov_b32 s2, 0
	s_wait_dscnt 0x4
	v_pk_mul_f32 v[4:5], v[8:9], v[4:5]
	v_pk_mul_f32 v[8:9], v[12:13], v[20:21]
	s_delay_alu instid0(VALU_DEP_2)
	v_add_f32_e32 v3, v93, v4
	ds_bpermute_b32 v4, v2, v94 offset:24
	s_wait_dscnt 0x3
	v_pk_mul_f32 v[6:7], v[8:9], v[6:7]
	v_pk_mul_f32 v[8:9], v[14:15], v[22:23]
	v_add_f32_e32 v3, v3, v5
	ds_bpermute_b32 v5, v2, v94 offset:28
	s_wait_dscnt 0x2
	v_pk_mul_f32 v[8:9], v[8:9], v[10:11]
	v_add_f32_e32 v3, v3, v6
	s_delay_alu instid0(VALU_DEP_1) | instskip(SKIP_1) | instid1(VALU_DEP_2)
	v_add_f32_e32 v3, v3, v7
	v_pk_mul_f32 v[6:7], v[16:17], v[24:25]
	v_add_f32_e32 v3, v3, v8
	s_delay_alu instid0(VALU_DEP_1) | instskip(SKIP_1) | instid1(VALU_DEP_3)
	v_add_f32_e32 v3, v3, v9
	s_wait_dscnt 0x0
	v_pk_mul_f32 v[4:5], v[6:7], v[4:5]
	s_delay_alu instid0(VALU_DEP_1) | instskip(NEXT) | instid1(VALU_DEP_1)
	v_add_f32_e32 v3, v3, v4
	v_add_f32_e32 v3, v3, v5
.LBB147_75:                             ;   in Loop: Header=BB147_53 Depth=1
	s_and_b32 vcc_lo, exec_lo, s2
	s_cbranch_vccz .LBB147_81
; %bb.76:                               ;   in Loop: Header=BB147_53 Depth=1
	s_load_b32 s2, s[34:35], 0x0
	s_wait_kmcnt 0x0
	s_cmp_lt_u32 s12, s2
	s_cselect_b32 s2, 12, 18
	s_delay_alu instid0(SALU_CYCLE_1) | instskip(SKIP_4) | instid1(VALU_DEP_1)
	s_add_nc_u64 s[40:41], s[34:35], s[2:3]
	s_load_u16 s2, s[40:41], 0x0
	s_wait_kmcnt 0x0
	v_mad_u32_u24 v3, v1, s2, v92
	s_mov_b32 s2, exec_lo
	v_dual_mov_b32 v3, 0 :: v_dual_bitop2_b32 v4, 31, v3 bitop3:0x40
	s_delay_alu instid0(VALU_DEP_1)
	v_cmpx_gt_u32_e32 8, v4
	s_cbranch_execz .LBB147_80
; %bb.77:                               ;   in Loop: Header=BB147_53 Depth=1
	v_dual_mov_b32 v5, v2 :: v_dual_mov_b32 v3, 0
	s_mov_b32 s13, exec_lo
	s_delay_alu instid0(VALU_DEP_1) | instskip(NEXT) | instid1(VALU_DEP_1)
	v_add_nc_u64_e32 v[4:5], v[90:91], v[4:5]
	v_add_nc_u64_e32 v[4:5], s[8:9], v[4:5]
	s_delay_alu instid0(VALU_DEP_1)
	v_cmpx_gt_i64_e64 s[4:5], v[4:5]
	s_cbranch_execz .LBB147_79
; %bb.78:                               ;   in Loop: Header=BB147_53 Depth=1
	v_lshl_add_u64 v[4:5], v[4:5], 2, s[14:15]
	global_load_b32 v3, v[4:5], off
.LBB147_79:                             ;   in Loop: Header=BB147_53 Depth=1
	s_wait_xcnt 0x0
	s_or_b32 exec_lo, exec_lo, s13
.LBB147_80:                             ;   in Loop: Header=BB147_53 Depth=1
	s_delay_alu instid0(SALU_CYCLE_1)
	s_or_b32 exec_lo, exec_lo, s2
	v_add_nc_u64_e32 v[4:5], v[58:59], v[56:57]
	v_add_nc_u64_e32 v[6:7], v[60:61], v[56:57]
	;; [unrolled: 1-line block ×5, first 2 shown]
	global_load_b32 v12, v[4:5], off
	global_load_b32 v14, v[6:7], off
	;; [unrolled: 1-line block ×4, first 2 shown]
	s_wait_xcnt 0x3
	v_add_nc_u64_e32 v[4:5], v[30:31], v[56:57]
	s_wait_xcnt 0x2
	v_add_nc_u64_e32 v[6:7], v[40:41], v[56:57]
	;; [unrolled: 2-line block ×4, first 2 shown]
	global_load_b32 v18, v[4:5], off
	global_load_b32 v20, v[6:7], off
	;; [unrolled: 1-line block ×4, first 2 shown]
	s_wait_xcnt 0x3
	v_add_nc_u64_e32 v[4:5], v[46:47], v[56:57]
	s_wait_xcnt 0x2
	v_add_nc_u64_e32 v[6:7], v[36:37], v[56:57]
	;; [unrolled: 2-line block ×3, first 2 shown]
	global_load_b32 v10, v[16:17], off
	global_load_b32 v22, v[4:5], off
	;; [unrolled: 1-line block ×4, first 2 shown]
	s_wait_xcnt 0x2
	v_add_nc_u64_e32 v[4:5], v[44:45], v[56:57]
	s_wait_xcnt 0x1
	v_add_nc_u64_e32 v[6:7], v[50:51], v[56:57]
	;; [unrolled: 2-line block ×3, first 2 shown]
	v_add_nc_u64_e32 v[16:17], v[54:55], v[56:57]
	global_load_b32 v24, v[4:5], off
	global_load_b32 v90, v[6:7], off
	;; [unrolled: 1-line block ×4, first 2 shown]
	s_wait_loadcnt 0x10
	s_wait_xcnt 0x3
	ds_bpermute_b32 v4, v2, v3
	ds_bpermute_b32 v5, v2, v3 offset:4
	s_wait_xcnt 0x2
	ds_bpermute_b32 v6, v2, v3 offset:8
	ds_bpermute_b32 v7, v2, v3 offset:12
	s_wait_loadcnt 0xc
	s_wait_xcnt 0x1
	v_pk_mul_f32 v[8:9], v[12:13], v[14:15]
	ds_bpermute_b32 v12, v2, v3 offset:16
	ds_bpermute_b32 v13, v2, v3 offset:20
	s_wait_dscnt 0x4
	v_pk_mul_f32 v[4:5], v[8:9], v[4:5]
	s_wait_loadcnt 0x8
	v_pk_mul_f32 v[8:9], v[18:19], v[20:21]
	s_wait_dscnt 0x2
	s_delay_alu instid0(VALU_DEP_1)
	v_pk_mul_f32 v[6:7], v[8:9], v[6:7]
	v_add_f32_e32 v14, v93, v4
	s_wait_loadcnt 0x4
	v_pk_mul_f32 v[8:9], v[10:11], v[22:23]
	ds_bpermute_b32 v4, v2, v3 offset:24
	s_wait_dscnt 0x1
	v_pk_mul_f32 v[8:9], v[8:9], v[12:13]
	v_add_f32_e32 v14, v14, v5
	ds_bpermute_b32 v5, v2, v3 offset:28
	v_add_f32_e32 v3, v14, v6
	s_delay_alu instid0(VALU_DEP_1) | instskip(SKIP_2) | instid1(VALU_DEP_2)
	v_add_f32_e32 v3, v3, v7
	s_wait_loadcnt 0x0
	v_pk_mul_f32 v[6:7], v[24:25], v[90:91]
	v_add_f32_e32 v3, v3, v8
	s_delay_alu instid0(VALU_DEP_1) | instskip(SKIP_1) | instid1(VALU_DEP_3)
	v_add_f32_e32 v3, v3, v9
	s_wait_dscnt 0x0
	v_pk_mul_f32 v[4:5], v[6:7], v[4:5]
	s_delay_alu instid0(VALU_DEP_1) | instskip(NEXT) | instid1(VALU_DEP_1)
	v_add_f32_e32 v3, v3, v4
	v_add_f32_e32 v3, v3, v5
.LBB147_81:                             ;   in Loop: Header=BB147_53 Depth=1
	s_add_nc_u64 s[16:17], s[16:17], s[18:19]
	v_add_nc_u64_e32 v[58:59], s[36:37], v[58:59]
	v_cmp_ge_i64_e64 s2, s[16:17], s[4:5]
	v_add_nc_u64_e32 v[60:61], s[36:37], v[60:61]
	v_add_nc_u64_e32 v[28:29], s[36:37], v[28:29]
	;; [unrolled: 1-line block ×29, first 2 shown]
	s_and_b32 vcc_lo, exec_lo, s2
	s_add_nc_u64 s[38:39], s[38:39], s[18:19]
	s_cbranch_vccnz .LBB147_83
; %bb.82:                               ;   in Loop: Header=BB147_53 Depth=1
	v_mov_b32_e32 v93, v3
	s_branch .LBB147_53
.LBB147_83:
	v_and_b32_e32 v1, 0x3ff, v0
	v_bfe_u32 v0, v0, 10, 10
	s_mov_b32 s2, exec_lo
	s_delay_alu instid0(VALU_DEP_1) | instskip(NEXT) | instid1(VALU_DEP_1)
	v_mad_u32_u24 v2, 0x41, v0, v1
	v_dual_mov_b32 v6, 0 :: v_dual_sub_nc_u32 v4, v2, v0
	v_lshl_add_u32 v5, v2, 2, 0
	ds_store_b32 v5, v3
	ds_store_b32 v5, v6 offset:2080
	s_wait_dscnt 0x0
	s_barrier_signal -1
	s_barrier_wait -1
	v_cmpx_gt_u32_e32 0x800, v4
	s_cbranch_execz .LBB147_103
; %bb.84:
	s_load_b64 s[2:3], s[0:1], 0x30
	v_dual_lshrrev_b32 v0, 5, v4 :: v_dual_bitop2_b32 v2, 31, v1 bitop3:0x40
	s_delay_alu instid0(VALU_DEP_1)
	v_cmp_gt_u32_e32 vcc_lo, 8, v2
	v_mul_u32_u24_e32 v5, 0x41, v2
                                        ; implicit-def: $vgpr2
	s_wait_xcnt 0x0
	s_and_saveexec_b32 s0, vcc_lo
; %bb.85:
	s_delay_alu instid0(VALU_DEP_1) | instskip(NEXT) | instid1(VALU_DEP_1)
	v_dual_lshlrev_b32 v2, 2, v0 :: v_dual_lshlrev_b32 v3, 2, v5
	v_add3_u32 v2, 0, v2, v3
	ds_load_b32 v2, v2
; %bb.86:
	s_or_b32 exec_lo, exec_lo, s0
	v_mbcnt_lo_u32_b32 v3, -1, 0
	s_mov_b32 s13, 0
	s_delay_alu instid0(SALU_CYCLE_1)
	s_lshl_b64 s[4:5], s[12:13], 6
	s_wait_kmcnt 0x0
	s_cmp_eq_u64 s[2:3], 0
	v_xor_b32_e32 v6, 4, v3
	v_xor_b32_e32 v9, 1, v3
	s_cselect_b32 s8, -1, 0
	v_xor_b32_e32 v7, 2, v3
	s_delay_alu instid0(VALU_DEP_3) | instskip(NEXT) | instid1(VALU_DEP_1)
	v_cmp_gt_i32_e64 s0, 32, v6
	v_cndmask_b32_e64 v6, v3, v6, s0
	s_delay_alu instid0(VALU_DEP_3) | instskip(NEXT) | instid1(VALU_DEP_1)
	v_cmp_gt_i32_e64 s0, 32, v7
	v_dual_lshlrev_b32 v6, 2, v6 :: v_dual_cndmask_b32 v7, v3, v7, s0
	v_cmp_gt_i32_e64 s0, 32, v9
	s_wait_dscnt 0x0
	ds_bpermute_b32 v8, v6, v2
	v_dual_lshlrev_b32 v7, 2, v7 :: v_dual_cndmask_b32 v3, v3, v9, s0
	v_cmp_ne_u32_e64 s0, 0, v1
	s_wait_dscnt 0x0
	v_add_f32_e32 v2, v2, v8
	ds_bpermute_b32 v8, v7, v2
	s_wait_dscnt 0x0
	v_dual_add_f32 v9, v2, v8 :: v_dual_lshlrev_b32 v8, 2, v3
	v_mov_b32_e32 v3, s5
	ds_bpermute_b32 v10, v8, v9
	s_wait_dscnt 0x0
	v_dual_add_f32 v9, v9, v10 :: v_dual_bitop2_b32 v2, s4, v0 bitop3:0x54
	s_delay_alu instid0(VALU_DEP_1) | instskip(SKIP_1) | instid1(SALU_CYCLE_1)
	v_cmp_le_i64_e64 s1, s[6:7], v[2:3]
	s_or_b32 s1, s0, s1
	s_nor_b32 s9, s8, s1
	s_delay_alu instid0(SALU_CYCLE_1)
	s_and_saveexec_b32 s1, s9
	s_cbranch_execz .LBB147_88
; %bb.87:
	v_lshl_add_u64 v[2:3], v[2:3], 2, s[2:3]
	global_store_b32 v[2:3], v9, off
.LBB147_88:
	s_wait_xcnt 0x0
	s_or_b32 exec_lo, exec_lo, s1
	v_cmp_gt_u32_e64 s1, 0x600, v4
	s_and_b32 exec_lo, exec_lo, s1
	s_cbranch_execz .LBB147_103
; %bb.89:
	v_mov_b32_e32 v1, 0
	s_and_saveexec_b32 s1, vcc_lo
; %bb.90:
	v_dual_lshlrev_b32 v2, 2, v0 :: v_dual_lshlrev_b32 v3, 2, v5
	s_delay_alu instid0(VALU_DEP_1)
	v_add3_u32 v2, 0, v2, v3
	ds_load_b32 v9, v2 offset:64
; %bb.91:
	s_or_b32 exec_lo, exec_lo, s1
	s_wait_dscnt 0x0
	ds_bpermute_b32 v2, v6, v9
	s_wait_dscnt 0x0
	v_add_f32_e32 v2, v9, v2
	ds_bpermute_b32 v3, v7, v2
	s_wait_dscnt 0x0
	v_dual_add_f32 v9, v2, v3 :: v_dual_add_nc_u32 v2, 16, v0
	v_mov_b32_e32 v3, v1
	ds_bpermute_b32 v10, v8, v9
	v_add_nc_u64_e32 v[2:3], s[4:5], v[2:3]
	s_delay_alu instid0(VALU_DEP_1) | instskip(SKIP_1) | instid1(SALU_CYCLE_1)
	v_cmp_le_i64_e64 s1, s[6:7], v[2:3]
	s_or_b32 s1, s0, s1
	s_nor_b32 s9, s8, s1
	s_wait_dscnt 0x0
	v_add_f32_e32 v2, v9, v10
	s_and_saveexec_b32 s1, s9
	s_cbranch_execz .LBB147_93
; %bb.92:
	v_add_nc_u64_e32 v[10:11], s[4:5], v[0:1]
	s_delay_alu instid0(VALU_DEP_1)
	v_lshl_add_u64 v[10:11], v[10:11], 2, s[2:3]
	global_store_b32 v[10:11], v2, off offset:64
.LBB147_93:
	s_wait_xcnt 0x0
	s_or_b32 exec_lo, exec_lo, s1
	v_cmp_gt_u32_e64 s1, 0x400, v4
	s_and_b32 exec_lo, exec_lo, s1
	s_cbranch_execz .LBB147_103
; %bb.94:
	s_and_saveexec_b32 s1, vcc_lo
; %bb.95:
	v_dual_lshlrev_b32 v2, 2, v0 :: v_dual_lshlrev_b32 v3, 2, v5
	s_delay_alu instid0(VALU_DEP_1)
	v_add3_u32 v2, 0, v2, v3
	ds_load_b32 v2, v2 offset:128
; %bb.96:
	s_or_b32 exec_lo, exec_lo, s1
	s_wait_dscnt 0x0
	ds_bpermute_b32 v3, v6, v2
	s_wait_dscnt 0x0
	v_add_f32_e32 v2, v2, v3
	ds_bpermute_b32 v3, v7, v2
	s_wait_dscnt 0x0
	v_dual_add_f32 v9, v2, v3 :: v_dual_add_nc_u32 v2, 32, v0
	v_mov_b32_e32 v3, s5
	ds_bpermute_b32 v10, v8, v9
	v_or_b32_e32 v2, s4, v2
	s_delay_alu instid0(VALU_DEP_1) | instskip(SKIP_1) | instid1(SALU_CYCLE_1)
	v_cmp_le_i64_e64 s1, s[6:7], v[2:3]
	s_or_b32 s1, s0, s1
	s_nor_b32 s9, s8, s1
	s_wait_dscnt 0x0
	v_add_f32_e32 v2, v9, v10
	s_and_saveexec_b32 s1, s9
	s_cbranch_execz .LBB147_98
; %bb.97:
	v_add_nc_u64_e32 v[10:11], s[4:5], v[0:1]
	s_delay_alu instid0(VALU_DEP_1)
	v_lshl_add_u64 v[10:11], v[10:11], 2, s[2:3]
	global_store_b32 v[10:11], v2, off offset:128
.LBB147_98:
	s_wait_xcnt 0x0
	s_or_b32 exec_lo, exec_lo, s1
	v_cmp_gt_u32_e64 s1, 0x200, v4
	s_and_b32 exec_lo, exec_lo, s1
	s_cbranch_execz .LBB147_103
; %bb.99:
	s_and_saveexec_b32 s1, vcc_lo
; %bb.100:
	v_dual_lshlrev_b32 v2, 2, v0 :: v_dual_lshlrev_b32 v3, 2, v5
	s_delay_alu instid0(VALU_DEP_1)
	v_add3_u32 v2, 0, v2, v3
	ds_load_b32 v2, v2 offset:192
; %bb.101:
	s_or_b32 exec_lo, exec_lo, s1
	s_wait_dscnt 0x0
	ds_bpermute_b32 v3, v6, v2
	v_dual_mov_b32 v5, s5 :: v_dual_add_nc_u32 v4, 48, v0
	s_delay_alu instid0(VALU_DEP_1) | instskip(NEXT) | instid1(VALU_DEP_1)
	v_or_b32_e32 v4, s4, v4
	v_cmp_le_i64_e32 vcc_lo, s[6:7], v[4:5]
	s_or_b32 s0, s0, vcc_lo
	s_wait_dscnt 0x0
	v_add_f32_e32 v2, v2, v3
	s_nor_b32 s0, s8, s0
	ds_bpermute_b32 v3, v7, v2
	s_wait_dscnt 0x0
	v_add_f32_e32 v2, v2, v3
	ds_bpermute_b32 v3, v8, v2
	s_and_saveexec_b32 s1, s0
	s_delay_alu instid0(SALU_CYCLE_1)
	s_xor_b32 s1, exec_lo, s1
	s_cbranch_execz .LBB147_103
; %bb.102:
	v_add_nc_u64_e32 v[0:1], s[4:5], v[0:1]
	s_wait_dscnt 0x0
	v_add_f32_e32 v2, v2, v3
	s_delay_alu instid0(VALU_DEP_2)
	v_lshl_add_u64 v[0:1], v[0:1], 2, s[2:3]
	global_store_b32 v[0:1], v2, off offset:192
.LBB147_103:
	s_sendmsg sendmsg(MSG_DEALLOC_VGPRS)
	s_endpgm
	.section	.rodata,"a",@progbits
	.p2align	6, 0x0
	.amdhsa_kernel _ZN2at6native12_GLOBAL__N_135GammaBetaBackwardCUDAKernelTemplateIffLj64ELj8ELj64ELb0ELb0ELb1EEEvllPKT_S5_PKT0_S8_PS3_S9_
		.amdhsa_group_segment_fixed_size 0
		.amdhsa_private_segment_fixed_size 0
		.amdhsa_kernarg_size 320
		.amdhsa_user_sgpr_count 2
		.amdhsa_user_sgpr_dispatch_ptr 0
		.amdhsa_user_sgpr_queue_ptr 0
		.amdhsa_user_sgpr_kernarg_segment_ptr 1
		.amdhsa_user_sgpr_dispatch_id 0
		.amdhsa_user_sgpr_kernarg_preload_length 0
		.amdhsa_user_sgpr_kernarg_preload_offset 0
		.amdhsa_user_sgpr_private_segment_size 0
		.amdhsa_wavefront_size32 1
		.amdhsa_uses_dynamic_stack 0
		.amdhsa_enable_private_segment 0
		.amdhsa_system_sgpr_workgroup_id_x 1
		.amdhsa_system_sgpr_workgroup_id_y 1
		.amdhsa_system_sgpr_workgroup_id_z 0
		.amdhsa_system_sgpr_workgroup_info 0
		.amdhsa_system_vgpr_workitem_id 1
		.amdhsa_next_free_vgpr 95
		.amdhsa_next_free_sgpr 50
		.amdhsa_named_barrier_count 0
		.amdhsa_reserve_vcc 1
		.amdhsa_float_round_mode_32 0
		.amdhsa_float_round_mode_16_64 0
		.amdhsa_float_denorm_mode_32 3
		.amdhsa_float_denorm_mode_16_64 3
		.amdhsa_fp16_overflow 0
		.amdhsa_memory_ordered 1
		.amdhsa_forward_progress 1
		.amdhsa_inst_pref_size 48
		.amdhsa_round_robin_scheduling 0
		.amdhsa_exception_fp_ieee_invalid_op 0
		.amdhsa_exception_fp_denorm_src 0
		.amdhsa_exception_fp_ieee_div_zero 0
		.amdhsa_exception_fp_ieee_overflow 0
		.amdhsa_exception_fp_ieee_underflow 0
		.amdhsa_exception_fp_ieee_inexact 0
		.amdhsa_exception_int_div_zero 0
	.end_amdhsa_kernel
	.section	.text._ZN2at6native12_GLOBAL__N_135GammaBetaBackwardCUDAKernelTemplateIffLj64ELj8ELj64ELb0ELb0ELb1EEEvllPKT_S5_PKT0_S8_PS3_S9_,"axG",@progbits,_ZN2at6native12_GLOBAL__N_135GammaBetaBackwardCUDAKernelTemplateIffLj64ELj8ELj64ELb0ELb0ELb1EEEvllPKT_S5_PKT0_S8_PS3_S9_,comdat
.Lfunc_end147:
	.size	_ZN2at6native12_GLOBAL__N_135GammaBetaBackwardCUDAKernelTemplateIffLj64ELj8ELj64ELb0ELb0ELb1EEEvllPKT_S5_PKT0_S8_PS3_S9_, .Lfunc_end147-_ZN2at6native12_GLOBAL__N_135GammaBetaBackwardCUDAKernelTemplateIffLj64ELj8ELj64ELb0ELb0ELb1EEEvllPKT_S5_PKT0_S8_PS3_S9_
                                        ; -- End function
	.set _ZN2at6native12_GLOBAL__N_135GammaBetaBackwardCUDAKernelTemplateIffLj64ELj8ELj64ELb0ELb0ELb1EEEvllPKT_S5_PKT0_S8_PS3_S9_.num_vgpr, 95
	.set _ZN2at6native12_GLOBAL__N_135GammaBetaBackwardCUDAKernelTemplateIffLj64ELj8ELj64ELb0ELb0ELb1EEEvllPKT_S5_PKT0_S8_PS3_S9_.num_agpr, 0
	.set _ZN2at6native12_GLOBAL__N_135GammaBetaBackwardCUDAKernelTemplateIffLj64ELj8ELj64ELb0ELb0ELb1EEEvllPKT_S5_PKT0_S8_PS3_S9_.numbered_sgpr, 50
	.set _ZN2at6native12_GLOBAL__N_135GammaBetaBackwardCUDAKernelTemplateIffLj64ELj8ELj64ELb0ELb0ELb1EEEvllPKT_S5_PKT0_S8_PS3_S9_.num_named_barrier, 0
	.set _ZN2at6native12_GLOBAL__N_135GammaBetaBackwardCUDAKernelTemplateIffLj64ELj8ELj64ELb0ELb0ELb1EEEvllPKT_S5_PKT0_S8_PS3_S9_.private_seg_size, 0
	.set _ZN2at6native12_GLOBAL__N_135GammaBetaBackwardCUDAKernelTemplateIffLj64ELj8ELj64ELb0ELb0ELb1EEEvllPKT_S5_PKT0_S8_PS3_S9_.uses_vcc, 1
	.set _ZN2at6native12_GLOBAL__N_135GammaBetaBackwardCUDAKernelTemplateIffLj64ELj8ELj64ELb0ELb0ELb1EEEvllPKT_S5_PKT0_S8_PS3_S9_.uses_flat_scratch, 0
	.set _ZN2at6native12_GLOBAL__N_135GammaBetaBackwardCUDAKernelTemplateIffLj64ELj8ELj64ELb0ELb0ELb1EEEvllPKT_S5_PKT0_S8_PS3_S9_.has_dyn_sized_stack, 0
	.set _ZN2at6native12_GLOBAL__N_135GammaBetaBackwardCUDAKernelTemplateIffLj64ELj8ELj64ELb0ELb0ELb1EEEvllPKT_S5_PKT0_S8_PS3_S9_.has_recursion, 0
	.set _ZN2at6native12_GLOBAL__N_135GammaBetaBackwardCUDAKernelTemplateIffLj64ELj8ELj64ELb0ELb0ELb1EEEvllPKT_S5_PKT0_S8_PS3_S9_.has_indirect_call, 0
	.section	.AMDGPU.csdata,"",@progbits
; Kernel info:
; codeLenInByte = 6088
; TotalNumSgprs: 52
; NumVgprs: 95
; ScratchSize: 0
; MemoryBound: 0
; FloatMode: 240
; IeeeMode: 1
; LDSByteSize: 0 bytes/workgroup (compile time only)
; SGPRBlocks: 0
; VGPRBlocks: 5
; NumSGPRsForWavesPerEU: 52
; NumVGPRsForWavesPerEU: 95
; NamedBarCnt: 0
; Occupancy: 10
; WaveLimiterHint : 0
; COMPUTE_PGM_RSRC2:SCRATCH_EN: 0
; COMPUTE_PGM_RSRC2:USER_SGPR: 2
; COMPUTE_PGM_RSRC2:TRAP_HANDLER: 0
; COMPUTE_PGM_RSRC2:TGID_X_EN: 1
; COMPUTE_PGM_RSRC2:TGID_Y_EN: 1
; COMPUTE_PGM_RSRC2:TGID_Z_EN: 0
; COMPUTE_PGM_RSRC2:TIDIG_COMP_CNT: 1
	.section	.text._ZN2at6native12_GLOBAL__N_135GammaBetaBackwardCUDAKernelTemplateIffLj64ELj16ELj128ELb0ELb1ELb1EEEvllPKT_S5_PKT0_S8_PS3_S9_,"axG",@progbits,_ZN2at6native12_GLOBAL__N_135GammaBetaBackwardCUDAKernelTemplateIffLj64ELj16ELj128ELb0ELb1ELb1EEEvllPKT_S5_PKT0_S8_PS3_S9_,comdat
	.globl	_ZN2at6native12_GLOBAL__N_135GammaBetaBackwardCUDAKernelTemplateIffLj64ELj16ELj128ELb0ELb1ELb1EEEvllPKT_S5_PKT0_S8_PS3_S9_ ; -- Begin function _ZN2at6native12_GLOBAL__N_135GammaBetaBackwardCUDAKernelTemplateIffLj64ELj16ELj128ELb0ELb1ELb1EEEvllPKT_S5_PKT0_S8_PS3_S9_
	.p2align	8
	.type	_ZN2at6native12_GLOBAL__N_135GammaBetaBackwardCUDAKernelTemplateIffLj64ELj16ELj128ELb0ELb1ELb1EEEvllPKT_S5_PKT0_S8_PS3_S9_,@function
_ZN2at6native12_GLOBAL__N_135GammaBetaBackwardCUDAKernelTemplateIffLj64ELj16ELj128ELb0ELb1ELb1EEEvllPKT_S5_PKT0_S8_PS3_S9_: ; @_ZN2at6native12_GLOBAL__N_135GammaBetaBackwardCUDAKernelTemplateIffLj64ELj16ELj128ELb0ELb1ELb1EEEvllPKT_S5_PKT0_S8_PS3_S9_
; %bb.0:
	s_load_b128 s[4:7], s[0:1], 0x0
	s_bfe_u32 s2, ttmp6, 0x40010
	s_bfe_u32 s3, ttmp6, 0x40004
	s_add_co_i32 s2, s2, 1
	s_getreg_b32 s20, hwreg(HW_REG_IB_STS2, 6, 4)
	s_mul_i32 s2, ttmp7, s2
	s_mov_b32 s13, 0
	s_add_co_i32 s3, s3, s2
	s_cmp_eq_u32 s20, 0
	v_bfe_u32 v9, v0, 10, 10
	s_cselect_b32 s2, ttmp7, s3
	s_delay_alu instid0(SALU_CYCLE_1)
	s_lshl_b32 s12, s2, 7
	s_wait_kmcnt 0x0
	v_cmp_gt_i64_e64 s2, s[4:5], s[12:13]
	s_and_b32 vcc_lo, exec_lo, s2
	s_cbranch_vccnz .LBB148_2
; %bb.1:
	v_bfe_u32 v1, v0, 10, 10
	s_mov_b32 s2, s13
	v_and_b32_e32 v8, 0x3ff, v0
	v_mov_b32_e32 v16, 0
	s_and_not1_b32 vcc_lo, exec_lo, s2
	s_cbranch_vccz .LBB148_3
	s_branch .LBB148_10
.LBB148_2:
                                        ; implicit-def: $vgpr1
	v_and_b32_e32 v8, 0x3ff, v0
	v_mov_b32_e32 v16, 0
.LBB148_3:
	v_dual_mov_b32 v1, 0 :: v_dual_lshlrev_b32 v0, 3, v9
	s_load_b32 s2, s[0:1], 0x4c
	s_bfe_u32 s14, ttmp6, 0x4000c
	s_clause 0x2
	s_load_b32 s3, s[0:1], 0x44
	s_load_b128 s[8:11], s[0:1], 0x10
	s_load_b64 s[16:17], s[0:1], 0x28
	s_add_co_i32 s14, s14, 1
	v_add_nc_u64_e32 v[2:3], s[12:13], v[0:1]
	s_and_b32 s18, ttmp6, 15
	s_mul_i32 s14, ttmp9, s14
	v_dual_mov_b32 v5, v1 :: v_dual_mov_b32 v15, v1
	s_add_co_i32 s18, s18, s14
	s_mov_b32 s15, 0
	s_delay_alu instid0(VALU_DEP_2)
	v_mul_u64_e32 v[6:7], s[6:7], v[2:3]
	v_dual_mov_b32 v0, 8 :: v_dual_mov_b32 v10, 4
	v_dual_mov_b32 v12, 16 :: v_dual_mov_b32 v13, 20
	v_mov_b32_e32 v11, 12
	s_wait_kmcnt 0x0
	s_and_b32 s2, s2, 0xffff
	s_cmp_eq_u32 s20, 0
	v_mad_u32_u24 v4, v9, s2, v8
	s_cselect_b32 s2, ttmp9, s18
	s_lshl_b32 s14, s3, 7
	v_lshl_add_u32 v14, s2, 6, v8
	s_mul_u64 s[18:19], s[6:7], s[14:15]
	v_and_b32_e32 v4, 31, v4
	s_lshl_b64 s[18:19], s[18:19], 2
	s_lshl_b64 s[6:7], s[6:7], 2
	v_lshlrev_b64_e32 v[16:17], 2, v[14:15]
	v_dual_mov_b32 v14, 24 :: v_dual_mov_b32 v15, 28
	v_add_nc_u64_e32 v[2:3], v[2:3], v[4:5]
	v_cmp_gt_u32_e64 s2, 8, v4
	s_delay_alu instid0(VALU_DEP_2)
	v_lshl_add_u64 v[4:5], v[2:3], 2, s[16:17]
	s_lshl_b64 s[16:17], s[14:15], 2
	v_lshl_add_u64 v[6:7], v[6:7], 2, v[16:17]
	v_mov_b32_e32 v16, 0
	s_branch .LBB148_6
.LBB148_4:                              ;   in Loop: Header=BB148_6 Depth=1
	s_wait_xcnt 0x0
	s_or_b32 exec_lo, exec_lo, s21
.LBB148_5:                              ;   in Loop: Header=BB148_6 Depth=1
	s_delay_alu instid0(SALU_CYCLE_1)
	s_or_b32 exec_lo, exec_lo, s3
	v_add_nc_u64_e32 v[18:19], s[8:9], v[6:7]
	v_add_nc_u64_e32 v[20:21], s[10:11], v[6:7]
	s_add_nc_u64 s[12:13], s[12:13], s[14:15]
	v_add_nc_u64_e32 v[4:5], s[16:17], v[4:5]
	v_cmp_lt_i64_e64 s3, s[12:13], s[4:5]
	v_add_nc_u64_e32 v[2:3], s[14:15], v[2:3]
	v_add_nc_u64_e32 v[6:7], s[18:19], v[6:7]
	;; [unrolled: 1-line block ×4, first 2 shown]
	global_load_b32 v30, v[18:19], off
	global_load_b32 v32, v[20:21], off
	global_load_b32 v31, v[22:23], off
	global_load_b32 v33, v[24:25], off
	v_add_nc_u64_e32 v[26:27], s[6:7], v[22:23]
	v_add_nc_u64_e32 v[28:29], s[6:7], v[24:25]
	s_and_b32 vcc_lo, exec_lo, s3
	s_wait_xcnt 0x3
	s_delay_alu instid0(VALU_DEP_2) | instskip(SKIP_1) | instid1(VALU_DEP_2)
	v_add_nc_u64_e32 v[18:19], s[6:7], v[26:27]
	s_wait_xcnt 0x2
	v_add_nc_u64_e32 v[20:21], s[6:7], v[28:29]
	global_load_b32 v34, v[26:27], off
	global_load_b32 v36, v[28:29], off
	;; [unrolled: 1-line block ×4, first 2 shown]
	s_wait_xcnt 0x5
	v_add_nc_u64_e32 v[22:23], s[6:7], v[18:19]
	s_wait_xcnt 0x4
	v_add_nc_u64_e32 v[24:25], s[6:7], v[20:21]
	s_wait_xcnt 0x1
	s_delay_alu instid0(VALU_DEP_2) | instskip(SKIP_1) | instid1(VALU_DEP_2)
	v_add_nc_u64_e32 v[18:19], s[6:7], v[22:23]
	s_wait_xcnt 0x0
	v_add_nc_u64_e32 v[20:21], s[6:7], v[24:25]
	global_load_b32 v22, v[22:23], off
	global_load_b32 v38, v[24:25], off
	;; [unrolled: 1-line block ×4, first 2 shown]
	v_add_nc_u64_e32 v[26:27], s[6:7], v[18:19]
	v_add_nc_u64_e32 v[28:29], s[6:7], v[20:21]
	s_wait_xcnt 0x1
	s_delay_alu instid0(VALU_DEP_2) | instskip(SKIP_1) | instid1(VALU_DEP_2)
	v_add_nc_u64_e32 v[18:19], s[6:7], v[26:27]
	s_wait_xcnt 0x0
	v_add_nc_u64_e32 v[20:21], s[6:7], v[28:29]
	global_load_b32 v24, v[26:27], off
	global_load_b32 v40, v[28:29], off
	;; [unrolled: 1-line block ×4, first 2 shown]
	s_wait_loadcnt 0x10
	s_wait_xcnt 0x1
	ds_bpermute_b32 v18, v1, v17
	ds_bpermute_b32 v19, v10, v17
	s_wait_xcnt 0x0
	ds_bpermute_b32 v20, v0, v17
	ds_bpermute_b32 v21, v11, v17
	s_wait_loadcnt 0xc
	v_pk_mul_f32 v[26:27], v[30:31], v[32:33]
	s_wait_dscnt 0x2
	s_delay_alu instid0(VALU_DEP_1)
	v_pk_mul_f32 v[18:19], v[26:27], v[18:19]
	ds_bpermute_b32 v26, v12, v17
	ds_bpermute_b32 v27, v13, v17
	v_add_f32_e32 v16, v16, v18
	s_wait_loadcnt 0x8
	v_pk_mul_f32 v[28:29], v[34:35], v[36:37]
	s_delay_alu instid0(VALU_DEP_2) | instskip(SKIP_4) | instid1(VALU_DEP_1)
	v_add_f32_e32 v30, v16, v19
	ds_bpermute_b32 v16, v14, v17
	ds_bpermute_b32 v17, v15, v17
	s_wait_dscnt 0x4
	v_pk_mul_f32 v[18:19], v[28:29], v[20:21]
	v_add_f32_e32 v18, v30, v18
	s_wait_loadcnt 0x4
	v_pk_mul_f32 v[20:21], v[22:23], v[38:39]
	s_delay_alu instid0(VALU_DEP_2) | instskip(SKIP_1) | instid1(VALU_DEP_2)
	v_add_f32_e32 v22, v18, v19
	s_wait_dscnt 0x2
	v_pk_mul_f32 v[18:19], v[20:21], v[26:27]
	s_wait_loadcnt 0x0
	v_pk_mul_f32 v[20:21], v[24:25], v[40:41]
	s_wait_dscnt 0x0
	s_delay_alu instid0(VALU_DEP_1) | instskip(SKIP_1) | instid1(VALU_DEP_1)
	v_pk_mul_f32 v[16:17], v[20:21], v[16:17]
	v_add_f32_e32 v18, v22, v18
	v_add_f32_e32 v18, v18, v19
	s_delay_alu instid0(VALU_DEP_1) | instskip(NEXT) | instid1(VALU_DEP_1)
	v_add_f32_e32 v16, v18, v16
	v_add_f32_e32 v16, v16, v17
	s_cbranch_vccz .LBB148_9
.LBB148_6:                              ; =>This Inner Loop Header: Depth=1
	v_mov_b32_e32 v17, 0
	s_and_saveexec_b32 s3, s2
	s_cbranch_execz .LBB148_5
; %bb.7:                                ;   in Loop: Header=BB148_6 Depth=1
	v_mov_b32_e32 v17, 0
	s_mov_b32 s21, exec_lo
	v_cmpx_gt_i64_e64 s[4:5], v[2:3]
	s_cbranch_execz .LBB148_4
; %bb.8:                                ;   in Loop: Header=BB148_6 Depth=1
	global_load_b32 v17, v[4:5], off
	s_branch .LBB148_4
.LBB148_9:
	v_mov_b32_e32 v1, v9
.LBB148_10:
	s_load_b64 s[2:3], s[0:1], 0x30
	s_delay_alu instid0(VALU_DEP_1) | instskip(SKIP_3) | instid1(VALU_DEP_2)
	v_mad_u32_u24 v0, 0x41, v1, v8
	v_mov_b32_e32 v3, 0
	s_wait_xcnt 0x0
	s_mov_b32 s0, exec_lo
	v_lshl_add_u32 v2, v0, 2, 0
	v_sub_nc_u32_e32 v1, v0, v1
	ds_store_b32 v2, v16
	ds_store_b32 v2, v3 offset:4160
	s_wait_dscnt 0x0
	s_barrier_signal -1
	s_barrier_wait -1
	v_cmpx_gt_u32_e32 0x800, v1
	s_cbranch_execz .LBB148_20
; %bb.11:
	v_dual_lshrrev_b32 v0, 5, v1 :: v_dual_bitop2_b32 v2, 31, v8 bitop3:0x40
                                        ; implicit-def: $vgpr5
	s_delay_alu instid0(VALU_DEP_1)
	v_cmp_gt_u32_e32 vcc_lo, 16, v2
	v_mul_u32_u24_e32 v2, 0x41, v2
	s_and_saveexec_b32 s0, vcc_lo
; %bb.12:
	s_delay_alu instid0(VALU_DEP_1) | instskip(NEXT) | instid1(VALU_DEP_1)
	v_dual_lshlrev_b32 v3, 2, v0 :: v_dual_lshlrev_b32 v4, 2, v2
	v_add3_u32 v3, 0, v3, v4
	ds_load_b32 v5, v3
; %bb.13:
	s_or_b32 exec_lo, exec_lo, s0
	v_mbcnt_lo_u32_b32 v6, -1, 0
	s_wait_kmcnt 0x0
	s_cmp_lg_u64 s[2:3], 0
	s_cselect_b32 s1, -1, 0
	s_bfe_u32 s4, ttmp6, 0x4000c
	v_xor_b32_e32 v4, 4, v6
	v_xor_b32_e32 v3, 8, v6
	s_add_co_i32 s4, s4, 1
	s_and_b32 s5, ttmp6, 15
	s_mul_i32 s4, ttmp9, s4
	v_xor_b32_e32 v10, 1, v6
	v_cmp_gt_i32_e64 s0, 32, v3
	s_delay_alu instid0(VALU_DEP_1) | instskip(SKIP_1) | instid1(VALU_DEP_1)
	v_cndmask_b32_e64 v3, v6, v3, s0
	v_cmp_gt_i32_e64 s0, 32, v4
	v_cndmask_b32_e64 v4, v6, v4, s0
	s_delay_alu instid0(VALU_DEP_1)
	v_dual_lshlrev_b32 v4, 2, v4 :: v_dual_lshlrev_b32 v3, 2, v3
	s_wait_dscnt 0x0
	ds_bpermute_b32 v7, v3, v5
	s_wait_dscnt 0x0
	v_dual_add_f32 v7, v5, v7 :: v_dual_bitop2_b32 v5, 2, v6 bitop3:0x14
	ds_bpermute_b32 v9, v4, v7
	v_cmp_gt_i32_e64 s0, 32, v5
	s_delay_alu instid0(VALU_DEP_1) | instskip(SKIP_1) | instid1(VALU_DEP_1)
	v_cndmask_b32_e64 v5, v6, v5, s0
	v_cmp_gt_i32_e64 s0, 32, v10
	v_dual_lshlrev_b32 v5, 2, v5 :: v_dual_cndmask_b32 v6, v6, v10, s0
	v_cmp_eq_u32_e64 s0, 0, v8
	s_delay_alu instid0(VALU_DEP_2)
	v_lshlrev_b32_e32 v6, 2, v6
	s_and_b32 s1, s0, s1
	s_add_co_i32 s0, s5, s4
	s_wait_dscnt 0x0
	v_add_f32_e32 v7, v7, v9
	s_cmp_eq_u32 s20, 0
	s_mov_b32 s5, 0
	s_cselect_b32 s4, ttmp9, s0
	ds_bpermute_b32 v9, v5, v7
	s_lshl_b64 s[4:5], s[4:5], 8
	s_delay_alu instid0(SALU_CYCLE_1)
	s_add_nc_u64 s[2:3], s[2:3], s[4:5]
	s_wait_dscnt 0x0
	v_add_f32_e32 v7, v7, v9
	ds_bpermute_b32 v9, v6, v7
	s_wait_dscnt 0x0
	v_add_f32_e32 v7, v7, v9
	s_and_saveexec_b32 s0, s1
	s_cbranch_execz .LBB148_15
; %bb.14:
	global_store_b32 v0, v7, s[2:3] scale_offset
.LBB148_15:
	s_wait_xcnt 0x0
	s_or_b32 exec_lo, exec_lo, s0
	v_cmp_gt_u32_e64 s0, 0x400, v1
	s_and_b32 exec_lo, exec_lo, s0
	s_cbranch_execz .LBB148_20
; %bb.16:
	s_and_saveexec_b32 s0, vcc_lo
; %bb.17:
	v_dual_lshlrev_b32 v1, 2, v0 :: v_dual_lshlrev_b32 v2, 2, v2
	s_delay_alu instid0(VALU_DEP_1)
	v_add3_u32 v1, 0, v1, v2
	ds_load_b32 v7, v1 offset:128
; %bb.18:
	s_or_b32 exec_lo, exec_lo, s0
	s_wait_dscnt 0x0
	ds_bpermute_b32 v1, v3, v7
	s_wait_dscnt 0x0
	v_add_f32_e32 v1, v7, v1
	ds_bpermute_b32 v2, v4, v1
	s_wait_dscnt 0x0
	v_add_f32_e32 v1, v1, v2
	;; [unrolled: 3-line block ×3, first 2 shown]
	ds_bpermute_b32 v2, v6, v1
	s_and_saveexec_b32 s0, s1
	s_delay_alu instid0(SALU_CYCLE_1)
	s_xor_b32 s0, exec_lo, s0
	s_cbranch_execz .LBB148_20
; %bb.19:
	s_wait_dscnt 0x0
	v_add_f32_e32 v1, v1, v2
	global_store_b32 v0, v1, s[2:3] offset:128 scale_offset
.LBB148_20:
	s_endpgm
	.section	.rodata,"a",@progbits
	.p2align	6, 0x0
	.amdhsa_kernel _ZN2at6native12_GLOBAL__N_135GammaBetaBackwardCUDAKernelTemplateIffLj64ELj16ELj128ELb0ELb1ELb1EEEvllPKT_S5_PKT0_S8_PS3_S9_
		.amdhsa_group_segment_fixed_size 0
		.amdhsa_private_segment_fixed_size 0
		.amdhsa_kernarg_size 320
		.amdhsa_user_sgpr_count 2
		.amdhsa_user_sgpr_dispatch_ptr 0
		.amdhsa_user_sgpr_queue_ptr 0
		.amdhsa_user_sgpr_kernarg_segment_ptr 1
		.amdhsa_user_sgpr_dispatch_id 0
		.amdhsa_user_sgpr_kernarg_preload_length 0
		.amdhsa_user_sgpr_kernarg_preload_offset 0
		.amdhsa_user_sgpr_private_segment_size 0
		.amdhsa_wavefront_size32 1
		.amdhsa_uses_dynamic_stack 0
		.amdhsa_enable_private_segment 0
		.amdhsa_system_sgpr_workgroup_id_x 1
		.amdhsa_system_sgpr_workgroup_id_y 1
		.amdhsa_system_sgpr_workgroup_id_z 0
		.amdhsa_system_sgpr_workgroup_info 0
		.amdhsa_system_vgpr_workitem_id 1
		.amdhsa_next_free_vgpr 42
		.amdhsa_next_free_sgpr 22
		.amdhsa_named_barrier_count 0
		.amdhsa_reserve_vcc 1
		.amdhsa_float_round_mode_32 0
		.amdhsa_float_round_mode_16_64 0
		.amdhsa_float_denorm_mode_32 3
		.amdhsa_float_denorm_mode_16_64 3
		.amdhsa_fp16_overflow 0
		.amdhsa_memory_ordered 1
		.amdhsa_forward_progress 1
		.amdhsa_inst_pref_size 13
		.amdhsa_round_robin_scheduling 0
		.amdhsa_exception_fp_ieee_invalid_op 0
		.amdhsa_exception_fp_denorm_src 0
		.amdhsa_exception_fp_ieee_div_zero 0
		.amdhsa_exception_fp_ieee_overflow 0
		.amdhsa_exception_fp_ieee_underflow 0
		.amdhsa_exception_fp_ieee_inexact 0
		.amdhsa_exception_int_div_zero 0
	.end_amdhsa_kernel
	.section	.text._ZN2at6native12_GLOBAL__N_135GammaBetaBackwardCUDAKernelTemplateIffLj64ELj16ELj128ELb0ELb1ELb1EEEvllPKT_S5_PKT0_S8_PS3_S9_,"axG",@progbits,_ZN2at6native12_GLOBAL__N_135GammaBetaBackwardCUDAKernelTemplateIffLj64ELj16ELj128ELb0ELb1ELb1EEEvllPKT_S5_PKT0_S8_PS3_S9_,comdat
.Lfunc_end148:
	.size	_ZN2at6native12_GLOBAL__N_135GammaBetaBackwardCUDAKernelTemplateIffLj64ELj16ELj128ELb0ELb1ELb1EEEvllPKT_S5_PKT0_S8_PS3_S9_, .Lfunc_end148-_ZN2at6native12_GLOBAL__N_135GammaBetaBackwardCUDAKernelTemplateIffLj64ELj16ELj128ELb0ELb1ELb1EEEvllPKT_S5_PKT0_S8_PS3_S9_
                                        ; -- End function
	.set _ZN2at6native12_GLOBAL__N_135GammaBetaBackwardCUDAKernelTemplateIffLj64ELj16ELj128ELb0ELb1ELb1EEEvllPKT_S5_PKT0_S8_PS3_S9_.num_vgpr, 42
	.set _ZN2at6native12_GLOBAL__N_135GammaBetaBackwardCUDAKernelTemplateIffLj64ELj16ELj128ELb0ELb1ELb1EEEvllPKT_S5_PKT0_S8_PS3_S9_.num_agpr, 0
	.set _ZN2at6native12_GLOBAL__N_135GammaBetaBackwardCUDAKernelTemplateIffLj64ELj16ELj128ELb0ELb1ELb1EEEvllPKT_S5_PKT0_S8_PS3_S9_.numbered_sgpr, 22
	.set _ZN2at6native12_GLOBAL__N_135GammaBetaBackwardCUDAKernelTemplateIffLj64ELj16ELj128ELb0ELb1ELb1EEEvllPKT_S5_PKT0_S8_PS3_S9_.num_named_barrier, 0
	.set _ZN2at6native12_GLOBAL__N_135GammaBetaBackwardCUDAKernelTemplateIffLj64ELj16ELj128ELb0ELb1ELb1EEEvllPKT_S5_PKT0_S8_PS3_S9_.private_seg_size, 0
	.set _ZN2at6native12_GLOBAL__N_135GammaBetaBackwardCUDAKernelTemplateIffLj64ELj16ELj128ELb0ELb1ELb1EEEvllPKT_S5_PKT0_S8_PS3_S9_.uses_vcc, 1
	.set _ZN2at6native12_GLOBAL__N_135GammaBetaBackwardCUDAKernelTemplateIffLj64ELj16ELj128ELb0ELb1ELb1EEEvllPKT_S5_PKT0_S8_PS3_S9_.uses_flat_scratch, 0
	.set _ZN2at6native12_GLOBAL__N_135GammaBetaBackwardCUDAKernelTemplateIffLj64ELj16ELj128ELb0ELb1ELb1EEEvllPKT_S5_PKT0_S8_PS3_S9_.has_dyn_sized_stack, 0
	.set _ZN2at6native12_GLOBAL__N_135GammaBetaBackwardCUDAKernelTemplateIffLj64ELj16ELj128ELb0ELb1ELb1EEEvllPKT_S5_PKT0_S8_PS3_S9_.has_recursion, 0
	.set _ZN2at6native12_GLOBAL__N_135GammaBetaBackwardCUDAKernelTemplateIffLj64ELj16ELj128ELb0ELb1ELb1EEEvllPKT_S5_PKT0_S8_PS3_S9_.has_indirect_call, 0
	.section	.AMDGPU.csdata,"",@progbits
; Kernel info:
; codeLenInByte = 1604
; TotalNumSgprs: 24
; NumVgprs: 42
; ScratchSize: 0
; MemoryBound: 0
; FloatMode: 240
; IeeeMode: 1
; LDSByteSize: 0 bytes/workgroup (compile time only)
; SGPRBlocks: 0
; VGPRBlocks: 2
; NumSGPRsForWavesPerEU: 24
; NumVGPRsForWavesPerEU: 42
; NamedBarCnt: 0
; Occupancy: 16
; WaveLimiterHint : 0
; COMPUTE_PGM_RSRC2:SCRATCH_EN: 0
; COMPUTE_PGM_RSRC2:USER_SGPR: 2
; COMPUTE_PGM_RSRC2:TRAP_HANDLER: 0
; COMPUTE_PGM_RSRC2:TGID_X_EN: 1
; COMPUTE_PGM_RSRC2:TGID_Y_EN: 1
; COMPUTE_PGM_RSRC2:TGID_Z_EN: 0
; COMPUTE_PGM_RSRC2:TIDIG_COMP_CNT: 1
	.section	.text._ZN2at6native12_GLOBAL__N_135GammaBetaBackwardCUDAKernelTemplateIffLj64ELj16ELj128ELb0ELb0ELb1EEEvllPKT_S5_PKT0_S8_PS3_S9_,"axG",@progbits,_ZN2at6native12_GLOBAL__N_135GammaBetaBackwardCUDAKernelTemplateIffLj64ELj16ELj128ELb0ELb0ELb1EEEvllPKT_S5_PKT0_S8_PS3_S9_,comdat
	.globl	_ZN2at6native12_GLOBAL__N_135GammaBetaBackwardCUDAKernelTemplateIffLj64ELj16ELj128ELb0ELb0ELb1EEEvllPKT_S5_PKT0_S8_PS3_S9_ ; -- Begin function _ZN2at6native12_GLOBAL__N_135GammaBetaBackwardCUDAKernelTemplateIffLj64ELj16ELj128ELb0ELb0ELb1EEEvllPKT_S5_PKT0_S8_PS3_S9_
	.p2align	8
	.type	_ZN2at6native12_GLOBAL__N_135GammaBetaBackwardCUDAKernelTemplateIffLj64ELj16ELj128ELb0ELb0ELb1EEEvllPKT_S5_PKT0_S8_PS3_S9_,@function
_ZN2at6native12_GLOBAL__N_135GammaBetaBackwardCUDAKernelTemplateIffLj64ELj16ELj128ELb0ELb0ELb1EEEvllPKT_S5_PKT0_S8_PS3_S9_: ; @_ZN2at6native12_GLOBAL__N_135GammaBetaBackwardCUDAKernelTemplateIffLj64ELj16ELj128ELb0ELb0ELb1EEEvllPKT_S5_PKT0_S8_PS3_S9_
; %bb.0:
	s_load_b256 s[4:11], s[0:1], 0x0
	s_bfe_u32 s3, ttmp6, 0x4000c
	s_bfe_u32 s12, ttmp6, 0x40010
	s_add_co_i32 s3, s3, 1
	s_add_co_i32 s12, s12, 1
	s_and_b32 s2, ttmp6, 15
	s_bfe_u32 s13, ttmp6, 0x40004
	s_mul_i32 s3, ttmp9, s3
	s_mul_i32 s12, ttmp7, s12
	s_getreg_b32 s14, hwreg(HW_REG_IB_STS2, 6, 4)
	s_add_co_i32 s2, s2, s3
	s_add_co_i32 s13, s13, s12
	s_cmp_eq_u32 s14, 0
	s_mov_b32 s17, 0
	s_cselect_b32 s12, ttmp9, s2
	s_cselect_b32 s2, ttmp7, s13
	s_lshl_b32 s3, s12, 6
	s_load_b64 s[14:15], s[0:1], 0x28
	s_or_b32 s16, s3, 63
	s_wait_kmcnt 0x0
	v_cmp_le_i64_e64 s18, s[6:7], s[16:17]
	s_lshl_b32 s16, s2, 7
	s_delay_alu instid0(SALU_CYCLE_1) | instskip(SKIP_2) | instid1(VALU_DEP_1)
	v_cmp_gt_i64_e64 s13, s[4:5], s[16:17]
	s_and_b32 vcc_lo, exec_lo, s18
	v_cndmask_b32_e64 v1, 0, 1, s13
	v_cmp_ne_u32_e64 s2, 1, v1
	s_cbranch_vccz .LBB149_49
; %bb.1:
	v_mov_b32_e32 v3, 0
	s_and_b32 vcc_lo, exec_lo, s2
	s_cbranch_vccnz .LBB149_50
; %bb.2:
	v_bfe_u32 v1, v0, 10, 10
	v_mov_b32_e32 v2, 0
	v_and_b32_e32 v64, 0x3ff, v0
	s_load_b32 s18, s[0:1], 0x44
	s_mov_b32 s19, 0
	s_delay_alu instid0(VALU_DEP_2) | instskip(NEXT) | instid1(VALU_DEP_2)
	v_dual_mov_b32 v27, v2 :: v_dual_lshlrev_b32 v26, 3, v1
	v_dual_mov_b32 v19, v2 :: v_dual_add_nc_u32 v18, s3, v64
	v_mov_b32_e32 v65, 0
	s_mov_b32 s35, s19
	s_delay_alu instid0(VALU_DEP_3)
	v_add_nc_u64_e32 v[4:5], s[16:17], v[26:27]
	s_add_nc_u64 s[20:21], s[0:1], 64
	v_cmp_gt_i64_e64 s2, s[6:7], v[18:19]
	v_lshlrev_b64_e32 v[28:29], 2, v[18:19]
	s_mov_b64 s[22:23], 0xffffffffffffff81
	s_mov_b64 s[24:25], 0xffffffffffffff82
	s_mov_b64 s[26:27], 0xffffffffffffff83
	v_mul_u64_e32 v[6:7], s[6:7], v[4:5]
	v_add_nc_u64_e32 v[8:9], 7, v[4:5]
	v_add_nc_u64_e32 v[10:11], 6, v[4:5]
	v_add_nc_u64_e32 v[12:13], 5, v[4:5]
	v_add_nc_u64_e32 v[14:15], 4, v[4:5]
	v_add_nc_u64_e32 v[16:17], 3, v[4:5]
	v_add_nc_u64_e32 v[4:5], 2, v[4:5]
	s_wait_kmcnt 0x0
	s_lshl_b32 s34, s18, 7
	v_mul_u64_e32 v[8:9], s[6:7], v[8:9]
	v_mul_u64_e32 v[10:11], s[6:7], v[10:11]
	;; [unrolled: 1-line block ×6, first 2 shown]
	s_mul_u64 s[42:43], s[6:7], s[34:35]
	s_mov_b64 s[28:29], 0xffffffffffffff84
	s_mov_b64 s[30:31], 0xffffffffffffff85
	;; [unrolled: 1-line block ×5, first 2 shown]
	s_lshl_b64 s[42:43], s[42:43], 2
	s_add_nc_u64 s[44:45], s[16:17], 0x7f
	s_mov_b64 s[46:47], s[16:17]
	v_lshlrev_b64_e32 v[20:21], 2, v[6:7]
	v_add_nc_u64_e32 v[6:7], s[6:7], v[6:7]
	s_delay_alu instid0(VALU_DEP_2)
	v_add_nc_u64_e32 v[30:31], s[8:9], v[20:21]
	v_lshlrev_b64_e32 v[8:9], 2, v[8:9]
	v_lshlrev_b64_e32 v[10:11], 2, v[10:11]
	;; [unrolled: 1-line block ×7, first 2 shown]
	v_add_nc_u64_e32 v[32:33], s[10:11], v[20:21]
	v_add_nc_u64_e32 v[34:35], s[8:9], v[8:9]
	;; [unrolled: 1-line block ×15, first 2 shown]
.LBB149_3:                              ; =>This Inner Loop Header: Depth=1
	v_cmp_ge_i64_e64 s18, s[44:45], s[4:5]
	v_add_nc_u64_e32 v[62:63], s[44:45], v[26:27]
                                        ; implicit-def: $vgpr3
                                        ; implicit-def: $vgpr10_vgpr11_vgpr12_vgpr13_vgpr14_vgpr15_vgpr16_vgpr17
                                        ; implicit-def: $vgpr18_vgpr19_vgpr20_vgpr21_vgpr22_vgpr23_vgpr24_vgpr25
                                        ; implicit-def: $vgpr4
	s_and_b32 vcc_lo, exec_lo, s18
	s_mov_b32 s18, -1
	s_cbranch_vccz .LBB149_25
; %bb.4:                                ;   in Loop: Header=BB149_3 Depth=1
	s_load_b32 s18, s[20:21], 0xc
	v_mov_b32_e32 v66, 0
	s_wait_kmcnt 0x0
	s_and_b32 s18, s18, 0xffff
	s_delay_alu instid0(SALU_CYCLE_1) | instskip(SKIP_1) | instid1(VALU_DEP_1)
	v_mad_u32_u24 v3, v1, s18, v64
	s_mov_b32 s18, exec_lo
	v_and_b32_e32 v4, 31, v3
	s_delay_alu instid0(VALU_DEP_1)
	v_cmpx_gt_u32_e32 8, v4
	s_cbranch_execz .LBB149_8
; %bb.5:                                ;   in Loop: Header=BB149_3 Depth=1
	v_dual_mov_b32 v5, v2 :: v_dual_mov_b32 v66, 0
	s_mov_b32 s33, exec_lo
	s_delay_alu instid0(VALU_DEP_1) | instskip(NEXT) | instid1(VALU_DEP_1)
	v_add_nc_u64_e32 v[4:5], v[62:63], v[4:5]
	v_add_nc_u64_e32 v[4:5], s[22:23], v[4:5]
	s_delay_alu instid0(VALU_DEP_1)
	v_cmpx_gt_i64_e64 s[4:5], v[4:5]
	s_cbranch_execz .LBB149_7
; %bb.6:                                ;   in Loop: Header=BB149_3 Depth=1
	v_lshl_add_u64 v[4:5], v[4:5], 2, s[14:15]
	global_load_b32 v66, v[4:5], off
.LBB149_7:                              ;   in Loop: Header=BB149_3 Depth=1
	s_wait_xcnt 0x0
	s_or_b32 exec_lo, exec_lo, s33
.LBB149_8:                              ;   in Loop: Header=BB149_3 Depth=1
	s_delay_alu instid0(SALU_CYCLE_1)
	s_or_b32 exec_lo, exec_lo, s18
	v_add_nc_u64_e32 v[10:11], s[22:23], v[62:63]
	v_dual_mov_b32 v7, v2 :: v_dual_mov_b32 v8, v2
	v_dual_mov_b32 v9, v2 :: v_dual_mov_b32 v3, v2
	;; [unrolled: 1-line block ×3, first 2 shown]
	v_mov_b32_e32 v6, v2
	v_cmp_gt_i64_e32 vcc_lo, s[4:5], v[10:11]
	s_delay_alu instid0(VALU_DEP_4)
	v_mov_b64_e32 v[16:17], v[8:9]
	v_mov_b64_e32 v[24:25], v[8:9]
	;; [unrolled: 1-line block ×8, first 2 shown]
	s_and_b32 s33, s2, vcc_lo
	s_delay_alu instid0(SALU_CYCLE_1)
	s_and_saveexec_b32 s18, s33
	s_cbranch_execz .LBB149_10
; %bb.9:                                ;   in Loop: Header=BB149_3 Depth=1
	v_add_nc_u64_e32 v[4:5], v[30:31], v[28:29]
	v_add_nc_u64_e32 v[6:7], v[32:33], v[28:29]
	v_dual_mov_b32 v19, v2 :: v_dual_mov_b32 v20, v2
	v_dual_mov_b32 v21, v2 :: v_dual_mov_b32 v22, v2
	;; [unrolled: 1-line block ×3, first 2 shown]
	global_load_b32 v18, v[4:5], off
	global_load_b32 v10, v[6:7], off
	v_dual_mov_b32 v25, v2 :: v_dual_mov_b32 v11, v2
	v_dual_mov_b32 v12, v2 :: v_dual_mov_b32 v13, v2
	;; [unrolled: 1-line block ×4, first 2 shown]
.LBB149_10:                             ;   in Loop: Header=BB149_3 Depth=1
	s_wait_xcnt 0x0
	s_or_b32 exec_lo, exec_lo, s18
	v_add_nc_u64_e32 v[4:5], s[24:25], v[62:63]
	s_delay_alu instid0(VALU_DEP_1) | instskip(SKIP_1) | instid1(SALU_CYCLE_1)
	v_cmp_gt_i64_e32 vcc_lo, s[4:5], v[4:5]
	s_and_b32 s33, s2, vcc_lo
	s_and_saveexec_b32 s18, s33
	s_cbranch_execz .LBB149_12
; %bb.11:                               ;   in Loop: Header=BB149_3 Depth=1
	v_add_nc_u64_e32 v[4:5], v[58:59], v[28:29]
	v_add_nc_u64_e32 v[6:7], v[60:61], v[28:29]
	global_load_b32 v19, v[4:5], off
	global_load_b32 v11, v[6:7], off
.LBB149_12:                             ;   in Loop: Header=BB149_3 Depth=1
	s_wait_xcnt 0x0
	s_or_b32 exec_lo, exec_lo, s18
	v_add_nc_u64_e32 v[4:5], s[26:27], v[62:63]
	s_delay_alu instid0(VALU_DEP_1) | instskip(SKIP_1) | instid1(SALU_CYCLE_1)
	v_cmp_gt_i64_e32 vcc_lo, s[4:5], v[4:5]
	s_and_b32 s33, s2, vcc_lo
	s_and_saveexec_b32 s18, s33
	s_cbranch_execz .LBB149_14
; %bb.13:                               ;   in Loop: Header=BB149_3 Depth=1
	v_add_nc_u64_e32 v[4:5], v[54:55], v[28:29]
	v_add_nc_u64_e32 v[6:7], v[56:57], v[28:29]
	global_load_b32 v20, v[4:5], off
	global_load_b32 v12, v[6:7], off
.LBB149_14:                             ;   in Loop: Header=BB149_3 Depth=1
	;; [unrolled: 14-line block ×7, first 2 shown]
	s_wait_xcnt 0x0
	s_or_b32 exec_lo, exec_lo, s18
	s_wait_loadcnt 0x0
	ds_bpermute_b32 v3, v2, v66
	ds_bpermute_b32 v4, v2, v66 offset:4
	ds_bpermute_b32 v5, v2, v66 offset:8
	;; [unrolled: 1-line block ×4, first 2 shown]
	v_pk_mul_f32 v[8:9], v[12:13], v[20:21]
	v_dual_mul_f32 v18, v10, v18 :: v_dual_mul_f32 v10, v11, v19
	v_pk_mul_f32 v[12:13], v[14:15], v[22:23]
	ds_bpermute_b32 v14, v2, v66 offset:20
	v_mov_b32_e32 v11, v8
	ds_bpermute_b32 v15, v2, v66 offset:24
	v_dual_mov_b32 v8, v9 :: v_dual_mov_b32 v9, v12
	s_mov_b32 s18, 0
	s_wait_dscnt 0x6
	v_fma_f32 v3, v18, v3, v65
	s_wait_dscnt 0x4
	v_pk_mul_f32 v[4:5], v[10:11], v[4:5]
	s_wait_dscnt 0x2
	v_pk_mul_f32 v[6:7], v[8:9], v[6:7]
	v_dual_mov_b32 v8, v13 :: v_dual_mul_f32 v9, v16, v24
	s_delay_alu instid0(VALU_DEP_3) | instskip(SKIP_2) | instid1(VALU_DEP_1)
	v_add_f32_e32 v3, v3, v4
	ds_bpermute_b32 v4, v2, v66 offset:28
	v_add_f32_e32 v3, v3, v5
	v_add_f32_e32 v3, v3, v6
	s_delay_alu instid0(VALU_DEP_1) | instskip(SKIP_2) | instid1(VALU_DEP_1)
	v_add_f32_e32 v3, v3, v7
	s_wait_dscnt 0x1
	v_pk_mul_f32 v[6:7], v[8:9], v[14:15]
	v_add_f32_e32 v3, v3, v6
	s_delay_alu instid0(VALU_DEP_1)
	v_add_f32_e32 v3, v3, v7
.LBB149_25:                             ;   in Loop: Header=BB149_3 Depth=1
	s_and_b32 vcc_lo, exec_lo, s18
	s_cbranch_vccz .LBB149_40
; %bb.26:                               ;   in Loop: Header=BB149_3 Depth=1
	s_load_b32 s18, s[20:21], 0x0
	v_mov_b32_e32 v66, 0
	s_wait_kmcnt 0x0
	s_cmp_lt_u32 s12, s18
	s_cselect_b32 s18, 12, 18
	s_delay_alu instid0(SALU_CYCLE_1)
	s_add_nc_u64 s[48:49], s[20:21], s[18:19]
	s_load_u16 s18, s[48:49], 0x0
	s_wait_kmcnt 0x0
	v_mad_u32_u24 v3, v1, s18, v64
	s_mov_b32 s18, exec_lo
	s_wait_dscnt 0x0
	s_delay_alu instid0(VALU_DEP_1) | instskip(NEXT) | instid1(VALU_DEP_1)
	v_and_b32_e32 v4, 31, v3
	v_cmpx_gt_u32_e32 8, v4
	s_cbranch_execz .LBB149_30
; %bb.27:                               ;   in Loop: Header=BB149_3 Depth=1
	v_dual_mov_b32 v5, v2 :: v_dual_mov_b32 v66, 0
	s_mov_b32 s33, exec_lo
	s_delay_alu instid0(VALU_DEP_1) | instskip(NEXT) | instid1(VALU_DEP_1)
	v_add_nc_u64_e32 v[4:5], v[62:63], v[4:5]
	v_add_nc_u64_e32 v[4:5], s[22:23], v[4:5]
	s_delay_alu instid0(VALU_DEP_1)
	v_cmpx_gt_i64_e64 s[4:5], v[4:5]
	s_cbranch_execz .LBB149_29
; %bb.28:                               ;   in Loop: Header=BB149_3 Depth=1
	v_lshl_add_u64 v[4:5], v[4:5], 2, s[14:15]
	global_load_b32 v66, v[4:5], off
.LBB149_29:                             ;   in Loop: Header=BB149_3 Depth=1
	s_wait_xcnt 0x0
	s_or_b32 exec_lo, exec_lo, s33
.LBB149_30:                             ;   in Loop: Header=BB149_3 Depth=1
	s_delay_alu instid0(SALU_CYCLE_1) | instskip(SKIP_4) | instid1(VALU_DEP_3)
	s_or_b32 exec_lo, exec_lo, s18
	v_dual_mov_b32 v7, v2 :: v_dual_mov_b32 v8, v2
	v_dual_mov_b32 v9, v2 :: v_dual_mov_b32 v3, v2
	;; [unrolled: 1-line block ×3, first 2 shown]
	v_mov_b32_e32 v6, v2
	v_mov_b64_e32 v[16:17], v[8:9]
	v_mov_b64_e32 v[24:25], v[8:9]
	;; [unrolled: 1-line block ×8, first 2 shown]
	s_and_saveexec_b32 s18, s2
	s_cbranch_execnz .LBB149_42
; %bb.31:                               ;   in Loop: Header=BB149_3 Depth=1
	s_or_b32 exec_lo, exec_lo, s18
	s_and_saveexec_b32 s18, s2
	s_cbranch_execnz .LBB149_43
.LBB149_32:                             ;   in Loop: Header=BB149_3 Depth=1
	s_or_b32 exec_lo, exec_lo, s18
	s_and_saveexec_b32 s18, s2
	s_cbranch_execnz .LBB149_44
.LBB149_33:                             ;   in Loop: Header=BB149_3 Depth=1
	s_or_b32 exec_lo, exec_lo, s18
	s_and_saveexec_b32 s18, s2
	s_cbranch_execnz .LBB149_45
.LBB149_34:                             ;   in Loop: Header=BB149_3 Depth=1
	s_or_b32 exec_lo, exec_lo, s18
	s_and_saveexec_b32 s18, s2
	s_cbranch_execnz .LBB149_46
.LBB149_35:                             ;   in Loop: Header=BB149_3 Depth=1
	s_or_b32 exec_lo, exec_lo, s18
	s_and_saveexec_b32 s18, s2
	s_cbranch_execnz .LBB149_47
.LBB149_36:                             ;   in Loop: Header=BB149_3 Depth=1
	s_or_b32 exec_lo, exec_lo, s18
	s_and_saveexec_b32 s18, s2
	s_cbranch_execnz .LBB149_48
.LBB149_37:                             ;   in Loop: Header=BB149_3 Depth=1
	s_or_b32 exec_lo, exec_lo, s18
	s_and_saveexec_b32 s18, s2
	s_cbranch_execz .LBB149_39
.LBB149_38:                             ;   in Loop: Header=BB149_3 Depth=1
	v_add_nc_u64_e32 v[4:5], v[34:35], v[28:29]
	v_add_nc_u64_e32 v[6:7], v[36:37], v[28:29]
	global_load_b32 v25, v[4:5], off
	global_load_b32 v17, v[6:7], off
.LBB149_39:                             ;   in Loop: Header=BB149_3 Depth=1
	s_wait_xcnt 0x0
	s_or_b32 exec_lo, exec_lo, s18
	s_wait_loadcnt 0x0
	ds_bpermute_b32 v3, v2, v66
	ds_bpermute_b32 v4, v2, v66 offset:4
	ds_bpermute_b32 v5, v2, v66 offset:8
	;; [unrolled: 1-line block ×4, first 2 shown]
	v_pk_mul_f32 v[8:9], v[12:13], v[20:21]
	v_dual_mul_f32 v18, v10, v18 :: v_dual_mul_f32 v10, v11, v19
	v_pk_mul_f32 v[12:13], v[14:15], v[22:23]
	ds_bpermute_b32 v14, v2, v66 offset:20
	v_mov_b32_e32 v11, v8
	ds_bpermute_b32 v15, v2, v66 offset:24
	v_dual_mov_b32 v8, v9 :: v_dual_mov_b32 v9, v12
	s_wait_dscnt 0x6
	v_fmac_f32_e32 v65, v18, v3
	s_wait_dscnt 0x4
	v_pk_mul_f32 v[4:5], v[10:11], v[4:5]
	s_wait_dscnt 0x2
	v_pk_mul_f32 v[6:7], v[8:9], v[6:7]
	v_dual_mul_f32 v9, v16, v24 :: v_dual_mov_b32 v8, v13
	s_delay_alu instid0(VALU_DEP_3) | instskip(SKIP_2) | instid1(VALU_DEP_1)
	v_add_f32_e32 v3, v65, v4
	ds_bpermute_b32 v4, v2, v66 offset:28
	v_add_f32_e32 v3, v3, v5
	v_add_f32_e32 v3, v3, v6
	s_delay_alu instid0(VALU_DEP_1) | instskip(SKIP_2) | instid1(VALU_DEP_1)
	v_add_f32_e32 v3, v3, v7
	s_wait_dscnt 0x1
	v_pk_mul_f32 v[6:7], v[8:9], v[14:15]
	v_add_f32_e32 v3, v3, v6
	s_delay_alu instid0(VALU_DEP_1)
	v_add_f32_e32 v3, v3, v7
.LBB149_40:                             ;   in Loop: Header=BB149_3 Depth=1
	s_add_nc_u64 s[46:47], s[46:47], s[34:35]
	v_mul_f32_e32 v5, v25, v17
	v_cmp_lt_i64_e64 s18, s[46:47], s[4:5]
	v_add_nc_u64_e32 v[30:31], s[42:43], v[30:31]
	v_add_nc_u64_e32 v[32:33], s[42:43], v[32:33]
	;; [unrolled: 1-line block ×16, first 2 shown]
	s_wait_dscnt 0x0
	v_fmac_f32_e32 v3, v5, v4
	s_and_b32 vcc_lo, exec_lo, s18
	s_add_nc_u64 s[44:45], s[44:45], s[34:35]
	s_cbranch_vccz .LBB149_50
; %bb.41:                               ;   in Loop: Header=BB149_3 Depth=1
	s_delay_alu instid0(VALU_DEP_1)
	v_mov_b32_e32 v65, v3
	s_branch .LBB149_3
.LBB149_42:                             ;   in Loop: Header=BB149_3 Depth=1
	v_add_nc_u64_e32 v[4:5], v[30:31], v[28:29]
	v_add_nc_u64_e32 v[6:7], v[32:33], v[28:29]
	v_dual_mov_b32 v19, v2 :: v_dual_mov_b32 v20, v2
	v_dual_mov_b32 v21, v2 :: v_dual_mov_b32 v22, v2
	;; [unrolled: 1-line block ×3, first 2 shown]
	global_load_b32 v18, v[4:5], off
	global_load_b32 v10, v[6:7], off
	v_dual_mov_b32 v25, v2 :: v_dual_mov_b32 v11, v2
	v_dual_mov_b32 v12, v2 :: v_dual_mov_b32 v13, v2
	v_dual_mov_b32 v14, v2 :: v_dual_mov_b32 v15, v2
	v_dual_mov_b32 v16, v2 :: v_dual_mov_b32 v17, v2
	s_wait_xcnt 0x0
	s_or_b32 exec_lo, exec_lo, s18
	s_and_saveexec_b32 s18, s2
	s_cbranch_execz .LBB149_32
.LBB149_43:                             ;   in Loop: Header=BB149_3 Depth=1
	v_add_nc_u64_e32 v[4:5], v[58:59], v[28:29]
	v_add_nc_u64_e32 v[6:7], v[60:61], v[28:29]
	global_load_b32 v19, v[4:5], off
	global_load_b32 v11, v[6:7], off
	s_wait_xcnt 0x0
	s_or_b32 exec_lo, exec_lo, s18
	s_and_saveexec_b32 s18, s2
	s_cbranch_execz .LBB149_33
.LBB149_44:                             ;   in Loop: Header=BB149_3 Depth=1
	v_add_nc_u64_e32 v[4:5], v[54:55], v[28:29]
	v_add_nc_u64_e32 v[6:7], v[56:57], v[28:29]
	global_load_b32 v20, v[4:5], off
	global_load_b32 v12, v[6:7], off
	s_wait_xcnt 0x0
	s_or_b32 exec_lo, exec_lo, s18
	s_and_saveexec_b32 s18, s2
	s_cbranch_execz .LBB149_34
.LBB149_45:                             ;   in Loop: Header=BB149_3 Depth=1
	v_add_nc_u64_e32 v[4:5], v[50:51], v[28:29]
	v_add_nc_u64_e32 v[6:7], v[52:53], v[28:29]
	global_load_b32 v21, v[4:5], off
	global_load_b32 v13, v[6:7], off
	s_wait_xcnt 0x0
	s_or_b32 exec_lo, exec_lo, s18
	s_and_saveexec_b32 s18, s2
	s_cbranch_execz .LBB149_35
.LBB149_46:                             ;   in Loop: Header=BB149_3 Depth=1
	v_add_nc_u64_e32 v[4:5], v[46:47], v[28:29]
	v_add_nc_u64_e32 v[6:7], v[48:49], v[28:29]
	global_load_b32 v22, v[4:5], off
	global_load_b32 v14, v[6:7], off
	s_wait_xcnt 0x0
	s_or_b32 exec_lo, exec_lo, s18
	s_and_saveexec_b32 s18, s2
	s_cbranch_execz .LBB149_36
.LBB149_47:                             ;   in Loop: Header=BB149_3 Depth=1
	v_add_nc_u64_e32 v[4:5], v[42:43], v[28:29]
	v_add_nc_u64_e32 v[6:7], v[44:45], v[28:29]
	global_load_b32 v23, v[4:5], off
	global_load_b32 v15, v[6:7], off
	s_wait_xcnt 0x0
	s_or_b32 exec_lo, exec_lo, s18
	s_and_saveexec_b32 s18, s2
	s_cbranch_execz .LBB149_37
.LBB149_48:                             ;   in Loop: Header=BB149_3 Depth=1
	v_add_nc_u64_e32 v[4:5], v[38:39], v[28:29]
	v_add_nc_u64_e32 v[6:7], v[40:41], v[28:29]
	global_load_b32 v24, v[4:5], off
	global_load_b32 v16, v[6:7], off
	s_wait_xcnt 0x0
	s_or_b32 exec_lo, exec_lo, s18
	s_and_saveexec_b32 s18, s2
	s_cbranch_execnz .LBB149_38
	s_branch .LBB149_39
.LBB149_49:
                                        ; implicit-def: $vgpr3
	s_branch .LBB149_51
.LBB149_50:
	s_cbranch_execnz .LBB149_83
.LBB149_51:
	v_mov_b32_e32 v3, 0
	s_and_not1_b32 vcc_lo, exec_lo, s13
	s_cbranch_vccnz .LBB149_83
; %bb.52:
	v_bfe_u32 v1, v0, 10, 10
	v_mov_b32_e32 v2, 0
	v_and_b32_e32 v92, 0x3ff, v0
	s_load_b32 s2, s[0:1], 0x44
	s_mov_b64 s[20:21], 0xffffffffffffff83
	s_delay_alu instid0(VALU_DEP_2) | instskip(SKIP_3) | instid1(VALU_DEP_2)
	v_dual_mov_b32 v5, v2 :: v_dual_lshlrev_b32 v4, 5, v1
	v_dual_mov_b32 v27, v2 :: v_dual_lshlrev_b32 v26, 3, v1
	s_mov_b64 s[22:23], 0xffffffffffffff84
	s_mov_b64 s[24:25], 0xffffffffffffff85
	v_lshl_add_u64 v[6:7], s[16:17], 2, v[4:5]
	s_mov_b64 s[26:27], 0xffffffffffffff86
	s_mov_b64 s[28:29], 0xffffffffffffff87
	;; [unrolled: 1-line block ×3, first 2 shown]
	s_add_nc_u64 s[34:35], s[0:1], 64
	v_add_nc_u64_e32 v[14:15], 8, v[6:7]
	v_add_nc_u64_e32 v[16:17], 12, v[6:7]
	;; [unrolled: 1-line block ×7, first 2 shown]
	v_mad_nc_u64_u32 v[30:31], s6, v14, s[8:9]
	v_mul_lo_u32 v25, s6, v15
	v_mul_lo_u32 v52, s7, v14
	v_mad_nc_u64_u32 v[32:33], s6, v16, s[8:9]
	v_mul_lo_u32 v53, s6, v17
	v_mul_lo_u32 v54, s7, v16
	;; [unrolled: 3-line block ×3, first 2 shown]
	v_mad_nc_u64_u32 v[40:41], s6, v14, s[10:11]
	v_mad_nc_u64_u32 v[42:43], s6, v16, s[10:11]
	;; [unrolled: 1-line block ×4, first 2 shown]
	v_add3_u32 v31, v52, v31, v25
	v_mul_lo_u32 v59, s7, v20
	v_mad_nc_u64_u32 v[50:51], s6, v20, s[10:11]
	v_add3_u32 v33, v54, v33, v53
	v_mul_lo_u32 v20, s7, v6
	v_mad_nc_u64_u32 v[28:29], s6, v12, s[8:9]
	v_add3_u32 v35, v56, v35, v55
	v_add3_u32 v41, v52, v41, v25
	;; [unrolled: 1-line block ×3, first 2 shown]
	v_mad_nc_u64_u32 v[52:53], s6, v6, s[8:9]
	v_add3_u32 v47, v56, v47, v55
	v_mad_nc_u64_u32 v[54:55], s6, v6, s[10:11]
	v_add_nc_u32_e32 v6, s3, v92
	v_add_nc_u64_e32 v[4:5], s[16:17], v[26:27]
	v_mul_lo_u32 v3, s6, v13
	v_mul_lo_u32 v24, s7, v12
	v_mad_nc_u64_u32 v[38:39], s6, v12, s[10:11]
	v_mad_nc_u64_u32 v[36:37], s6, v10, s[8:9]
	v_mul_lo_u32 v57, s6, v11
	v_mul_lo_u32 v58, s7, v10
	v_add_nc_u64_e32 v[12:13], 7, v[4:5]
	v_add_nc_u64_e32 v[14:15], 6, v[4:5]
	v_mul_u64_e32 v[8:9], s[6:7], v[4:5]
	v_add_nc_u64_e32 v[16:17], 5, v[4:5]
	v_add_nc_u64_e32 v[22:23], 4, v[4:5]
	;; [unrolled: 1-line block ×4, first 2 shown]
	v_mul_u64_e32 v[12:13], s[6:7], v[12:13]
	v_mul_u64_e32 v[14:15], s[6:7], v[14:15]
	v_mad_nc_u64_u32 v[48:49], s6, v10, s[10:11]
	v_mul_u64_e32 v[16:17], s[6:7], v[16:17]
	v_mul_u64_e32 v[22:23], s[6:7], v[22:23]
	;; [unrolled: 1-line block ×4, first 2 shown]
	v_add3_u32 v29, v24, v29, v3
	v_add3_u32 v39, v24, v39, v3
	v_mul_lo_u32 v3, s6, v7
	v_dual_mov_b32 v7, v2 :: v_dual_mov_b32 v93, 0
	v_add3_u32 v37, v58, v37, v57
	v_add3_u32 v49, v58, v49, v57
	v_mul_lo_u32 v21, s6, v21
	s_delay_alu instid0(VALU_DEP_4)
	v_lshlrev_b64_e32 v[56:57], 2, v[6:7]
	s_mov_b32 s3, 0
	s_wait_kmcnt 0x0
	s_lshl_b32 s18, s2, 7
	s_mov_b32 s19, s3
	s_add_nc_u64 s[38:39], s[16:17], 0x7f
	v_add3_u32 v53, v20, v53, v3
	v_add3_u32 v55, v20, v55, v3
	s_mul_u64 s[36:37], s[6:7], s[18:19]
	s_delay_alu instid0(SALU_CYCLE_1)
	s_lshl_b64 s[36:37], s[36:37], 2
	v_add3_u32 v45, v59, v45, v21
	v_add3_u32 v51, v59, v51, v21
	v_lshlrev_b64_e32 v[18:19], 2, v[8:9]
	v_add_nc_u64_e32 v[8:9], s[6:7], v[8:9]
	v_lshlrev_b64_e32 v[12:13], 2, v[12:13]
	v_lshlrev_b64_e32 v[6:7], 2, v[14:15]
	s_delay_alu instid0(VALU_DEP_4) | instskip(NEXT) | instid1(VALU_DEP_4)
	v_add_nc_u64_e32 v[58:59], s[8:9], v[18:19]
	v_lshlrev_b64_e32 v[8:9], 2, v[8:9]
	v_lshlrev_b64_e32 v[14:15], 2, v[22:23]
	v_add_nc_u64_e32 v[60:61], s[10:11], v[18:19]
	v_lshlrev_b64_e32 v[4:5], 2, v[4:5]
	v_add_nc_u64_e32 v[62:63], s[8:9], v[12:13]
	v_add_nc_u64_e32 v[64:65], s[10:11], v[12:13]
	v_lshlrev_b64_e32 v[12:13], 2, v[16:17]
	v_add_nc_u64_e32 v[66:67], s[8:9], v[6:7]
	;; [unrolled: 3-line block ×3, first 2 shown]
	v_add_nc_u64_e32 v[76:77], s[10:11], v[14:15]
	v_add_nc_u64_e32 v[82:83], s[8:9], v[4:5]
	;; [unrolled: 1-line block ×9, first 2 shown]
	s_mov_b64 s[8:9], 0xffffffffffffff81
	s_mov_b64 s[10:11], 0xffffffffffffff82
.LBB149_53:                             ; =>This Inner Loop Header: Depth=1
	v_cmp_ge_i64_e64 s2, s[38:39], s[4:5]
	v_add_nc_u64_e32 v[90:91], s[38:39], v[26:27]
                                        ; implicit-def: $vgpr3
	s_and_b32 vcc_lo, exec_lo, s2
	s_mov_b32 s2, -1
	s_cbranch_vccz .LBB149_75
; %bb.54:                               ;   in Loop: Header=BB149_53 Depth=1
	s_load_b32 s2, s[34:35], 0xc
	v_mov_b32_e32 v94, 0
	s_wait_kmcnt 0x0
	s_and_b32 s2, s2, 0xffff
	s_delay_alu instid0(SALU_CYCLE_1) | instskip(SKIP_1) | instid1(VALU_DEP_1)
	v_mad_u32_u24 v3, v1, s2, v92
	s_mov_b32 s2, exec_lo
	v_and_b32_e32 v4, 31, v3
	s_delay_alu instid0(VALU_DEP_1)
	v_cmpx_gt_u32_e32 8, v4
	s_cbranch_execz .LBB149_58
; %bb.55:                               ;   in Loop: Header=BB149_53 Depth=1
	v_dual_mov_b32 v5, v2 :: v_dual_mov_b32 v94, 0
	s_mov_b32 s13, exec_lo
	s_delay_alu instid0(VALU_DEP_1) | instskip(NEXT) | instid1(VALU_DEP_1)
	v_add_nc_u64_e32 v[4:5], v[90:91], v[4:5]
	v_add_nc_u64_e32 v[4:5], s[8:9], v[4:5]
	s_delay_alu instid0(VALU_DEP_1)
	v_cmpx_gt_i64_e64 s[4:5], v[4:5]
	s_cbranch_execz .LBB149_57
; %bb.56:                               ;   in Loop: Header=BB149_53 Depth=1
	v_lshl_add_u64 v[4:5], v[4:5], 2, s[14:15]
	global_load_b32 v94, v[4:5], off
.LBB149_57:                             ;   in Loop: Header=BB149_53 Depth=1
	s_wait_xcnt 0x0
	s_or_b32 exec_lo, exec_lo, s13
.LBB149_58:                             ;   in Loop: Header=BB149_53 Depth=1
	s_delay_alu instid0(SALU_CYCLE_1)
	s_or_b32 exec_lo, exec_lo, s2
	v_add_nc_u64_e32 v[10:11], s[8:9], v[90:91]
	v_dual_mov_b32 v7, v2 :: v_dual_mov_b32 v8, v2
	v_dual_mov_b32 v9, v2 :: v_dual_mov_b32 v3, v2
	;; [unrolled: 1-line block ×3, first 2 shown]
	v_mov_b32_e32 v6, v2
	v_cmp_gt_i64_e32 vcc_lo, s[4:5], v[10:11]
	s_delay_alu instid0(VALU_DEP_4)
	v_mov_b64_e32 v[16:17], v[8:9]
	v_mov_b64_e32 v[24:25], v[8:9]
	;; [unrolled: 1-line block ×8, first 2 shown]
	s_and_saveexec_b32 s2, vcc_lo
	s_cbranch_execz .LBB149_60
; %bb.59:                               ;   in Loop: Header=BB149_53 Depth=1
	v_add_nc_u64_e32 v[4:5], v[58:59], v[56:57]
	v_add_nc_u64_e32 v[6:7], v[60:61], v[56:57]
	v_dual_mov_b32 v19, v2 :: v_dual_mov_b32 v20, v2
	v_dual_mov_b32 v21, v2 :: v_dual_mov_b32 v22, v2
	;; [unrolled: 1-line block ×3, first 2 shown]
	global_load_b32 v18, v[4:5], off
	global_load_b32 v10, v[6:7], off
	v_dual_mov_b32 v25, v2 :: v_dual_mov_b32 v11, v2
	v_dual_mov_b32 v12, v2 :: v_dual_mov_b32 v13, v2
	;; [unrolled: 1-line block ×4, first 2 shown]
.LBB149_60:                             ;   in Loop: Header=BB149_53 Depth=1
	s_wait_xcnt 0x0
	s_or_b32 exec_lo, exec_lo, s2
	v_add_nc_u64_e32 v[4:5], s[10:11], v[90:91]
	s_mov_b32 s2, exec_lo
	s_delay_alu instid0(VALU_DEP_1)
	v_cmpx_gt_i64_e64 s[4:5], v[4:5]
	s_cbranch_execz .LBB149_62
; %bb.61:                               ;   in Loop: Header=BB149_53 Depth=1
	v_add_nc_u64_e32 v[4:5], v[86:87], v[56:57]
	v_add_nc_u64_e32 v[6:7], v[88:89], v[56:57]
	global_load_b32 v19, v[4:5], off
	global_load_b32 v11, v[6:7], off
.LBB149_62:                             ;   in Loop: Header=BB149_53 Depth=1
	s_wait_xcnt 0x0
	s_or_b32 exec_lo, exec_lo, s2
	v_add_nc_u64_e32 v[4:5], s[20:21], v[90:91]
	s_mov_b32 s2, exec_lo
	s_delay_alu instid0(VALU_DEP_1)
	v_cmpx_gt_i64_e64 s[4:5], v[4:5]
	s_cbranch_execz .LBB149_64
; %bb.63:                               ;   in Loop: Header=BB149_53 Depth=1
	v_add_nc_u64_e32 v[4:5], v[82:83], v[56:57]
	v_add_nc_u64_e32 v[6:7], v[84:85], v[56:57]
	global_load_b32 v20, v[4:5], off
	global_load_b32 v12, v[6:7], off
.LBB149_64:                             ;   in Loop: Header=BB149_53 Depth=1
	;; [unrolled: 13-line block ×7, first 2 shown]
	s_wait_xcnt 0x0
	s_or_b32 exec_lo, exec_lo, s2
	s_wait_loadcnt 0x0
	ds_bpermute_b32 v4, v2, v94
	ds_bpermute_b32 v5, v2, v94 offset:4
	ds_bpermute_b32 v6, v2, v94 offset:8
	;; [unrolled: 1-line block ×3, first 2 shown]
	v_pk_mul_f32 v[8:9], v[10:11], v[18:19]
	ds_bpermute_b32 v10, v2, v94 offset:16
	ds_bpermute_b32 v11, v2, v94 offset:20
	s_mov_b32 s2, 0
	s_wait_dscnt 0x4
	v_pk_mul_f32 v[4:5], v[8:9], v[4:5]
	v_pk_mul_f32 v[8:9], v[12:13], v[20:21]
	s_delay_alu instid0(VALU_DEP_2)
	v_add_f32_e32 v3, v93, v4
	ds_bpermute_b32 v4, v2, v94 offset:24
	s_wait_dscnt 0x3
	v_pk_mul_f32 v[6:7], v[8:9], v[6:7]
	v_pk_mul_f32 v[8:9], v[14:15], v[22:23]
	v_add_f32_e32 v3, v3, v5
	ds_bpermute_b32 v5, v2, v94 offset:28
	s_wait_dscnt 0x2
	v_pk_mul_f32 v[8:9], v[8:9], v[10:11]
	v_add_f32_e32 v3, v3, v6
	s_delay_alu instid0(VALU_DEP_1) | instskip(SKIP_1) | instid1(VALU_DEP_2)
	v_add_f32_e32 v3, v3, v7
	v_pk_mul_f32 v[6:7], v[16:17], v[24:25]
	v_add_f32_e32 v3, v3, v8
	s_delay_alu instid0(VALU_DEP_1) | instskip(SKIP_1) | instid1(VALU_DEP_3)
	v_add_f32_e32 v3, v3, v9
	s_wait_dscnt 0x0
	v_pk_mul_f32 v[4:5], v[6:7], v[4:5]
	s_delay_alu instid0(VALU_DEP_1) | instskip(NEXT) | instid1(VALU_DEP_1)
	v_add_f32_e32 v3, v3, v4
	v_add_f32_e32 v3, v3, v5
.LBB149_75:                             ;   in Loop: Header=BB149_53 Depth=1
	s_and_b32 vcc_lo, exec_lo, s2
	s_cbranch_vccz .LBB149_81
; %bb.76:                               ;   in Loop: Header=BB149_53 Depth=1
	s_load_b32 s2, s[34:35], 0x0
	s_wait_kmcnt 0x0
	s_cmp_lt_u32 s12, s2
	s_cselect_b32 s2, 12, 18
	s_delay_alu instid0(SALU_CYCLE_1) | instskip(SKIP_4) | instid1(VALU_DEP_1)
	s_add_nc_u64 s[40:41], s[34:35], s[2:3]
	s_load_u16 s2, s[40:41], 0x0
	s_wait_kmcnt 0x0
	v_mad_u32_u24 v3, v1, s2, v92
	s_mov_b32 s2, exec_lo
	v_dual_mov_b32 v3, 0 :: v_dual_bitop2_b32 v4, 31, v3 bitop3:0x40
	s_delay_alu instid0(VALU_DEP_1)
	v_cmpx_gt_u32_e32 8, v4
	s_cbranch_execz .LBB149_80
; %bb.77:                               ;   in Loop: Header=BB149_53 Depth=1
	v_dual_mov_b32 v5, v2 :: v_dual_mov_b32 v3, 0
	s_mov_b32 s13, exec_lo
	s_delay_alu instid0(VALU_DEP_1) | instskip(NEXT) | instid1(VALU_DEP_1)
	v_add_nc_u64_e32 v[4:5], v[90:91], v[4:5]
	v_add_nc_u64_e32 v[4:5], s[8:9], v[4:5]
	s_delay_alu instid0(VALU_DEP_1)
	v_cmpx_gt_i64_e64 s[4:5], v[4:5]
	s_cbranch_execz .LBB149_79
; %bb.78:                               ;   in Loop: Header=BB149_53 Depth=1
	v_lshl_add_u64 v[4:5], v[4:5], 2, s[14:15]
	global_load_b32 v3, v[4:5], off
.LBB149_79:                             ;   in Loop: Header=BB149_53 Depth=1
	s_wait_xcnt 0x0
	s_or_b32 exec_lo, exec_lo, s13
.LBB149_80:                             ;   in Loop: Header=BB149_53 Depth=1
	s_delay_alu instid0(SALU_CYCLE_1)
	s_or_b32 exec_lo, exec_lo, s2
	v_add_nc_u64_e32 v[4:5], v[58:59], v[56:57]
	v_add_nc_u64_e32 v[6:7], v[60:61], v[56:57]
	v_add_nc_u64_e32 v[8:9], v[28:29], v[56:57]
	v_add_nc_u64_e32 v[10:11], v[38:39], v[56:57]
	v_add_nc_u64_e32 v[12:13], v[32:33], v[56:57]
	v_add_nc_u64_e32 v[14:15], v[42:43], v[56:57]
	v_add_nc_u64_e32 v[16:17], v[34:35], v[56:57]
	global_load_b32 v4, v[4:5], off
	global_load_b32 v6, v[6:7], off
	;; [unrolled: 1-line block ×4, first 2 shown]
	s_wait_xcnt 0x1
	v_add_nc_u64_e32 v[8:9], v[30:31], v[56:57]
	s_wait_xcnt 0x0
	v_add_nc_u64_e32 v[10:11], v[40:41], v[56:57]
	v_add_nc_u64_e32 v[18:19], v[48:49], v[56:57]
	;; [unrolled: 1-line block ×4, first 2 shown]
	global_load_b32 v8, v[8:9], off
	global_load_b32 v10, v[10:11], off
	;; [unrolled: 1-line block ×4, first 2 shown]
	s_wait_xcnt 0x1
	v_add_nc_u64_e32 v[12:13], v[46:47], v[56:57]
	s_wait_xcnt 0x0
	v_add_nc_u64_e32 v[14:15], v[36:37], v[56:57]
	global_load_b32 v16, v[16:17], off
	global_load_b32 v12, v[12:13], off
	;; [unrolled: 1-line block ×4, first 2 shown]
	s_wait_xcnt 0x1
	v_add_nc_u64_e32 v[14:15], v[44:45], v[56:57]
	s_wait_xcnt 0x0
	v_add_nc_u64_e32 v[18:19], v[50:51], v[56:57]
	global_load_b32 v14, v[14:15], off
	global_load_b32 v18, v[18:19], off
	;; [unrolled: 1-line block ×4, first 2 shown]
	s_wait_loadcnt 0x10
	s_wait_xcnt 0x1
	ds_bpermute_b32 v20, v2, v3
	ds_bpermute_b32 v21, v2, v3 offset:4
	s_wait_xcnt 0x0
	ds_bpermute_b32 v22, v2, v3 offset:8
	ds_bpermute_b32 v23, v2, v3 offset:12
	s_wait_loadcnt 0xc
	v_pk_mul_f32 v[4:5], v[4:5], v[6:7]
	ds_bpermute_b32 v6, v2, v3 offset:16
	ds_bpermute_b32 v7, v2, v3 offset:20
	s_wait_dscnt 0x4
	v_pk_mul_f32 v[4:5], v[4:5], v[20:21]
	s_wait_loadcnt 0x8
	v_pk_mul_f32 v[8:9], v[8:9], v[10:11]
	s_wait_dscnt 0x2
	s_delay_alu instid0(VALU_DEP_1)
	v_pk_mul_f32 v[8:9], v[8:9], v[22:23]
	v_add_f32_e32 v10, v93, v4
	ds_bpermute_b32 v4, v2, v3 offset:24
	v_add_f32_e32 v20, v10, v5
	ds_bpermute_b32 v5, v2, v3 offset:28
	s_wait_loadcnt 0x4
	v_pk_mul_f32 v[10:11], v[16:17], v[12:13]
	v_add_f32_e32 v3, v20, v8
	s_wait_dscnt 0x2
	s_delay_alu instid0(VALU_DEP_2) | instskip(NEXT) | instid1(VALU_DEP_2)
	v_pk_mul_f32 v[6:7], v[10:11], v[6:7]
	v_add_f32_e32 v3, v3, v9
	s_wait_loadcnt 0x0
	v_pk_mul_f32 v[8:9], v[14:15], v[18:19]
	s_delay_alu instid0(VALU_DEP_2) | instskip(NEXT) | instid1(VALU_DEP_1)
	v_add_f32_e32 v3, v3, v6
	v_add_f32_e32 v3, v3, v7
	s_wait_dscnt 0x0
	s_delay_alu instid0(VALU_DEP_3) | instskip(NEXT) | instid1(VALU_DEP_1)
	v_pk_mul_f32 v[4:5], v[8:9], v[4:5]
	v_add_f32_e32 v3, v3, v4
	s_delay_alu instid0(VALU_DEP_1)
	v_add_f32_e32 v3, v3, v5
.LBB149_81:                             ;   in Loop: Header=BB149_53 Depth=1
	s_add_nc_u64 s[16:17], s[16:17], s[18:19]
	v_add_nc_u64_e32 v[58:59], s[36:37], v[58:59]
	v_cmp_ge_i64_e64 s2, s[16:17], s[4:5]
	v_add_nc_u64_e32 v[60:61], s[36:37], v[60:61]
	v_add_nc_u64_e32 v[28:29], s[36:37], v[28:29]
	;; [unrolled: 1-line block ×29, first 2 shown]
	s_and_b32 vcc_lo, exec_lo, s2
	s_add_nc_u64 s[38:39], s[38:39], s[18:19]
	s_cbranch_vccnz .LBB149_83
; %bb.82:                               ;   in Loop: Header=BB149_53 Depth=1
	v_mov_b32_e32 v93, v3
	s_branch .LBB149_53
.LBB149_83:
	v_and_b32_e32 v4, 0x3ff, v0
	v_bfe_u32 v0, v0, 10, 10
	s_mov_b32 s2, exec_lo
	s_delay_alu instid0(VALU_DEP_1) | instskip(SKIP_1) | instid1(VALU_DEP_2)
	v_mad_u32_u24 v1, 0x41, v0, v4
	v_mov_b32_e32 v5, 0
	v_lshl_add_u32 v2, v1, 2, 0
	v_sub_nc_u32_e32 v1, v1, v0
	ds_store_b32 v2, v3
	ds_store_b32 v2, v5 offset:4160
	s_wait_dscnt 0x0
	s_barrier_signal -1
	s_barrier_wait -1
	v_cmpx_gt_u32_e32 0x800, v1
	s_cbranch_execz .LBB149_93
; %bb.84:
	s_load_b64 s[2:3], s[0:1], 0x30
	v_dual_lshrrev_b32 v0, 5, v1 :: v_dual_bitop2_b32 v2, 31, v4 bitop3:0x40
	s_delay_alu instid0(VALU_DEP_1)
	v_cmp_gt_u32_e32 vcc_lo, 16, v2
	v_mul_u32_u24_e32 v5, 0x41, v2
                                        ; implicit-def: $vgpr2
	s_wait_xcnt 0x0
	s_and_saveexec_b32 s0, vcc_lo
; %bb.85:
	s_delay_alu instid0(VALU_DEP_1) | instskip(NEXT) | instid1(VALU_DEP_1)
	v_dual_lshlrev_b32 v2, 2, v0 :: v_dual_lshlrev_b32 v3, 2, v5
	v_add3_u32 v2, 0, v2, v3
	ds_load_b32 v2, v2
; %bb.86:
	s_or_b32 exec_lo, exec_lo, s0
	v_mbcnt_lo_u32_b32 v3, -1, 0
	s_mov_b32 s13, 0
	s_delay_alu instid0(SALU_CYCLE_1)
	s_lshl_b64 s[4:5], s[12:13], 6
	s_wait_kmcnt 0x0
	s_cmp_eq_u64 s[2:3], 0
	v_xor_b32_e32 v6, 8, v3
	s_cselect_b32 s8, -1, 0
	v_xor_b32_e32 v7, 4, v3
	v_xor_b32_e32 v10, 1, v3
	s_delay_alu instid0(VALU_DEP_3) | instskip(NEXT) | instid1(VALU_DEP_1)
	v_cmp_gt_i32_e64 s0, 32, v6
	v_cndmask_b32_e64 v6, v3, v6, s0
	s_delay_alu instid0(VALU_DEP_4) | instskip(NEXT) | instid1(VALU_DEP_1)
	v_cmp_gt_i32_e64 s0, 32, v7
	v_dual_lshlrev_b32 v6, 2, v6 :: v_dual_cndmask_b32 v7, v3, v7, s0
	s_wait_dscnt 0x0
	ds_bpermute_b32 v8, v6, v2
	s_wait_dscnt 0x0
	v_dual_add_f32 v2, v2, v8 :: v_dual_bitop2_b32 v8, 2, v3 bitop3:0x14
	s_delay_alu instid0(VALU_DEP_1) | instskip(NEXT) | instid1(VALU_DEP_1)
	v_cmp_gt_i32_e64 s0, 32, v8
	v_dual_lshlrev_b32 v7, 2, v7 :: v_dual_cndmask_b32 v8, v3, v8, s0
	ds_bpermute_b32 v9, v7, v2
	v_cmp_gt_i32_e64 s0, 32, v10
	s_wait_dscnt 0x0
	v_dual_lshlrev_b32 v8, 2, v8 :: v_dual_add_f32 v2, v2, v9
	ds_bpermute_b32 v9, v8, v2
	v_cndmask_b32_e64 v3, v3, v10, s0
	v_cmp_ne_u32_e64 s0, 0, v4
	s_wait_dscnt 0x0
	s_delay_alu instid0(VALU_DEP_2) | instskip(SKIP_4) | instid1(VALU_DEP_1)
	v_dual_add_f32 v10, v2, v9 :: v_dual_lshlrev_b32 v9, 2, v3
	v_or_b32_e32 v2, s4, v0
	ds_bpermute_b32 v11, v9, v10
	s_wait_dscnt 0x0
	v_dual_mov_b32 v3, s5 :: v_dual_add_f32 v4, v10, v11
	v_cmp_le_i64_e64 s1, s[6:7], v[2:3]
	s_or_b32 s1, s0, s1
	s_delay_alu instid0(SALU_CYCLE_1) | instskip(NEXT) | instid1(SALU_CYCLE_1)
	s_nor_b32 s9, s8, s1
	s_and_saveexec_b32 s1, s9
	s_cbranch_execz .LBB149_88
; %bb.87:
	v_lshl_add_u64 v[2:3], v[2:3], 2, s[2:3]
	global_store_b32 v[2:3], v4, off
.LBB149_88:
	s_wait_xcnt 0x0
	s_or_b32 exec_lo, exec_lo, s1
	v_cmp_gt_u32_e64 s1, 0x400, v1
	s_and_b32 exec_lo, exec_lo, s1
	s_cbranch_execz .LBB149_93
; %bb.89:
	s_and_saveexec_b32 s1, vcc_lo
; %bb.90:
	v_dual_lshlrev_b32 v1, 2, v0 :: v_dual_lshlrev_b32 v2, 2, v5
	s_delay_alu instid0(VALU_DEP_1)
	v_add3_u32 v1, 0, v1, v2
	ds_load_b32 v4, v1 offset:128
; %bb.91:
	s_or_b32 exec_lo, exec_lo, s1
	s_wait_dscnt 0x0
	ds_bpermute_b32 v1, v6, v4
	s_wait_dscnt 0x0
	v_dual_mov_b32 v5, s5 :: v_dual_add_f32 v1, v4, v1
	ds_bpermute_b32 v2, v7, v1
	s_wait_dscnt 0x0
	v_add_f32_e32 v1, v1, v2
	ds_bpermute_b32 v2, v8, v1
	s_wait_dscnt 0x0
	v_dual_add_f32 v2, v1, v2 :: v_dual_add_nc_u32 v1, 32, v0
	ds_bpermute_b32 v3, v9, v2
	v_or_b32_e32 v4, s4, v1
	s_delay_alu instid0(VALU_DEP_1) | instskip(SKIP_1) | instid1(SALU_CYCLE_1)
	v_cmp_le_i64_e32 vcc_lo, s[6:7], v[4:5]
	s_or_b32 s0, s0, vcc_lo
	s_nor_b32 s0, s8, s0
	s_delay_alu instid0(SALU_CYCLE_1) | instskip(NEXT) | instid1(SALU_CYCLE_1)
	s_and_saveexec_b32 s1, s0
	s_xor_b32 s1, exec_lo, s1
	s_cbranch_execz .LBB149_93
; %bb.92:
	s_wait_dscnt 0x0
	v_dual_mov_b32 v1, 0 :: v_dual_add_f32 v2, v2, v3
	s_delay_alu instid0(VALU_DEP_1) | instskip(NEXT) | instid1(VALU_DEP_1)
	v_add_nc_u64_e32 v[0:1], s[4:5], v[0:1]
	v_lshl_add_u64 v[0:1], v[0:1], 2, s[2:3]
	global_store_b32 v[0:1], v2, off offset:128
.LBB149_93:
	s_sendmsg sendmsg(MSG_DEALLOC_VGPRS)
	s_endpgm
	.section	.rodata,"a",@progbits
	.p2align	6, 0x0
	.amdhsa_kernel _ZN2at6native12_GLOBAL__N_135GammaBetaBackwardCUDAKernelTemplateIffLj64ELj16ELj128ELb0ELb0ELb1EEEvllPKT_S5_PKT0_S8_PS3_S9_
		.amdhsa_group_segment_fixed_size 0
		.amdhsa_private_segment_fixed_size 0
		.amdhsa_kernarg_size 320
		.amdhsa_user_sgpr_count 2
		.amdhsa_user_sgpr_dispatch_ptr 0
		.amdhsa_user_sgpr_queue_ptr 0
		.amdhsa_user_sgpr_kernarg_segment_ptr 1
		.amdhsa_user_sgpr_dispatch_id 0
		.amdhsa_user_sgpr_kernarg_preload_length 0
		.amdhsa_user_sgpr_kernarg_preload_offset 0
		.amdhsa_user_sgpr_private_segment_size 0
		.amdhsa_wavefront_size32 1
		.amdhsa_uses_dynamic_stack 0
		.amdhsa_enable_private_segment 0
		.amdhsa_system_sgpr_workgroup_id_x 1
		.amdhsa_system_sgpr_workgroup_id_y 1
		.amdhsa_system_sgpr_workgroup_id_z 0
		.amdhsa_system_sgpr_workgroup_info 0
		.amdhsa_system_vgpr_workitem_id 1
		.amdhsa_next_free_vgpr 95
		.amdhsa_next_free_sgpr 50
		.amdhsa_named_barrier_count 0
		.amdhsa_reserve_vcc 1
		.amdhsa_float_round_mode_32 0
		.amdhsa_float_round_mode_16_64 0
		.amdhsa_float_denorm_mode_32 3
		.amdhsa_float_denorm_mode_16_64 3
		.amdhsa_fp16_overflow 0
		.amdhsa_memory_ordered 1
		.amdhsa_forward_progress 1
		.amdhsa_inst_pref_size 46
		.amdhsa_round_robin_scheduling 0
		.amdhsa_exception_fp_ieee_invalid_op 0
		.amdhsa_exception_fp_denorm_src 0
		.amdhsa_exception_fp_ieee_div_zero 0
		.amdhsa_exception_fp_ieee_overflow 0
		.amdhsa_exception_fp_ieee_underflow 0
		.amdhsa_exception_fp_ieee_inexact 0
		.amdhsa_exception_int_div_zero 0
	.end_amdhsa_kernel
	.section	.text._ZN2at6native12_GLOBAL__N_135GammaBetaBackwardCUDAKernelTemplateIffLj64ELj16ELj128ELb0ELb0ELb1EEEvllPKT_S5_PKT0_S8_PS3_S9_,"axG",@progbits,_ZN2at6native12_GLOBAL__N_135GammaBetaBackwardCUDAKernelTemplateIffLj64ELj16ELj128ELb0ELb0ELb1EEEvllPKT_S5_PKT0_S8_PS3_S9_,comdat
.Lfunc_end149:
	.size	_ZN2at6native12_GLOBAL__N_135GammaBetaBackwardCUDAKernelTemplateIffLj64ELj16ELj128ELb0ELb0ELb1EEEvllPKT_S5_PKT0_S8_PS3_S9_, .Lfunc_end149-_ZN2at6native12_GLOBAL__N_135GammaBetaBackwardCUDAKernelTemplateIffLj64ELj16ELj128ELb0ELb0ELb1EEEvllPKT_S5_PKT0_S8_PS3_S9_
                                        ; -- End function
	.set _ZN2at6native12_GLOBAL__N_135GammaBetaBackwardCUDAKernelTemplateIffLj64ELj16ELj128ELb0ELb0ELb1EEEvllPKT_S5_PKT0_S8_PS3_S9_.num_vgpr, 95
	.set _ZN2at6native12_GLOBAL__N_135GammaBetaBackwardCUDAKernelTemplateIffLj64ELj16ELj128ELb0ELb0ELb1EEEvllPKT_S5_PKT0_S8_PS3_S9_.num_agpr, 0
	.set _ZN2at6native12_GLOBAL__N_135GammaBetaBackwardCUDAKernelTemplateIffLj64ELj16ELj128ELb0ELb0ELb1EEEvllPKT_S5_PKT0_S8_PS3_S9_.numbered_sgpr, 50
	.set _ZN2at6native12_GLOBAL__N_135GammaBetaBackwardCUDAKernelTemplateIffLj64ELj16ELj128ELb0ELb0ELb1EEEvllPKT_S5_PKT0_S8_PS3_S9_.num_named_barrier, 0
	.set _ZN2at6native12_GLOBAL__N_135GammaBetaBackwardCUDAKernelTemplateIffLj64ELj16ELj128ELb0ELb0ELb1EEEvllPKT_S5_PKT0_S8_PS3_S9_.private_seg_size, 0
	.set _ZN2at6native12_GLOBAL__N_135GammaBetaBackwardCUDAKernelTemplateIffLj64ELj16ELj128ELb0ELb0ELb1EEEvllPKT_S5_PKT0_S8_PS3_S9_.uses_vcc, 1
	.set _ZN2at6native12_GLOBAL__N_135GammaBetaBackwardCUDAKernelTemplateIffLj64ELj16ELj128ELb0ELb0ELb1EEEvllPKT_S5_PKT0_S8_PS3_S9_.uses_flat_scratch, 0
	.set _ZN2at6native12_GLOBAL__N_135GammaBetaBackwardCUDAKernelTemplateIffLj64ELj16ELj128ELb0ELb0ELb1EEEvllPKT_S5_PKT0_S8_PS3_S9_.has_dyn_sized_stack, 0
	.set _ZN2at6native12_GLOBAL__N_135GammaBetaBackwardCUDAKernelTemplateIffLj64ELj16ELj128ELb0ELb0ELb1EEEvllPKT_S5_PKT0_S8_PS3_S9_.has_recursion, 0
	.set _ZN2at6native12_GLOBAL__N_135GammaBetaBackwardCUDAKernelTemplateIffLj64ELj16ELj128ELb0ELb0ELb1EEEvllPKT_S5_PKT0_S8_PS3_S9_.has_indirect_call, 0
	.section	.AMDGPU.csdata,"",@progbits
; Kernel info:
; codeLenInByte = 5772
; TotalNumSgprs: 52
; NumVgprs: 95
; ScratchSize: 0
; MemoryBound: 0
; FloatMode: 240
; IeeeMode: 1
; LDSByteSize: 0 bytes/workgroup (compile time only)
; SGPRBlocks: 0
; VGPRBlocks: 5
; NumSGPRsForWavesPerEU: 52
; NumVGPRsForWavesPerEU: 95
; NamedBarCnt: 0
; Occupancy: 10
; WaveLimiterHint : 0
; COMPUTE_PGM_RSRC2:SCRATCH_EN: 0
; COMPUTE_PGM_RSRC2:USER_SGPR: 2
; COMPUTE_PGM_RSRC2:TRAP_HANDLER: 0
; COMPUTE_PGM_RSRC2:TGID_X_EN: 1
; COMPUTE_PGM_RSRC2:TGID_Y_EN: 1
; COMPUTE_PGM_RSRC2:TGID_Z_EN: 0
; COMPUTE_PGM_RSRC2:TIDIG_COMP_CNT: 1
	.section	.text._ZN2at6native12_GLOBAL__N_135GammaBetaBackwardCUDAKernelTemplateIffLj64ELj16ELj256ELb0ELb1ELb1EEEvllPKT_S5_PKT0_S8_PS3_S9_,"axG",@progbits,_ZN2at6native12_GLOBAL__N_135GammaBetaBackwardCUDAKernelTemplateIffLj64ELj16ELj256ELb0ELb1ELb1EEEvllPKT_S5_PKT0_S8_PS3_S9_,comdat
	.globl	_ZN2at6native12_GLOBAL__N_135GammaBetaBackwardCUDAKernelTemplateIffLj64ELj16ELj256ELb0ELb1ELb1EEEvllPKT_S5_PKT0_S8_PS3_S9_ ; -- Begin function _ZN2at6native12_GLOBAL__N_135GammaBetaBackwardCUDAKernelTemplateIffLj64ELj16ELj256ELb0ELb1ELb1EEEvllPKT_S5_PKT0_S8_PS3_S9_
	.p2align	8
	.type	_ZN2at6native12_GLOBAL__N_135GammaBetaBackwardCUDAKernelTemplateIffLj64ELj16ELj256ELb0ELb1ELb1EEEvllPKT_S5_PKT0_S8_PS3_S9_,@function
_ZN2at6native12_GLOBAL__N_135GammaBetaBackwardCUDAKernelTemplateIffLj64ELj16ELj256ELb0ELb1ELb1EEEvllPKT_S5_PKT0_S8_PS3_S9_: ; @_ZN2at6native12_GLOBAL__N_135GammaBetaBackwardCUDAKernelTemplateIffLj64ELj16ELj256ELb0ELb1ELb1EEEvllPKT_S5_PKT0_S8_PS3_S9_
; %bb.0:
	s_load_b128 s[4:7], s[0:1], 0x0
	s_bfe_u32 s2, ttmp6, 0x40010
	s_bfe_u32 s3, ttmp6, 0x40004
	s_add_co_i32 s2, s2, 1
	s_getreg_b32 s20, hwreg(HW_REG_IB_STS2, 6, 4)
	s_mul_i32 s2, ttmp7, s2
	s_mov_b32 s13, 0
	s_add_co_i32 s3, s3, s2
	s_cmp_eq_u32 s20, 0
	v_bfe_u32 v9, v0, 10, 10
	s_cselect_b32 s2, ttmp7, s3
	s_delay_alu instid0(SALU_CYCLE_1)
	s_lshl_b32 s12, s2, 8
	s_wait_kmcnt 0x0
	v_cmp_gt_i64_e64 s2, s[4:5], s[12:13]
	s_and_b32 vcc_lo, exec_lo, s2
	s_cbranch_vccnz .LBB150_2
; %bb.1:
	v_bfe_u32 v1, v0, 10, 10
	s_mov_b32 s2, s13
	v_and_b32_e32 v8, 0x3ff, v0
	v_mov_b32_e32 v24, 0
	s_and_not1_b32 vcc_lo, exec_lo, s2
	s_cbranch_vccz .LBB150_3
	s_branch .LBB150_10
.LBB150_2:
                                        ; implicit-def: $vgpr1
	v_and_b32_e32 v8, 0x3ff, v0
	v_mov_b32_e32 v24, 0
.LBB150_3:
	v_dual_mov_b32 v1, 0 :: v_dual_lshlrev_b32 v0, 4, v9
	s_clause 0x1
	s_load_b32 s2, s[0:1], 0x44
	s_load_b32 s3, s[0:1], 0x4c
	s_bfe_u32 s18, ttmp6, 0x4000c
	s_clause 0x1
	s_load_b128 s[8:11], s[0:1], 0x10
	s_load_b64 s[16:17], s[0:1], 0x28
	s_add_co_i32 s18, s18, 1
	v_add_nc_u64_e32 v[2:3], s[12:13], v[0:1]
	s_and_b32 s14, ttmp6, 15
	s_mul_i32 s18, ttmp9, s18
	v_dual_mov_b32 v5, v1 :: v_dual_mov_b32 v23, v1
	s_add_co_i32 s14, s14, s18
	s_mov_b32 s15, 0
	s_delay_alu instid0(VALU_DEP_2)
	v_mul_u64_e32 v[6:7], s[6:7], v[2:3]
	v_dual_mov_b32 v0, 16 :: v_dual_mov_b32 v10, 4
	v_dual_mov_b32 v11, 8 :: v_dual_mov_b32 v12, 12
	;; [unrolled: 1-line block ×4, first 2 shown]
	s_wait_kmcnt 0x0
	s_and_b32 s3, s3, 0xffff
	s_cmp_eq_u32 s20, 0
	v_mad_u32_u24 v4, v9, s3, v8
	s_cselect_b32 s3, ttmp9, s14
	s_lshl_b32 s14, s2, 8
	v_lshl_add_u32 v22, s3, 6, v8
	s_delay_alu instid0(VALU_DEP_2) | instskip(SKIP_1) | instid1(VALU_DEP_3)
	v_dual_mov_b32 v19, 44 :: v_dual_bitop2_b32 v4, 31, v4 bitop3:0x40
	v_dual_mov_b32 v17, 36 :: v_dual_mov_b32 v18, 40
	v_lshlrev_b64_e32 v[24:25], 2, v[22:23]
	v_dual_mov_b32 v20, 48 :: v_dual_mov_b32 v21, 52
	s_delay_alu instid0(VALU_DEP_4)
	v_add_nc_u64_e32 v[2:3], v[2:3], v[4:5]
	v_dual_mov_b32 v22, 56 :: v_dual_mov_b32 v23, 60
	v_cmp_gt_u32_e64 s2, 16, v4
	s_mul_u64 s[18:19], s[6:7], s[14:15]
	s_lshl_b64 s[6:7], s[6:7], 2
	s_lshl_b64 s[18:19], s[18:19], 2
	v_lshl_add_u64 v[4:5], v[2:3], 2, s[16:17]
	s_lshl_b64 s[16:17], s[14:15], 2
	v_lshl_add_u64 v[6:7], v[6:7], 2, v[24:25]
	v_mov_b32_e32 v24, 0
	s_branch .LBB150_6
.LBB150_4:                              ;   in Loop: Header=BB150_6 Depth=1
	s_wait_xcnt 0x0
	s_or_b32 exec_lo, exec_lo, s21
.LBB150_5:                              ;   in Loop: Header=BB150_6 Depth=1
	s_delay_alu instid0(SALU_CYCLE_1)
	s_or_b32 exec_lo, exec_lo, s3
	v_add_nc_u64_e32 v[26:27], s[8:9], v[6:7]
	v_add_nc_u64_e32 v[28:29], s[10:11], v[6:7]
	s_add_nc_u64 s[12:13], s[12:13], s[14:15]
	v_add_nc_u64_e32 v[4:5], s[16:17], v[4:5]
	v_cmp_lt_i64_e64 s3, s[12:13], s[4:5]
	v_add_nc_u64_e32 v[2:3], s[14:15], v[2:3]
	v_add_nc_u64_e32 v[6:7], s[18:19], v[6:7]
	;; [unrolled: 1-line block ×4, first 2 shown]
	global_load_b32 v56, v[26:27], off
	global_load_b32 v57, v[28:29], off
	s_and_b32 vcc_lo, exec_lo, s3
	v_add_nc_u64_e32 v[34:35], s[6:7], v[30:31]
	v_add_nc_u64_e32 v[36:37], s[6:7], v[32:33]
	global_load_b32 v58, v[30:31], off
	global_load_b32 v59, v[32:33], off
	;; [unrolled: 1-line block ×3, first 2 shown]
	v_add_nc_u64_e32 v[38:39], s[6:7], v[34:35]
	v_add_nc_u64_e32 v[40:41], s[6:7], v[36:37]
	s_delay_alu instid0(VALU_DEP_2) | instskip(NEXT) | instid1(VALU_DEP_2)
	v_add_nc_u64_e32 v[42:43], s[6:7], v[38:39]
	v_add_nc_u64_e32 v[44:45], s[6:7], v[40:41]
	global_load_b32 v61, v[36:37], off
	global_load_b32 v62, v[38:39], off
	;; [unrolled: 1-line block ×5, first 2 shown]
	v_add_nc_u64_e32 v[46:47], s[6:7], v[42:43]
	v_add_nc_u64_e32 v[26:27], s[6:7], v[44:45]
	global_load_b32 v35, v[46:47], off
	global_load_b32 v53, v[26:27], off
	v_add_nc_u64_e32 v[48:49], s[6:7], v[46:47]
	v_add_nc_u64_e32 v[28:29], s[6:7], v[26:27]
	s_delay_alu instid0(VALU_DEP_2) | instskip(NEXT) | instid1(VALU_DEP_2)
	v_add_nc_u64_e32 v[50:51], s[6:7], v[48:49]
	v_add_nc_u64_e32 v[30:31], s[6:7], v[28:29]
	global_load_b32 v42, v[48:49], off
	global_load_b32 v44, v[28:29], off
	;; [unrolled: 1-line block ×4, first 2 shown]
	v_add_nc_u64_e32 v[32:33], s[6:7], v[50:51]
	v_add_nc_u64_e32 v[36:37], s[6:7], v[30:31]
	s_delay_alu instid0(VALU_DEP_2) | instskip(SKIP_1) | instid1(VALU_DEP_2)
	v_add_nc_u64_e32 v[38:39], s[6:7], v[32:33]
	s_wait_xcnt 0x4
	v_add_nc_u64_e32 v[26:27], s[6:7], v[36:37]
	global_load_b32 v32, v[32:33], off
	global_load_b32 v50, v[36:37], off
	;; [unrolled: 1-line block ×4, first 2 shown]
	v_add_nc_u64_e32 v[40:41], s[6:7], v[38:39]
	v_add_nc_u64_e32 v[28:29], s[6:7], v[26:27]
	s_delay_alu instid0(VALU_DEP_2) | instskip(NEXT) | instid1(VALU_DEP_2)
	v_add_nc_u64_e32 v[30:31], s[6:7], v[40:41]
	v_add_nc_u64_e32 v[46:47], s[6:7], v[28:29]
	global_load_b32 v38, v[40:41], off
	global_load_b32 v54, v[28:29], off
	;; [unrolled: 1-line block ×4, first 2 shown]
	v_add_nc_u64_e32 v[48:49], s[6:7], v[30:31]
	s_wait_xcnt 0x4
	v_add_nc_u64_e32 v[26:27], s[6:7], v[46:47]
	s_delay_alu instid0(VALU_DEP_2) | instskip(SKIP_1) | instid1(VALU_DEP_2)
	v_add_nc_u64_e32 v[36:37], s[6:7], v[48:49]
	s_wait_xcnt 0x2
	v_add_nc_u64_e32 v[28:29], s[6:7], v[26:27]
	global_load_b32 v40, v[48:49], off
	global_load_b32 v46, v[26:27], off
	;; [unrolled: 1-line block ×4, first 2 shown]
	s_wait_loadcnt 0x1c
	s_wait_xcnt 0x3
	ds_bpermute_b32 v48, v11, v25
	v_add_nc_u64_e32 v[30:31], s[6:7], v[36:37]
	s_wait_xcnt 0x0
	v_add_nc_u64_e32 v[28:29], s[6:7], v[28:29]
	ds_bpermute_b32 v49, v12, v25
	v_add_nc_u64_e32 v[26:27], s[6:7], v[30:31]
	global_load_b32 v36, v[30:31], off
	global_load_b32 v37, v[26:27], off
	s_wait_xcnt 0x0
	v_add_nc_u64_e32 v[26:27], s[6:7], v[28:29]
	global_load_b32 v30, v[28:29], off
	global_load_b32 v31, v[26:27], off
	s_wait_xcnt 0x0
	ds_bpermute_b32 v26, v1, v25
	ds_bpermute_b32 v28, v10, v25
	s_wait_loadcnt 0x1c
	v_dual_mul_f32 v27, v56, v57 :: v_dual_mul_f32 v29, v58, v59
	s_wait_dscnt 0x1
	s_delay_alu instid0(VALU_DEP_1)
	v_fmac_f32_e32 v24, v27, v26
	ds_bpermute_b32 v26, v0, v25
	ds_bpermute_b32 v27, v13, v25
	s_wait_loadcnt_dscnt 0x1a02
	v_dual_mul_f32 v56, v60, v61 :: v_dual_fmac_f32 v24, v29, v28
	ds_bpermute_b32 v28, v14, v25
	ds_bpermute_b32 v29, v15, v25
	s_wait_loadcnt 0x18
	v_dual_fmac_f32 v24, v56, v48 :: v_dual_mul_f32 v48, v62, v63
	s_delay_alu instid0(VALU_DEP_1) | instskip(SKIP_3) | instid1(VALU_DEP_1)
	v_fmac_f32_e32 v24, v48, v49
	s_wait_loadcnt 0x14
	v_pk_mul_f32 v[34:35], v[34:35], v[52:53]
	s_wait_dscnt 0x2
	v_pk_mul_f32 v[26:27], v[34:35], v[26:27]
	ds_bpermute_b32 v34, v16, v25
	ds_bpermute_b32 v35, v17, v25
	v_add_f32_e32 v24, v24, v26
	s_wait_loadcnt 0x10
	v_pk_mul_f32 v[42:43], v[42:43], v[44:45]
	s_delay_alu instid0(VALU_DEP_2) | instskip(SKIP_1) | instid1(VALU_DEP_2)
	v_add_f32_e32 v24, v24, v27
	s_wait_dscnt 0x2
	v_pk_mul_f32 v[26:27], v[42:43], v[28:29]
	ds_bpermute_b32 v28, v18, v25
	ds_bpermute_b32 v29, v19, v25
	v_add_f32_e32 v24, v24, v26
	s_wait_loadcnt 0xc
	v_pk_mul_f32 v[32:33], v[32:33], v[50:51]
	s_delay_alu instid0(VALU_DEP_2) | instskip(SKIP_1) | instid1(VALU_DEP_2)
	v_add_f32_e32 v24, v24, v27
	s_wait_dscnt 0x2
	v_pk_mul_f32 v[26:27], v[32:33], v[34:35]
	ds_bpermute_b32 v32, v20, v25
	ds_bpermute_b32 v33, v21, v25
	v_add_f32_e32 v24, v24, v26
	s_wait_loadcnt 0x8
	v_pk_mul_f32 v[34:35], v[38:39], v[54:55]
	s_delay_alu instid0(VALU_DEP_2) | instskip(SKIP_4) | instid1(VALU_DEP_1)
	v_add_f32_e32 v38, v24, v27
	ds_bpermute_b32 v24, v22, v25
	ds_bpermute_b32 v25, v23, v25
	s_wait_dscnt 0x4
	v_pk_mul_f32 v[26:27], v[34:35], v[28:29]
	v_add_f32_e32 v26, v38, v26
	s_wait_loadcnt 0x4
	v_pk_mul_f32 v[28:29], v[40:41], v[46:47]
	s_delay_alu instid0(VALU_DEP_2) | instskip(SKIP_1) | instid1(VALU_DEP_2)
	v_add_f32_e32 v34, v26, v27
	s_wait_dscnt 0x2
	v_pk_mul_f32 v[26:27], v[28:29], v[32:33]
	s_delay_alu instid0(VALU_DEP_1) | instskip(NEXT) | instid1(VALU_DEP_1)
	v_add_f32_e32 v26, v34, v26
	v_add_f32_e32 v26, v26, v27
	s_wait_loadcnt 0x0
	v_pk_mul_f32 v[28:29], v[36:37], v[30:31]
	s_wait_dscnt 0x0
	s_delay_alu instid0(VALU_DEP_1) | instskip(NEXT) | instid1(VALU_DEP_1)
	v_pk_mul_f32 v[24:25], v[28:29], v[24:25]
	v_add_f32_e32 v24, v26, v24
	s_delay_alu instid0(VALU_DEP_1)
	v_add_f32_e32 v24, v24, v25
	s_cbranch_vccz .LBB150_9
.LBB150_6:                              ; =>This Inner Loop Header: Depth=1
	v_mov_b32_e32 v25, 0
	s_and_saveexec_b32 s3, s2
	s_cbranch_execz .LBB150_5
; %bb.7:                                ;   in Loop: Header=BB150_6 Depth=1
	v_mov_b32_e32 v25, 0
	s_mov_b32 s21, exec_lo
	v_cmpx_gt_i64_e64 s[4:5], v[2:3]
	s_cbranch_execz .LBB150_4
; %bb.8:                                ;   in Loop: Header=BB150_6 Depth=1
	global_load_b32 v25, v[4:5], off
	s_branch .LBB150_4
.LBB150_9:
	v_mov_b32_e32 v1, v9
.LBB150_10:
	s_load_b64 s[2:3], s[0:1], 0x30
	s_delay_alu instid0(VALU_DEP_1) | instskip(SKIP_3) | instid1(VALU_DEP_2)
	v_mad_u32_u24 v0, 0x41, v1, v8
	v_mov_b32_e32 v3, 0
	s_wait_xcnt 0x0
	s_mov_b32 s0, exec_lo
	v_lshl_add_u32 v2, v0, 2, 0
	v_sub_nc_u32_e32 v1, v0, v1
	ds_store_b32 v2, v24
	ds_store_b32 v2, v3 offset:4160
	s_wait_dscnt 0x0
	s_barrier_signal -1
	s_barrier_wait -1
	v_cmpx_gt_u32_e32 0x800, v1
	s_cbranch_execz .LBB150_20
; %bb.11:
	v_dual_lshrrev_b32 v0, 5, v1 :: v_dual_bitop2_b32 v2, 31, v8 bitop3:0x40
                                        ; implicit-def: $vgpr5
	s_delay_alu instid0(VALU_DEP_1)
	v_cmp_gt_u32_e32 vcc_lo, 16, v2
	v_mul_u32_u24_e32 v2, 0x41, v2
	s_and_saveexec_b32 s0, vcc_lo
; %bb.12:
	s_delay_alu instid0(VALU_DEP_1) | instskip(NEXT) | instid1(VALU_DEP_1)
	v_dual_lshlrev_b32 v3, 2, v0 :: v_dual_lshlrev_b32 v4, 2, v2
	v_add3_u32 v3, 0, v3, v4
	ds_load_b32 v5, v3
; %bb.13:
	s_or_b32 exec_lo, exec_lo, s0
	v_mbcnt_lo_u32_b32 v6, -1, 0
	s_wait_kmcnt 0x0
	s_cmp_lg_u64 s[2:3], 0
	s_cselect_b32 s1, -1, 0
	s_bfe_u32 s4, ttmp6, 0x4000c
	v_xor_b32_e32 v4, 4, v6
	v_xor_b32_e32 v3, 8, v6
	s_add_co_i32 s4, s4, 1
	s_and_b32 s5, ttmp6, 15
	s_mul_i32 s4, ttmp9, s4
	v_xor_b32_e32 v10, 1, v6
	v_cmp_gt_i32_e64 s0, 32, v3
	s_delay_alu instid0(VALU_DEP_1) | instskip(SKIP_1) | instid1(VALU_DEP_1)
	v_cndmask_b32_e64 v3, v6, v3, s0
	v_cmp_gt_i32_e64 s0, 32, v4
	v_cndmask_b32_e64 v4, v6, v4, s0
	s_delay_alu instid0(VALU_DEP_1)
	v_dual_lshlrev_b32 v4, 2, v4 :: v_dual_lshlrev_b32 v3, 2, v3
	s_wait_dscnt 0x0
	ds_bpermute_b32 v7, v3, v5
	s_wait_dscnt 0x0
	v_dual_add_f32 v7, v5, v7 :: v_dual_bitop2_b32 v5, 2, v6 bitop3:0x14
	ds_bpermute_b32 v9, v4, v7
	v_cmp_gt_i32_e64 s0, 32, v5
	s_delay_alu instid0(VALU_DEP_1) | instskip(SKIP_1) | instid1(VALU_DEP_1)
	v_cndmask_b32_e64 v5, v6, v5, s0
	v_cmp_gt_i32_e64 s0, 32, v10
	v_dual_lshlrev_b32 v5, 2, v5 :: v_dual_cndmask_b32 v6, v6, v10, s0
	v_cmp_eq_u32_e64 s0, 0, v8
	s_delay_alu instid0(VALU_DEP_2)
	v_lshlrev_b32_e32 v6, 2, v6
	s_and_b32 s1, s0, s1
	s_add_co_i32 s0, s5, s4
	s_wait_dscnt 0x0
	v_add_f32_e32 v7, v7, v9
	s_cmp_eq_u32 s20, 0
	s_mov_b32 s5, 0
	s_cselect_b32 s4, ttmp9, s0
	ds_bpermute_b32 v9, v5, v7
	s_lshl_b64 s[4:5], s[4:5], 8
	s_delay_alu instid0(SALU_CYCLE_1)
	s_add_nc_u64 s[2:3], s[2:3], s[4:5]
	s_wait_dscnt 0x0
	v_add_f32_e32 v7, v7, v9
	ds_bpermute_b32 v9, v6, v7
	s_wait_dscnt 0x0
	v_add_f32_e32 v7, v7, v9
	s_and_saveexec_b32 s0, s1
	s_cbranch_execz .LBB150_15
; %bb.14:
	global_store_b32 v0, v7, s[2:3] scale_offset
.LBB150_15:
	s_wait_xcnt 0x0
	s_or_b32 exec_lo, exec_lo, s0
	v_cmp_gt_u32_e64 s0, 0x400, v1
	s_and_b32 exec_lo, exec_lo, s0
	s_cbranch_execz .LBB150_20
; %bb.16:
	s_and_saveexec_b32 s0, vcc_lo
; %bb.17:
	v_dual_lshlrev_b32 v1, 2, v0 :: v_dual_lshlrev_b32 v2, 2, v2
	s_delay_alu instid0(VALU_DEP_1)
	v_add3_u32 v1, 0, v1, v2
	ds_load_b32 v7, v1 offset:128
; %bb.18:
	s_or_b32 exec_lo, exec_lo, s0
	s_wait_dscnt 0x0
	ds_bpermute_b32 v1, v3, v7
	s_wait_dscnt 0x0
	v_add_f32_e32 v1, v7, v1
	ds_bpermute_b32 v2, v4, v1
	s_wait_dscnt 0x0
	v_add_f32_e32 v1, v1, v2
	;; [unrolled: 3-line block ×3, first 2 shown]
	ds_bpermute_b32 v2, v6, v1
	s_and_saveexec_b32 s0, s1
	s_delay_alu instid0(SALU_CYCLE_1)
	s_xor_b32 s0, exec_lo, s0
	s_cbranch_execz .LBB150_20
; %bb.19:
	s_wait_dscnt 0x0
	v_add_f32_e32 v1, v1, v2
	global_store_b32 v0, v1, s[2:3] offset:128 scale_offset
.LBB150_20:
	s_endpgm
	.section	.rodata,"a",@progbits
	.p2align	6, 0x0
	.amdhsa_kernel _ZN2at6native12_GLOBAL__N_135GammaBetaBackwardCUDAKernelTemplateIffLj64ELj16ELj256ELb0ELb1ELb1EEEvllPKT_S5_PKT0_S8_PS3_S9_
		.amdhsa_group_segment_fixed_size 0
		.amdhsa_private_segment_fixed_size 0
		.amdhsa_kernarg_size 320
		.amdhsa_user_sgpr_count 2
		.amdhsa_user_sgpr_dispatch_ptr 0
		.amdhsa_user_sgpr_queue_ptr 0
		.amdhsa_user_sgpr_kernarg_segment_ptr 1
		.amdhsa_user_sgpr_dispatch_id 0
		.amdhsa_user_sgpr_kernarg_preload_length 0
		.amdhsa_user_sgpr_kernarg_preload_offset 0
		.amdhsa_user_sgpr_private_segment_size 0
		.amdhsa_wavefront_size32 1
		.amdhsa_uses_dynamic_stack 0
		.amdhsa_enable_private_segment 0
		.amdhsa_system_sgpr_workgroup_id_x 1
		.amdhsa_system_sgpr_workgroup_id_y 1
		.amdhsa_system_sgpr_workgroup_id_z 0
		.amdhsa_system_sgpr_workgroup_info 0
		.amdhsa_system_vgpr_workitem_id 1
		.amdhsa_next_free_vgpr 64
		.amdhsa_next_free_sgpr 22
		.amdhsa_named_barrier_count 0
		.amdhsa_reserve_vcc 1
		.amdhsa_float_round_mode_32 0
		.amdhsa_float_round_mode_16_64 0
		.amdhsa_float_denorm_mode_32 3
		.amdhsa_float_denorm_mode_16_64 3
		.amdhsa_fp16_overflow 0
		.amdhsa_memory_ordered 1
		.amdhsa_forward_progress 1
		.amdhsa_inst_pref_size 17
		.amdhsa_round_robin_scheduling 0
		.amdhsa_exception_fp_ieee_invalid_op 0
		.amdhsa_exception_fp_denorm_src 0
		.amdhsa_exception_fp_ieee_div_zero 0
		.amdhsa_exception_fp_ieee_overflow 0
		.amdhsa_exception_fp_ieee_underflow 0
		.amdhsa_exception_fp_ieee_inexact 0
		.amdhsa_exception_int_div_zero 0
	.end_amdhsa_kernel
	.section	.text._ZN2at6native12_GLOBAL__N_135GammaBetaBackwardCUDAKernelTemplateIffLj64ELj16ELj256ELb0ELb1ELb1EEEvllPKT_S5_PKT0_S8_PS3_S9_,"axG",@progbits,_ZN2at6native12_GLOBAL__N_135GammaBetaBackwardCUDAKernelTemplateIffLj64ELj16ELj256ELb0ELb1ELb1EEEvllPKT_S5_PKT0_S8_PS3_S9_,comdat
.Lfunc_end150:
	.size	_ZN2at6native12_GLOBAL__N_135GammaBetaBackwardCUDAKernelTemplateIffLj64ELj16ELj256ELb0ELb1ELb1EEEvllPKT_S5_PKT0_S8_PS3_S9_, .Lfunc_end150-_ZN2at6native12_GLOBAL__N_135GammaBetaBackwardCUDAKernelTemplateIffLj64ELj16ELj256ELb0ELb1ELb1EEEvllPKT_S5_PKT0_S8_PS3_S9_
                                        ; -- End function
	.set _ZN2at6native12_GLOBAL__N_135GammaBetaBackwardCUDAKernelTemplateIffLj64ELj16ELj256ELb0ELb1ELb1EEEvllPKT_S5_PKT0_S8_PS3_S9_.num_vgpr, 64
	.set _ZN2at6native12_GLOBAL__N_135GammaBetaBackwardCUDAKernelTemplateIffLj64ELj16ELj256ELb0ELb1ELb1EEEvllPKT_S5_PKT0_S8_PS3_S9_.num_agpr, 0
	.set _ZN2at6native12_GLOBAL__N_135GammaBetaBackwardCUDAKernelTemplateIffLj64ELj16ELj256ELb0ELb1ELb1EEEvllPKT_S5_PKT0_S8_PS3_S9_.numbered_sgpr, 22
	.set _ZN2at6native12_GLOBAL__N_135GammaBetaBackwardCUDAKernelTemplateIffLj64ELj16ELj256ELb0ELb1ELb1EEEvllPKT_S5_PKT0_S8_PS3_S9_.num_named_barrier, 0
	.set _ZN2at6native12_GLOBAL__N_135GammaBetaBackwardCUDAKernelTemplateIffLj64ELj16ELj256ELb0ELb1ELb1EEEvllPKT_S5_PKT0_S8_PS3_S9_.private_seg_size, 0
	.set _ZN2at6native12_GLOBAL__N_135GammaBetaBackwardCUDAKernelTemplateIffLj64ELj16ELj256ELb0ELb1ELb1EEEvllPKT_S5_PKT0_S8_PS3_S9_.uses_vcc, 1
	.set _ZN2at6native12_GLOBAL__N_135GammaBetaBackwardCUDAKernelTemplateIffLj64ELj16ELj256ELb0ELb1ELb1EEEvllPKT_S5_PKT0_S8_PS3_S9_.uses_flat_scratch, 0
	.set _ZN2at6native12_GLOBAL__N_135GammaBetaBackwardCUDAKernelTemplateIffLj64ELj16ELj256ELb0ELb1ELb1EEEvllPKT_S5_PKT0_S8_PS3_S9_.has_dyn_sized_stack, 0
	.set _ZN2at6native12_GLOBAL__N_135GammaBetaBackwardCUDAKernelTemplateIffLj64ELj16ELj256ELb0ELb1ELb1EEEvllPKT_S5_PKT0_S8_PS3_S9_.has_recursion, 0
	.set _ZN2at6native12_GLOBAL__N_135GammaBetaBackwardCUDAKernelTemplateIffLj64ELj16ELj256ELb0ELb1ELb1EEEvllPKT_S5_PKT0_S8_PS3_S9_.has_indirect_call, 0
	.section	.AMDGPU.csdata,"",@progbits
; Kernel info:
; codeLenInByte = 2104
; TotalNumSgprs: 24
; NumVgprs: 64
; ScratchSize: 0
; MemoryBound: 0
; FloatMode: 240
; IeeeMode: 1
; LDSByteSize: 0 bytes/workgroup (compile time only)
; SGPRBlocks: 0
; VGPRBlocks: 3
; NumSGPRsForWavesPerEU: 24
; NumVGPRsForWavesPerEU: 64
; NamedBarCnt: 0
; Occupancy: 16
; WaveLimiterHint : 0
; COMPUTE_PGM_RSRC2:SCRATCH_EN: 0
; COMPUTE_PGM_RSRC2:USER_SGPR: 2
; COMPUTE_PGM_RSRC2:TRAP_HANDLER: 0
; COMPUTE_PGM_RSRC2:TGID_X_EN: 1
; COMPUTE_PGM_RSRC2:TGID_Y_EN: 1
; COMPUTE_PGM_RSRC2:TGID_Z_EN: 0
; COMPUTE_PGM_RSRC2:TIDIG_COMP_CNT: 1
	.section	.text._ZN2at6native12_GLOBAL__N_135GammaBetaBackwardCUDAKernelTemplateIffLj64ELj16ELj256ELb0ELb0ELb1EEEvllPKT_S5_PKT0_S8_PS3_S9_,"axG",@progbits,_ZN2at6native12_GLOBAL__N_135GammaBetaBackwardCUDAKernelTemplateIffLj64ELj16ELj256ELb0ELb0ELb1EEEvllPKT_S5_PKT0_S8_PS3_S9_,comdat
	.globl	_ZN2at6native12_GLOBAL__N_135GammaBetaBackwardCUDAKernelTemplateIffLj64ELj16ELj256ELb0ELb0ELb1EEEvllPKT_S5_PKT0_S8_PS3_S9_ ; -- Begin function _ZN2at6native12_GLOBAL__N_135GammaBetaBackwardCUDAKernelTemplateIffLj64ELj16ELj256ELb0ELb0ELb1EEEvllPKT_S5_PKT0_S8_PS3_S9_
	.p2align	8
	.type	_ZN2at6native12_GLOBAL__N_135GammaBetaBackwardCUDAKernelTemplateIffLj64ELj16ELj256ELb0ELb0ELb1EEEvllPKT_S5_PKT0_S8_PS3_S9_,@function
_ZN2at6native12_GLOBAL__N_135GammaBetaBackwardCUDAKernelTemplateIffLj64ELj16ELj256ELb0ELb0ELb1EEEvllPKT_S5_PKT0_S8_PS3_S9_: ; @_ZN2at6native12_GLOBAL__N_135GammaBetaBackwardCUDAKernelTemplateIffLj64ELj16ELj256ELb0ELb0ELb1EEEvllPKT_S5_PKT0_S8_PS3_S9_
; %bb.0:
	s_load_b256 s[4:11], s[0:1], 0x0
	s_bfe_u32 s3, ttmp6, 0x4000c
	s_bfe_u32 s12, ttmp6, 0x40010
	s_add_co_i32 s3, s3, 1
	s_add_co_i32 s12, s12, 1
	s_and_b32 s2, ttmp6, 15
	s_bfe_u32 s13, ttmp6, 0x40004
	s_mul_i32 s3, ttmp9, s3
	s_mul_i32 s12, ttmp7, s12
	s_getreg_b32 s14, hwreg(HW_REG_IB_STS2, 6, 4)
	s_add_co_i32 s2, s2, s3
	s_add_co_i32 s13, s13, s12
	s_cmp_eq_u32 s14, 0
	s_mov_b32 s17, 0
	s_cselect_b32 s12, ttmp9, s2
	s_cselect_b32 s2, ttmp7, s13
	s_lshl_b32 s13, s12, 6
	s_load_b64 s[14:15], s[0:1], 0x28
	s_or_b32 s16, s13, 63
	s_wait_kmcnt 0x0
	v_cmp_le_i64_e64 s18, s[6:7], s[16:17]
	s_lshl_b32 s16, s2, 8
	s_delay_alu instid0(SALU_CYCLE_1) | instskip(SKIP_2) | instid1(VALU_DEP_1)
	v_cmp_gt_i64_e64 s3, s[4:5], s[16:17]
	s_and_b32 vcc_lo, exec_lo, s18
	v_cndmask_b32_e64 v1, 0, 1, s3
	v_cmp_ne_u32_e64 s2, 1, v1
	s_cbranch_vccz .LBB151_81
; %bb.1:
	v_mov_b32_e32 v3, 0
	s_and_b32 vcc_lo, exec_lo, s2
	s_cbranch_vccnz .LBB151_82
; %bb.2:
	v_bfe_u32 v118, v0, 10, 10
	v_mov_b32_e32 v2, 0
	v_and_b32_e32 v119, 0x3ff, v0
	s_load_b32 s18, s[0:1], 0x44
	s_mov_b32 s19, 0
	s_delay_alu instid0(VALU_DEP_2) | instskip(NEXT) | instid1(VALU_DEP_2)
	v_dual_mov_b32 v123, v2 :: v_dual_lshlrev_b32 v122, 4, v118
	v_dual_mov_b32 v23, v2 :: v_dual_add_nc_u32 v22, s13, v119
	v_mov_b32_e32 v120, 0
	s_mov_b32 s23, s19
	s_delay_alu instid0(VALU_DEP_3)
	v_add_nc_u64_e32 v[6:7], s[16:17], v[122:123]
	s_add_nc_u64 s[20:21], s[0:1], 64
	v_cmp_gt_i64_e64 s2, s[6:7], v[22:23]
	v_lshlrev_b64_e32 v[50:51], 2, v[22:23]
	s_mov_b64 s[24:25], 0xffffffffffffff01
	s_mov_b64 s[26:27], 0xffffffffffffff02
	;; [unrolled: 1-line block ×3, first 2 shown]
	v_add_nc_u64_e32 v[8:9], 15, v[6:7]
	v_add_nc_u64_e32 v[10:11], 14, v[6:7]
	;; [unrolled: 1-line block ×6, first 2 shown]
	v_mul_u64_e32 v[4:5], s[6:7], v[6:7]
	v_mul_u64_e32 v[8:9], s[6:7], v[8:9]
	;; [unrolled: 1-line block ×4, first 2 shown]
	v_add_nc_u64_e32 v[14:15], 12, v[6:7]
	v_add_nc_u64_e32 v[16:17], 11, v[6:7]
	;; [unrolled: 1-line block ×5, first 2 shown]
	v_mul_u64_e32 v[24:25], s[6:7], v[24:25]
	v_add_nc_u64_e32 v[32:33], 4, v[6:7]
	v_mul_u64_e32 v[26:27], s[6:7], v[26:27]
	v_add_nc_u64_e32 v[34:35], 3, v[6:7]
	v_add_nc_u64_e32 v[6:7], 2, v[6:7]
	v_mul_u64_e32 v[28:29], s[6:7], v[28:29]
	v_mul_u64_e32 v[14:15], s[6:7], v[14:15]
	;; [unrolled: 1-line block ×9, first 2 shown]
	s_wait_kmcnt 0x0
	s_lshl_b32 s22, s18, 8
	s_mov_b64 s[30:31], 0xffffffffffffff04
	s_mul_u64 s[58:59], s[6:7], s[22:23]
	s_mov_b64 s[34:35], 0xffffffffffffff05
	s_mov_b64 s[36:37], 0xffffffffffffff06
	;; [unrolled: 1-line block ×6, first 2 shown]
	v_lshlrev_b64_e32 v[36:37], 2, v[4:5]
	v_lshlrev_b64_e32 v[8:9], 2, v[8:9]
	;; [unrolled: 1-line block ×4, first 2 shown]
	v_add_nc_u64_e32 v[4:5], s[6:7], v[4:5]
	s_mov_b64 s[46:47], 0xffffffffffffff0b
	s_mov_b64 s[48:49], 0xffffffffffffff0c
	v_add_nc_u64_e32 v[52:53], s[8:9], v[36:37]
	v_add_nc_u64_e32 v[56:57], s[8:9], v[8:9]
	;; [unrolled: 1-line block ×7, first 2 shown]
	v_lshlrev_b64_e32 v[8:9], 2, v[24:25]
	v_lshlrev_b64_e32 v[10:11], 2, v[26:27]
	;; [unrolled: 1-line block ×7, first 2 shown]
	v_add_nc_u64_e32 v[84:85], s[8:9], v[8:9]
	v_add_nc_u64_e32 v[86:87], s[10:11], v[8:9]
	;; [unrolled: 1-line block ×3, first 2 shown]
	v_lshlrev_b64_e32 v[8:9], 2, v[22:23]
	v_add_nc_u64_e32 v[90:91], s[10:11], v[10:11]
	v_add_nc_u64_e32 v[92:93], s[8:9], v[12:13]
	v_lshlrev_b64_e32 v[10:11], 2, v[30:31]
	v_add_nc_u64_e32 v[94:95], s[10:11], v[12:13]
	v_lshlrev_b64_e32 v[12:13], 2, v[32:33]
	v_lshlrev_b64_e32 v[6:7], 2, v[6:7]
	;; [unrolled: 1-line block ×3, first 2 shown]
	v_add_nc_u64_e32 v[54:55], s[10:11], v[36:37]
	v_add_nc_u64_e32 v[68:69], s[8:9], v[14:15]
	;; [unrolled: 1-line block ×19, first 2 shown]
	s_mov_b64 s[50:51], 0xffffffffffffff0d
	s_mov_b64 s[52:53], 0xffffffffffffff0e
	;; [unrolled: 1-line block ×4, first 2 shown]
	s_lshl_b64 s[58:59], s[58:59], 2
	s_add_nc_u64 s[60:61], s[16:17], 0xff
	s_mov_b64 s[62:63], s[16:17]
.LBB151_3:                              ; =>This Inner Loop Header: Depth=1
	v_cmp_ge_i64_e64 s18, s[60:61], s[4:5]
	v_add_nc_u64_e32 v[116:117], s[60:61], v[122:123]
                                        ; implicit-def: $vgpr3
                                        ; implicit-def: $vgpr18_vgpr19_vgpr20_vgpr21_vgpr22_vgpr23_vgpr24_vgpr25_vgpr26_vgpr27_vgpr28_vgpr29_vgpr30_vgpr31_vgpr32_vgpr33
                                        ; implicit-def: $vgpr34_vgpr35_vgpr36_vgpr37_vgpr38_vgpr39_vgpr40_vgpr41_vgpr42_vgpr43_vgpr44_vgpr45_vgpr46_vgpr47_vgpr48_vgpr49
                                        ; implicit-def: $vgpr4
	s_and_b32 vcc_lo, exec_lo, s18
	s_mov_b32 s18, -1
	s_cbranch_vccz .LBB151_41
; %bb.4:                                ;   in Loop: Header=BB151_3 Depth=1
	s_load_b32 s18, s[20:21], 0xc
	v_mov_b32_e32 v121, 0
	s_wait_kmcnt 0x0
	s_and_b32 s18, s18, 0xffff
	s_delay_alu instid0(SALU_CYCLE_1) | instskip(SKIP_1) | instid1(VALU_DEP_1)
	v_mad_u32_u24 v3, v118, s18, v119
	s_mov_b32 s18, exec_lo
	v_and_b32_e32 v4, 31, v3
	s_delay_alu instid0(VALU_DEP_1)
	v_cmpx_gt_u32_e32 16, v4
	s_cbranch_execz .LBB151_8
; %bb.5:                                ;   in Loop: Header=BB151_3 Depth=1
	v_dual_mov_b32 v5, v2 :: v_dual_mov_b32 v121, 0
	s_mov_b32 s33, exec_lo
	s_delay_alu instid0(VALU_DEP_1) | instskip(NEXT) | instid1(VALU_DEP_1)
	v_add_nc_u64_e32 v[4:5], v[116:117], v[4:5]
	v_add_nc_u64_e32 v[4:5], s[24:25], v[4:5]
	s_delay_alu instid0(VALU_DEP_1)
	v_cmpx_gt_i64_e64 s[4:5], v[4:5]
	s_cbranch_execz .LBB151_7
; %bb.6:                                ;   in Loop: Header=BB151_3 Depth=1
	v_lshl_add_u64 v[4:5], v[4:5], 2, s[14:15]
	global_load_b32 v121, v[4:5], off
.LBB151_7:                              ;   in Loop: Header=BB151_3 Depth=1
	s_wait_xcnt 0x0
	s_or_b32 exec_lo, exec_lo, s33
.LBB151_8:                              ;   in Loop: Header=BB151_3 Depth=1
	s_delay_alu instid0(SALU_CYCLE_1)
	s_or_b32 exec_lo, exec_lo, s18
	v_add_nc_u64_e32 v[18:19], s[24:25], v[116:117]
	v_dual_mov_b32 v15, v2 :: v_dual_mov_b32 v16, v2
	v_dual_mov_b32 v17, v2 :: v_dual_mov_b32 v3, v2
	;; [unrolled: 1-line block ×7, first 2 shown]
	v_mov_b32_e32 v14, v2
	v_cmp_gt_i64_e32 vcc_lo, s[4:5], v[18:19]
	v_mov_b64_e32 v[32:33], v[16:17]
	v_mov_b64_e32 v[48:49], v[16:17]
	;; [unrolled: 1-line block ×16, first 2 shown]
	s_and_b32 s33, s2, vcc_lo
	s_delay_alu instid0(SALU_CYCLE_1)
	s_and_saveexec_b32 s18, s33
	s_cbranch_execz .LBB151_10
; %bb.9:                                ;   in Loop: Header=BB151_3 Depth=1
	v_add_nc_u64_e32 v[4:5], v[52:53], v[50:51]
	v_add_nc_u64_e32 v[6:7], v[54:55], v[50:51]
	v_dual_mov_b32 v35, v2 :: v_dual_mov_b32 v36, v2
	v_dual_mov_b32 v37, v2 :: v_dual_mov_b32 v38, v2
	;; [unrolled: 1-line block ×3, first 2 shown]
	global_load_b32 v34, v[4:5], off
	global_load_b32 v18, v[6:7], off
	v_dual_mov_b32 v41, v2 :: v_dual_mov_b32 v42, v2
	v_dual_mov_b32 v43, v2 :: v_dual_mov_b32 v44, v2
	;; [unrolled: 1-line block ×12, first 2 shown]
.LBB151_10:                             ;   in Loop: Header=BB151_3 Depth=1
	s_wait_xcnt 0x0
	s_or_b32 exec_lo, exec_lo, s18
	v_add_nc_u64_e32 v[4:5], s[26:27], v[116:117]
	s_delay_alu instid0(VALU_DEP_1) | instskip(SKIP_1) | instid1(SALU_CYCLE_1)
	v_cmp_gt_i64_e32 vcc_lo, s[4:5], v[4:5]
	s_and_b32 s33, s2, vcc_lo
	s_and_saveexec_b32 s18, s33
	s_cbranch_execz .LBB151_12
; %bb.11:                               ;   in Loop: Header=BB151_3 Depth=1
	v_add_nc_u64_e32 v[4:5], v[112:113], v[50:51]
	v_add_nc_u64_e32 v[6:7], v[114:115], v[50:51]
	global_load_b32 v35, v[4:5], off
	global_load_b32 v19, v[6:7], off
.LBB151_12:                             ;   in Loop: Header=BB151_3 Depth=1
	s_wait_xcnt 0x0
	s_or_b32 exec_lo, exec_lo, s18
	v_add_nc_u64_e32 v[4:5], s[28:29], v[116:117]
	s_delay_alu instid0(VALU_DEP_1) | instskip(SKIP_1) | instid1(SALU_CYCLE_1)
	v_cmp_gt_i64_e32 vcc_lo, s[4:5], v[4:5]
	s_and_b32 s33, s2, vcc_lo
	s_and_saveexec_b32 s18, s33
	s_cbranch_execz .LBB151_14
; %bb.13:                               ;   in Loop: Header=BB151_3 Depth=1
	v_add_nc_u64_e32 v[4:5], v[108:109], v[50:51]
	v_add_nc_u64_e32 v[6:7], v[110:111], v[50:51]
	global_load_b32 v36, v[4:5], off
	global_load_b32 v20, v[6:7], off
.LBB151_14:                             ;   in Loop: Header=BB151_3 Depth=1
	;; [unrolled: 14-line block ×15, first 2 shown]
	s_wait_xcnt 0x0
	s_or_b32 exec_lo, exec_lo, s18
	s_wait_loadcnt 0x0
	ds_bpermute_b32 v3, v2, v121
	ds_bpermute_b32 v12, v2, v121 offset:4
	ds_bpermute_b32 v4, v2, v121 offset:12
	;; [unrolled: 1-line block ×4, first 2 shown]
	v_dual_mul_f32 v10, v18, v34 :: v_dual_mul_f32 v13, v19, v35
	v_pk_mul_f32 v[6:7], v[22:23], v[38:39]
	ds_bpermute_b32 v8, v2, v121 offset:20
	ds_bpermute_b32 v9, v2, v121 offset:24
	;; [unrolled: 1-line block ×4, first 2 shown]
	s_mov_b32 s18, 0
	v_dual_mul_f32 v17, v20, v36 :: v_dual_mov_b32 v11, v6
	s_wait_dscnt 0x8
	v_dual_mov_b32 v6, v7 :: v_dual_fma_f32 v3, v10, v3, v120
	v_mul_f32_e32 v10, v21, v37
	s_wait_dscnt 0x7
	s_delay_alu instid0(VALU_DEP_2)
	v_fmac_f32_e32 v3, v13, v12
	v_pk_mul_f32 v[12:13], v[24:25], v[40:41]
	s_wait_dscnt 0x5
	v_pk_mul_f32 v[4:5], v[10:11], v[4:5]
	v_pk_mul_f32 v[10:11], v[26:27], v[42:43]
	s_wait_dscnt 0x4
	v_dual_fmac_f32 v3, v17, v16 :: v_dual_mov_b32 v7, v12
	ds_bpermute_b32 v16, v2, v121 offset:36
	ds_bpermute_b32 v17, v2, v121 offset:40
	;; [unrolled: 1-line block ×3, first 2 shown]
	v_dual_add_f32 v3, v3, v4 :: v_dual_mov_b32 v4, v13
	s_wait_dscnt 0x5
	v_pk_mul_f32 v[6:7], v[6:7], v[8:9]
	v_pk_mul_f32 v[8:9], v[28:29], v[44:45]
	ds_bpermute_b32 v13, v2, v121 offset:48
	v_dual_add_f32 v3, v3, v5 :: v_dual_mov_b32 v5, v10
	s_delay_alu instid0(VALU_DEP_1) | instskip(SKIP_1) | instid1(VALU_DEP_2)
	v_add_f32_e32 v3, v3, v6
	s_wait_dscnt 0x4
	v_pk_mul_f32 v[4:5], v[4:5], v[14:15]
	v_mov_b32_e32 v6, v11
	v_pk_mul_f32 v[10:11], v[30:31], v[46:47]
	ds_bpermute_b32 v14, v2, v121 offset:52
	v_dual_add_f32 v3, v3, v7 :: v_dual_mov_b32 v7, v8
	ds_bpermute_b32 v15, v2, v121 offset:56
	v_dual_add_f32 v3, v3, v4 :: v_dual_mov_b32 v4, v9
	s_delay_alu instid0(VALU_DEP_1) | instskip(SKIP_3) | instid1(VALU_DEP_2)
	v_dual_add_f32 v3, v3, v5 :: v_dual_mov_b32 v5, v10
	s_wait_dscnt 0x4
	v_pk_mul_f32 v[6:7], v[6:7], v[16:17]
	s_wait_dscnt 0x2
	v_pk_mul_f32 v[8:9], v[4:5], v[12:13]
	s_delay_alu instid0(VALU_DEP_2) | instskip(SKIP_3) | instid1(VALU_DEP_1)
	v_add_f32_e32 v3, v3, v6
	ds_bpermute_b32 v4, v2, v121 offset:60
	v_mov_b32_e32 v6, v11
	v_dual_add_f32 v3, v3, v7 :: v_dual_mul_f32 v7, v32, v48
	v_add_f32_e32 v3, v3, v8
	s_wait_dscnt 0x1
	s_delay_alu instid0(VALU_DEP_2) | instskip(NEXT) | instid1(VALU_DEP_2)
	v_pk_mul_f32 v[6:7], v[6:7], v[14:15]
	v_add_f32_e32 v3, v3, v9
	s_delay_alu instid0(VALU_DEP_1) | instskip(NEXT) | instid1(VALU_DEP_1)
	v_add_f32_e32 v3, v3, v6
	v_add_f32_e32 v3, v3, v7
.LBB151_41:                             ;   in Loop: Header=BB151_3 Depth=1
	s_and_b32 vcc_lo, exec_lo, s18
	s_cbranch_vccz .LBB151_64
; %bb.42:                               ;   in Loop: Header=BB151_3 Depth=1
	s_load_b32 s18, s[20:21], 0x0
	v_mov_b32_e32 v121, 0
	s_wait_kmcnt 0x0
	s_cmp_lt_u32 s12, s18
	s_cselect_b32 s18, 12, 18
	s_delay_alu instid0(SALU_CYCLE_1)
	s_add_nc_u64 s[64:65], s[20:21], s[18:19]
	s_load_u16 s18, s[64:65], 0x0
	s_wait_kmcnt 0x0
	v_mad_u32_u24 v3, v118, s18, v119
	s_mov_b32 s18, exec_lo
	s_wait_dscnt 0x0
	s_delay_alu instid0(VALU_DEP_1) | instskip(NEXT) | instid1(VALU_DEP_1)
	v_and_b32_e32 v4, 31, v3
	v_cmpx_gt_u32_e32 16, v4
	s_cbranch_execz .LBB151_46
; %bb.43:                               ;   in Loop: Header=BB151_3 Depth=1
	v_dual_mov_b32 v5, v2 :: v_dual_mov_b32 v121, 0
	s_mov_b32 s33, exec_lo
	s_delay_alu instid0(VALU_DEP_1) | instskip(NEXT) | instid1(VALU_DEP_1)
	v_add_nc_u64_e32 v[4:5], v[116:117], v[4:5]
	v_add_nc_u64_e32 v[4:5], s[24:25], v[4:5]
	s_delay_alu instid0(VALU_DEP_1)
	v_cmpx_gt_i64_e64 s[4:5], v[4:5]
	s_cbranch_execz .LBB151_45
; %bb.44:                               ;   in Loop: Header=BB151_3 Depth=1
	v_lshl_add_u64 v[4:5], v[4:5], 2, s[14:15]
	global_load_b32 v121, v[4:5], off
.LBB151_45:                             ;   in Loop: Header=BB151_3 Depth=1
	s_wait_xcnt 0x0
	s_or_b32 exec_lo, exec_lo, s33
.LBB151_46:                             ;   in Loop: Header=BB151_3 Depth=1
	s_delay_alu instid0(SALU_CYCLE_1)
	s_or_b32 exec_lo, exec_lo, s18
	v_dual_mov_b32 v15, v2 :: v_dual_mov_b32 v16, v2
	v_dual_mov_b32 v17, v2 :: v_dual_mov_b32 v3, v2
	;; [unrolled: 1-line block ×7, first 2 shown]
	v_mov_b32_e32 v14, v2
	v_mov_b64_e32 v[32:33], v[16:17]
	v_mov_b64_e32 v[48:49], v[16:17]
	;; [unrolled: 1-line block ×16, first 2 shown]
	s_and_saveexec_b32 s18, s2
	s_cbranch_execnz .LBB151_66
; %bb.47:                               ;   in Loop: Header=BB151_3 Depth=1
	s_or_b32 exec_lo, exec_lo, s18
	s_and_saveexec_b32 s18, s2
	s_cbranch_execnz .LBB151_67
.LBB151_48:                             ;   in Loop: Header=BB151_3 Depth=1
	s_or_b32 exec_lo, exec_lo, s18
	s_and_saveexec_b32 s18, s2
	s_cbranch_execnz .LBB151_68
.LBB151_49:                             ;   in Loop: Header=BB151_3 Depth=1
	s_or_b32 exec_lo, exec_lo, s18
	s_and_saveexec_b32 s18, s2
	s_cbranch_execnz .LBB151_69
.LBB151_50:                             ;   in Loop: Header=BB151_3 Depth=1
	s_or_b32 exec_lo, exec_lo, s18
	s_and_saveexec_b32 s18, s2
	s_cbranch_execnz .LBB151_70
.LBB151_51:                             ;   in Loop: Header=BB151_3 Depth=1
	s_or_b32 exec_lo, exec_lo, s18
	s_and_saveexec_b32 s18, s2
	s_cbranch_execnz .LBB151_71
.LBB151_52:                             ;   in Loop: Header=BB151_3 Depth=1
	s_or_b32 exec_lo, exec_lo, s18
	s_and_saveexec_b32 s18, s2
	s_cbranch_execnz .LBB151_72
.LBB151_53:                             ;   in Loop: Header=BB151_3 Depth=1
	s_or_b32 exec_lo, exec_lo, s18
	s_and_saveexec_b32 s18, s2
	s_cbranch_execnz .LBB151_73
.LBB151_54:                             ;   in Loop: Header=BB151_3 Depth=1
	s_or_b32 exec_lo, exec_lo, s18
	s_and_saveexec_b32 s18, s2
	s_cbranch_execnz .LBB151_74
.LBB151_55:                             ;   in Loop: Header=BB151_3 Depth=1
	s_or_b32 exec_lo, exec_lo, s18
	s_and_saveexec_b32 s18, s2
	s_cbranch_execnz .LBB151_75
.LBB151_56:                             ;   in Loop: Header=BB151_3 Depth=1
	s_or_b32 exec_lo, exec_lo, s18
	s_and_saveexec_b32 s18, s2
	s_cbranch_execnz .LBB151_76
.LBB151_57:                             ;   in Loop: Header=BB151_3 Depth=1
	s_or_b32 exec_lo, exec_lo, s18
	s_and_saveexec_b32 s18, s2
	s_cbranch_execnz .LBB151_77
.LBB151_58:                             ;   in Loop: Header=BB151_3 Depth=1
	s_or_b32 exec_lo, exec_lo, s18
	s_and_saveexec_b32 s18, s2
	s_cbranch_execnz .LBB151_78
.LBB151_59:                             ;   in Loop: Header=BB151_3 Depth=1
	s_or_b32 exec_lo, exec_lo, s18
	s_and_saveexec_b32 s18, s2
	s_cbranch_execnz .LBB151_79
.LBB151_60:                             ;   in Loop: Header=BB151_3 Depth=1
	s_or_b32 exec_lo, exec_lo, s18
	s_and_saveexec_b32 s18, s2
	s_cbranch_execnz .LBB151_80
.LBB151_61:                             ;   in Loop: Header=BB151_3 Depth=1
	s_or_b32 exec_lo, exec_lo, s18
	s_and_saveexec_b32 s18, s2
	s_cbranch_execz .LBB151_63
.LBB151_62:                             ;   in Loop: Header=BB151_3 Depth=1
	v_add_nc_u64_e32 v[4:5], v[56:57], v[50:51]
	v_add_nc_u64_e32 v[6:7], v[58:59], v[50:51]
	global_load_b32 v49, v[4:5], off
	global_load_b32 v33, v[6:7], off
.LBB151_63:                             ;   in Loop: Header=BB151_3 Depth=1
	s_wait_xcnt 0x0
	s_or_b32 exec_lo, exec_lo, s18
	s_wait_loadcnt 0x0
	ds_bpermute_b32 v3, v2, v121
	ds_bpermute_b32 v12, v2, v121 offset:4
	ds_bpermute_b32 v4, v2, v121 offset:12
	;; [unrolled: 1-line block ×4, first 2 shown]
	v_dual_mul_f32 v10, v18, v34 :: v_dual_mul_f32 v13, v19, v35
	v_pk_mul_f32 v[6:7], v[22:23], v[38:39]
	ds_bpermute_b32 v8, v2, v121 offset:20
	ds_bpermute_b32 v9, v2, v121 offset:24
	;; [unrolled: 1-line block ×5, first 2 shown]
	v_dual_mov_b32 v11, v6 :: v_dual_mov_b32 v6, v7
	s_wait_dscnt 0x9
	v_dual_fmac_f32 v120, v10, v3 :: v_dual_mul_f32 v3, v20, v36
	v_mul_f32_e32 v10, v21, v37
	s_wait_dscnt 0x8
	s_delay_alu instid0(VALU_DEP_2)
	v_fmac_f32_e32 v120, v13, v12
	v_pk_mul_f32 v[12:13], v[24:25], v[40:41]
	s_wait_dscnt 0x6
	v_pk_mul_f32 v[4:5], v[10:11], v[4:5]
	v_pk_mul_f32 v[10:11], v[26:27], v[42:43]
	s_wait_dscnt 0x5
	v_dual_fmac_f32 v120, v3, v16 :: v_dual_mov_b32 v7, v12
	ds_bpermute_b32 v16, v2, v121 offset:36
	ds_bpermute_b32 v12, v2, v121 offset:44
	v_dual_add_f32 v3, v120, v4 :: v_dual_mov_b32 v4, v13
	s_wait_dscnt 0x5
	v_pk_mul_f32 v[6:7], v[6:7], v[8:9]
	v_pk_mul_f32 v[8:9], v[28:29], v[44:45]
	ds_bpermute_b32 v13, v2, v121 offset:48
	v_dual_add_f32 v3, v3, v5 :: v_dual_mov_b32 v5, v10
	s_delay_alu instid0(VALU_DEP_1) | instskip(SKIP_1) | instid1(VALU_DEP_2)
	v_add_f32_e32 v3, v3, v6
	s_wait_dscnt 0x4
	v_pk_mul_f32 v[4:5], v[4:5], v[14:15]
	v_mov_b32_e32 v6, v11
	v_pk_mul_f32 v[10:11], v[30:31], v[46:47]
	ds_bpermute_b32 v14, v2, v121 offset:52
	v_dual_add_f32 v3, v3, v7 :: v_dual_mov_b32 v7, v8
	ds_bpermute_b32 v15, v2, v121 offset:56
	v_dual_add_f32 v3, v3, v4 :: v_dual_mov_b32 v4, v9
	s_delay_alu instid0(VALU_DEP_1) | instskip(SKIP_3) | instid1(VALU_DEP_2)
	v_dual_add_f32 v3, v3, v5 :: v_dual_mov_b32 v5, v10
	s_wait_dscnt 0x4
	v_pk_mul_f32 v[6:7], v[6:7], v[16:17]
	s_wait_dscnt 0x2
	v_pk_mul_f32 v[8:9], v[4:5], v[12:13]
	s_delay_alu instid0(VALU_DEP_2) | instskip(SKIP_3) | instid1(VALU_DEP_1)
	v_add_f32_e32 v3, v3, v6
	ds_bpermute_b32 v4, v2, v121 offset:60
	v_mov_b32_e32 v6, v11
	v_dual_add_f32 v3, v3, v7 :: v_dual_mul_f32 v7, v32, v48
	v_add_f32_e32 v3, v3, v8
	s_wait_dscnt 0x1
	s_delay_alu instid0(VALU_DEP_2) | instskip(NEXT) | instid1(VALU_DEP_2)
	v_pk_mul_f32 v[6:7], v[6:7], v[14:15]
	v_add_f32_e32 v3, v3, v9
	s_delay_alu instid0(VALU_DEP_1) | instskip(NEXT) | instid1(VALU_DEP_1)
	v_add_f32_e32 v3, v3, v6
	v_add_f32_e32 v3, v3, v7
.LBB151_64:                             ;   in Loop: Header=BB151_3 Depth=1
	s_add_nc_u64 s[62:63], s[62:63], s[22:23]
	v_mul_f32_e32 v5, v49, v33
	v_cmp_lt_i64_e64 s18, s[62:63], s[4:5]
	v_add_nc_u64_e32 v[52:53], s[58:59], v[52:53]
	v_add_nc_u64_e32 v[54:55], s[58:59], v[54:55]
	;; [unrolled: 1-line block ×32, first 2 shown]
	s_wait_dscnt 0x0
	v_fmac_f32_e32 v3, v5, v4
	s_and_b32 vcc_lo, exec_lo, s18
	s_add_nc_u64 s[60:61], s[60:61], s[22:23]
	s_cbranch_vccz .LBB151_82
; %bb.65:                               ;   in Loop: Header=BB151_3 Depth=1
	s_delay_alu instid0(VALU_DEP_1)
	v_mov_b32_e32 v120, v3
	s_branch .LBB151_3
.LBB151_66:                             ;   in Loop: Header=BB151_3 Depth=1
	v_add_nc_u64_e32 v[4:5], v[52:53], v[50:51]
	v_add_nc_u64_e32 v[6:7], v[54:55], v[50:51]
	v_dual_mov_b32 v35, v2 :: v_dual_mov_b32 v36, v2
	v_dual_mov_b32 v37, v2 :: v_dual_mov_b32 v38, v2
	;; [unrolled: 1-line block ×3, first 2 shown]
	global_load_b32 v34, v[4:5], off
	global_load_b32 v18, v[6:7], off
	v_dual_mov_b32 v41, v2 :: v_dual_mov_b32 v42, v2
	v_dual_mov_b32 v43, v2 :: v_dual_mov_b32 v44, v2
	;; [unrolled: 1-line block ×12, first 2 shown]
	s_wait_xcnt 0x0
	s_or_b32 exec_lo, exec_lo, s18
	s_and_saveexec_b32 s18, s2
	s_cbranch_execz .LBB151_48
.LBB151_67:                             ;   in Loop: Header=BB151_3 Depth=1
	v_add_nc_u64_e32 v[4:5], v[112:113], v[50:51]
	v_add_nc_u64_e32 v[6:7], v[114:115], v[50:51]
	global_load_b32 v35, v[4:5], off
	global_load_b32 v19, v[6:7], off
	s_wait_xcnt 0x0
	s_or_b32 exec_lo, exec_lo, s18
	s_and_saveexec_b32 s18, s2
	s_cbranch_execz .LBB151_49
.LBB151_68:                             ;   in Loop: Header=BB151_3 Depth=1
	v_add_nc_u64_e32 v[4:5], v[108:109], v[50:51]
	v_add_nc_u64_e32 v[6:7], v[110:111], v[50:51]
	global_load_b32 v36, v[4:5], off
	global_load_b32 v20, v[6:7], off
	s_wait_xcnt 0x0
	s_or_b32 exec_lo, exec_lo, s18
	s_and_saveexec_b32 s18, s2
	s_cbranch_execz .LBB151_50
.LBB151_69:                             ;   in Loop: Header=BB151_3 Depth=1
	v_add_nc_u64_e32 v[4:5], v[104:105], v[50:51]
	v_add_nc_u64_e32 v[6:7], v[106:107], v[50:51]
	global_load_b32 v37, v[4:5], off
	global_load_b32 v21, v[6:7], off
	s_wait_xcnt 0x0
	s_or_b32 exec_lo, exec_lo, s18
	s_and_saveexec_b32 s18, s2
	s_cbranch_execz .LBB151_51
.LBB151_70:                             ;   in Loop: Header=BB151_3 Depth=1
	v_add_nc_u64_e32 v[4:5], v[100:101], v[50:51]
	v_add_nc_u64_e32 v[6:7], v[102:103], v[50:51]
	global_load_b32 v38, v[4:5], off
	global_load_b32 v22, v[6:7], off
	s_wait_xcnt 0x0
	s_or_b32 exec_lo, exec_lo, s18
	s_and_saveexec_b32 s18, s2
	s_cbranch_execz .LBB151_52
.LBB151_71:                             ;   in Loop: Header=BB151_3 Depth=1
	v_add_nc_u64_e32 v[4:5], v[96:97], v[50:51]
	v_add_nc_u64_e32 v[6:7], v[98:99], v[50:51]
	global_load_b32 v39, v[4:5], off
	global_load_b32 v23, v[6:7], off
	s_wait_xcnt 0x0
	s_or_b32 exec_lo, exec_lo, s18
	s_and_saveexec_b32 s18, s2
	s_cbranch_execz .LBB151_53
.LBB151_72:                             ;   in Loop: Header=BB151_3 Depth=1
	v_add_nc_u64_e32 v[4:5], v[92:93], v[50:51]
	v_add_nc_u64_e32 v[6:7], v[94:95], v[50:51]
	global_load_b32 v40, v[4:5], off
	global_load_b32 v24, v[6:7], off
	s_wait_xcnt 0x0
	s_or_b32 exec_lo, exec_lo, s18
	s_and_saveexec_b32 s18, s2
	s_cbranch_execz .LBB151_54
.LBB151_73:                             ;   in Loop: Header=BB151_3 Depth=1
	v_add_nc_u64_e32 v[4:5], v[88:89], v[50:51]
	v_add_nc_u64_e32 v[6:7], v[90:91], v[50:51]
	global_load_b32 v41, v[4:5], off
	global_load_b32 v25, v[6:7], off
	s_wait_xcnt 0x0
	s_or_b32 exec_lo, exec_lo, s18
	s_and_saveexec_b32 s18, s2
	s_cbranch_execz .LBB151_55
.LBB151_74:                             ;   in Loop: Header=BB151_3 Depth=1
	v_add_nc_u64_e32 v[4:5], v[84:85], v[50:51]
	v_add_nc_u64_e32 v[6:7], v[86:87], v[50:51]
	global_load_b32 v42, v[4:5], off
	global_load_b32 v26, v[6:7], off
	s_wait_xcnt 0x0
	s_or_b32 exec_lo, exec_lo, s18
	s_and_saveexec_b32 s18, s2
	s_cbranch_execz .LBB151_56
.LBB151_75:                             ;   in Loop: Header=BB151_3 Depth=1
	v_add_nc_u64_e32 v[4:5], v[80:81], v[50:51]
	v_add_nc_u64_e32 v[6:7], v[82:83], v[50:51]
	global_load_b32 v43, v[4:5], off
	global_load_b32 v27, v[6:7], off
	s_wait_xcnt 0x0
	s_or_b32 exec_lo, exec_lo, s18
	s_and_saveexec_b32 s18, s2
	s_cbranch_execz .LBB151_57
.LBB151_76:                             ;   in Loop: Header=BB151_3 Depth=1
	v_add_nc_u64_e32 v[4:5], v[76:77], v[50:51]
	v_add_nc_u64_e32 v[6:7], v[78:79], v[50:51]
	global_load_b32 v44, v[4:5], off
	global_load_b32 v28, v[6:7], off
	s_wait_xcnt 0x0
	s_or_b32 exec_lo, exec_lo, s18
	s_and_saveexec_b32 s18, s2
	s_cbranch_execz .LBB151_58
.LBB151_77:                             ;   in Loop: Header=BB151_3 Depth=1
	v_add_nc_u64_e32 v[4:5], v[72:73], v[50:51]
	v_add_nc_u64_e32 v[6:7], v[74:75], v[50:51]
	global_load_b32 v45, v[4:5], off
	global_load_b32 v29, v[6:7], off
	s_wait_xcnt 0x0
	s_or_b32 exec_lo, exec_lo, s18
	s_and_saveexec_b32 s18, s2
	s_cbranch_execz .LBB151_59
.LBB151_78:                             ;   in Loop: Header=BB151_3 Depth=1
	v_add_nc_u64_e32 v[4:5], v[68:69], v[50:51]
	v_add_nc_u64_e32 v[6:7], v[70:71], v[50:51]
	global_load_b32 v46, v[4:5], off
	global_load_b32 v30, v[6:7], off
	s_wait_xcnt 0x0
	s_or_b32 exec_lo, exec_lo, s18
	s_and_saveexec_b32 s18, s2
	s_cbranch_execz .LBB151_60
.LBB151_79:                             ;   in Loop: Header=BB151_3 Depth=1
	v_add_nc_u64_e32 v[4:5], v[64:65], v[50:51]
	v_add_nc_u64_e32 v[6:7], v[66:67], v[50:51]
	global_load_b32 v47, v[4:5], off
	global_load_b32 v31, v[6:7], off
	s_wait_xcnt 0x0
	s_or_b32 exec_lo, exec_lo, s18
	s_and_saveexec_b32 s18, s2
	s_cbranch_execz .LBB151_61
.LBB151_80:                             ;   in Loop: Header=BB151_3 Depth=1
	v_add_nc_u64_e32 v[4:5], v[60:61], v[50:51]
	v_add_nc_u64_e32 v[6:7], v[62:63], v[50:51]
	global_load_b32 v48, v[4:5], off
	global_load_b32 v32, v[6:7], off
	s_wait_xcnt 0x0
	s_or_b32 exec_lo, exec_lo, s18
	s_and_saveexec_b32 s18, s2
	s_cbranch_execnz .LBB151_62
	s_branch .LBB151_63
.LBB151_81:
                                        ; implicit-def: $vgpr3
	s_branch .LBB151_83
.LBB151_82:
	s_cbranch_execnz .LBB151_132
.LBB151_83:
	v_mov_b32_e32 v3, 0
	s_and_not1_b32 vcc_lo, exec_lo, s3
	s_cbranch_vccnz .LBB151_132
; %bb.84:
	v_bfe_u32 v1, v0, 10, 10
	v_mov_b32_e32 v2, 0
	scratch_store_b32 off, v0, off offset:216 ; 4-byte Folded Spill
	s_wait_xcnt 0x0
	v_and_b32_e32 v0, 0x3ff, v0
	s_load_b32 s2, s[0:1], 0x44
	v_dual_mov_b32 v5, v2 :: v_dual_lshlrev_b32 v4, 6, v1
	s_mov_b32 s3, 0
	s_add_nc_u64 s[20:21], s[0:1], 64
	s_mov_b32 s19, s3
	s_mov_b64 s[24:25], 0xffffffffffffff03
	v_lshl_add_u64 v[24:25], s[16:17], 2, v[4:5]
	s_mov_b64 s[26:27], 0xffffffffffffff04
	s_mov_b64 s[28:29], 0xffffffffffffff05
	;; [unrolled: 1-line block ×4, first 2 shown]
	v_add_nc_u64_e32 v[4:5], 4, v[24:25]
	v_add_nc_u64_e32 v[10:11], 8, v[24:25]
	;; [unrolled: 1-line block ×7, first 2 shown]
	v_mad_nc_u64_u32 v[26:27], s6, v4, s[8:9]
	v_mul_lo_u32 v3, s6, v5
	v_mul_lo_u32 v5, s7, v4
	v_mad_nc_u64_u32 v[28:29], s6, v10, s[8:9]
	v_mul_lo_u32 v11, s6, v11
	v_mul_lo_u32 v18, s7, v10
	;; [unrolled: 3-line block ×4, first 2 shown]
	v_mad_nc_u64_u32 v[38:39], s6, v4, s[10:11]
	v_mad_nc_u64_u32 v[34:35], s6, v14, s[8:9]
	v_mul_lo_u32 v15, s6, v15
	v_mul_lo_u32 v21, s7, v14
	v_add3_u32 v27, v5, v27, v3
	v_mad_nc_u64_u32 v[36:37], s6, v12, s[8:9]
	v_mul_lo_u32 v13, s6, v13
	v_mul_lo_u32 v22, s7, v12
	v_mad_nc_u64_u32 v[40:41], s6, v10, s[10:11]
	v_add3_u32 v29, v18, v29, v11
	scratch_store_b64 off, v[26:27], off    ; 8-byte Folded Spill
	v_add3_u32 v31, v19, v31, v7
	v_add3_u32 v33, v20, v33, v9
	s_wait_xcnt 0x0
	v_mad_nc_u64_u32 v[26:27], s6, v6, s[10:11]
	v_add3_u32 v39, v5, v39, v3
	v_add_nc_u64_e32 v[4:5], 32, v[24:25]
	s_clause 0x2
	scratch_store_b64 off, v[28:29], off offset:8
	scratch_store_b64 off, v[30:31], off offset:16
	;; [unrolled: 1-line block ×3, first 2 shown]
	s_wait_xcnt 0x1
	v_mad_nc_u64_u32 v[30:31], s6, v8, s[10:11]
	s_wait_xcnt 0x0
	v_mad_nc_u64_u32 v[32:33], s6, v14, s[10:11]
	v_add3_u32 v35, v21, v35, v15
	v_add3_u32 v37, v22, v37, v13
	v_mad_nc_u64_u32 v[28:29], s6, v16, s[8:9]
	v_add3_u32 v41, v18, v41, v11
	v_mul_lo_u32 v3, s6, v17
	s_clause 0x3
	scratch_store_b64 off, v[34:35], off offset:32
	scratch_store_b64 off, v[36:37], off offset:40
	scratch_store_b64 off, v[38:39], off offset:48
	scratch_store_b64 off, v[40:41], off offset:56
	v_mul_lo_u32 v8, s7, v16
	s_wait_xcnt 0x3
	v_mad_nc_u64_u32 v[34:35], s6, v12, s[10:11]
	v_add3_u32 v27, v19, v27, v7
	v_mad_nc_u64_u32 v[16:17], s6, v16, s[10:11]
	v_mad_nc_u64_u32 v[18:19], s6, v4, s[8:9]
	v_mul_lo_u32 v10, s6, v5
	v_mul_lo_u32 v11, s7, v4
	v_add3_u32 v31, v20, v31, v9
	v_add3_u32 v33, v21, v33, v15
	v_mad_nc_u64_u32 v[20:21], s6, v4, s[10:11]
	v_add_nc_u64_e32 v[6:7], 36, v[24:25]
	v_add_nc_u64_e32 v[4:5], 40, v[24:25]
	v_add3_u32 v35, v22, v35, v13
	v_add3_u32 v29, v8, v29, v3
	;; [unrolled: 1-line block ×3, first 2 shown]
	s_clause 0x3
	scratch_store_b64 off, v[26:27], off offset:64
	scratch_store_b64 off, v[30:31], off offset:80
	;; [unrolled: 1-line block ×4, first 2 shown]
	v_add3_u32 v19, v11, v19, v10
	s_clause 0x1
	scratch_store_b64 off, v[34:35], off offset:96
	scratch_store_b64 off, v[16:17], off offset:104
	v_mad_nc_u64_u32 v[22:23], s6, v6, s[8:9]
	v_mul_lo_u32 v3, s6, v7
	v_mul_lo_u32 v12, s7, v6
	s_wait_xcnt 0x5
	v_mad_nc_u64_u32 v[26:27], s6, v6, s[10:11]
	v_mul_lo_u32 v13, s6, v5
	v_mul_lo_u32 v14, s7, v4
	v_add3_u32 v21, v11, v21, v10
	scratch_store_b64 off, v[18:19], off offset:112 ; 8-byte Folded Spill
	s_wait_xcnt 0x0
	v_mad_nc_u64_u32 v[18:19], s6, v4, s[8:9]
	v_add_nc_u64_e32 v[6:7], 44, v[24:25]
	v_add_nc_u64_e32 v[8:9], 48, v[24:25]
	v_mad_nc_u64_u32 v[28:29], s6, v4, s[10:11]
	v_add_nc_u64_e32 v[4:5], 52, v[24:25]
	v_add3_u32 v23, v12, v23, v3
	v_add3_u32 v27, v12, v27, v3
	scratch_store_b64 off, v[20:21], off offset:120 ; 8-byte Folded Spill
	v_mul_lo_u32 v7, s6, v7
	v_mul_lo_u32 v15, s7, v6
	v_mad_nc_u64_u32 v[30:31], s6, v6, s[8:9]
	v_mad_nc_u64_u32 v[32:33], s6, v6, s[10:11]
	v_mul_lo_u32 v9, s6, v9
	v_mul_lo_u32 v16, s7, v8
	v_mad_nc_u64_u32 v[34:35], s6, v8, s[8:9]
	v_add3_u32 v19, v14, v19, v13
	s_clause 0x1
	scratch_store_b64 off, v[22:23], off offset:128
	scratch_store_b64 off, v[26:27], off offset:136
	v_add3_u32 v29, v14, v29, v13
	v_lshlrev_b32_e32 v14, 4, v1
	scratch_store_b64 off, v[18:19], off offset:144 ; 8-byte Folded Spill
	s_wait_xcnt 0x0
	v_mad_nc_u64_u32 v[18:19], s6, v8, s[10:11]
	v_add3_u32 v31, v15, v31, v7
	v_add3_u32 v33, v15, v33, v7
	v_add_nc_u64_e32 v[6:7], 56, v[24:25]
	v_add3_u32 v35, v16, v35, v9
	v_mov_b32_e32 v15, v2
	v_mul_lo_u32 v3, s6, v5
	v_mul_lo_u32 v8, s7, v4
	v_mad_nc_u64_u32 v[20:21], s6, v4, s[8:9]
	v_mad_nc_u64_u32 v[106:107], s6, v4, s[10:11]
	s_clause 0x1
	scratch_store_b64 off, v[30:31], off offset:160
	scratch_store_b64 off, v[32:33], off offset:168
	v_add_nc_u64_e32 v[4:5], 60, v[24:25]
	v_mul_lo_u32 v7, s6, v7
	v_mul_lo_u32 v10, s7, v6
	v_mad_nc_u64_u32 v[108:109], s6, v6, s[8:9]
	v_mad_nc_u64_u32 v[110:111], s6, v6, s[10:11]
	v_add3_u32 v19, v16, v19, v9
	scratch_store_b64 off, v[34:35], off offset:176 ; 8-byte Folded Spill
	v_add_nc_u32_e32 v16, s13, v0
	s_wait_xcnt 0x0
	v_add_nc_u64_e32 v[34:35], s[16:17], v[14:15]
	v_mul_lo_u32 v12, s6, v5
	v_mul_lo_u32 v13, s7, v4
	v_mad_nc_u64_u32 v[100:101], s6, v4, s[8:9]
	v_mad_nc_u64_u32 v[118:119], s6, v4, s[10:11]
	v_add3_u32 v21, v8, v21, v3
	v_add3_u32 v107, v8, v107, v3
	v_mul_u64_e32 v[8:9], s[6:7], v[34:35]
	v_add_nc_u64_e32 v[4:5], 15, v[34:35]
	v_add3_u32 v109, v10, v109, v7
	v_add3_u32 v111, v10, v111, v7
	v_add_nc_u64_e32 v[6:7], 14, v[34:35]
	s_clause 0x3
	scratch_store_b32 off, v1, off offset:200
	scratch_store_b64 off, v[14:15], off offset:204
	scratch_store_b64 off, v[20:21], off offset:192
	scratch_store_b32 off, v0, off offset:212
	v_add3_u32 v101, v13, v101, v12
	v_mul_u64_e32 v[4:5], s[6:7], v[4:5]
	v_add3_u32 v119, v13, v119, v12
	v_mul_u64_e32 v[6:7], s[6:7], v[6:7]
	v_add_nc_u64_e32 v[12:13], 12, v[34:35]
	s_wait_xcnt 0x2
	v_add_nc_u64_e32 v[14:15], 11, v[34:35]
	v_add_nc_u64_e32 v[10:11], 13, v[34:35]
	s_wait_xcnt 0x1
	v_add_nc_u64_e32 v[20:21], 9, v[34:35]
	v_add_nc_u64_e32 v[22:23], 8, v[34:35]
	s_clause 0x1
	scratch_store_b64 off, v[28:29], off offset:152
	scratch_store_b64 off, v[18:19], off offset:184
	v_mul_u64_e32 v[12:13], s[6:7], v[12:13]
	v_mul_u64_e32 v[14:15], s[6:7], v[14:15]
	;; [unrolled: 1-line block ×3, first 2 shown]
	s_wait_xcnt 0x0
	v_add_nc_u64_e32 v[18:19], 10, v[34:35]
	v_add_nc_u64_e32 v[24:25], 7, v[34:35]
	v_mul_u64_e32 v[20:21], s[6:7], v[20:21]
	v_mul_u64_e32 v[22:23], s[6:7], v[22:23]
	v_add_nc_u64_e32 v[26:27], 6, v[34:35]
	v_add_nc_u64_e32 v[28:29], 5, v[34:35]
	v_dual_mov_b32 v17, v2 :: v_dual_mov_b32 v98, 0
	v_mul_u64_e32 v[18:19], s[6:7], v[18:19]
	v_mul_u64_e32 v[24:25], s[6:7], v[24:25]
	v_lshlrev_b64_e32 v[30:31], 2, v[8:9]
	s_delay_alu instid0(VALU_DEP_4)
	v_lshlrev_b64_e32 v[112:113], 2, v[16:17]
	v_add_nc_u64_e32 v[16:17], 4, v[34:35]
	v_mul_u64_e32 v[26:27], s[6:7], v[26:27]
	v_mul_u64_e32 v[28:29], s[6:7], v[28:29]
	v_add_nc_u64_e32 v[32:33], 3, v[34:35]
	v_add_nc_u64_e32 v[0:1], 2, v[34:35]
	;; [unrolled: 1-line block ×4, first 2 shown]
	v_mul_u64_e32 v[16:17], s[6:7], v[16:17]
	v_lshlrev_b64_e32 v[4:5], 2, v[4:5]
	v_lshlrev_b64_e32 v[6:7], 2, v[6:7]
	v_mul_u64_e32 v[30:31], s[6:7], v[32:33]
	v_mul_u64_e32 v[32:33], s[6:7], v[0:1]
	v_add_nc_u64_e32 v[8:9], s[6:7], v[8:9]
	s_wait_kmcnt 0x0
	s_lshl_b32 s18, s2, 8
	s_mov_b64 s[36:37], 0xffffffffffffff08
	v_add_nc_u64_e32 v[104:105], s[8:9], v[4:5]
	v_add_nc_u64_e32 v[120:121], s[10:11], v[4:5]
	v_lshlrev_b64_e32 v[4:5], 2, v[12:13]
	v_add_nc_u64_e32 v[122:123], s[8:9], v[6:7]
	v_add_nc_u64_e32 v[124:125], s[10:11], v[6:7]
	v_lshlrev_b64_e32 v[6:7], 2, v[14:15]
	v_lshlrev_b64_e32 v[10:11], 2, v[10:11]
	s_mul_u64 s[22:23], s[6:7], s[18:19]
	s_mov_b64 s[38:39], 0xffffffffffffff09
	v_add_nc_u64_e32 v[0:1], s[8:9], v[4:5]
	v_add_nc_u64_e32 v[50:51], s[10:11], v[4:5]
	v_lshlrev_b64_e32 v[4:5], 2, v[20:21]
	v_add_nc_u64_e32 v[52:53], s[8:9], v[6:7]
	v_add_nc_u64_e32 v[54:55], s[10:11], v[6:7]
	v_lshlrev_b64_e32 v[6:7], 2, v[22:23]
	;; [unrolled: 3-line block ×3, first 2 shown]
	v_lshlrev_b64_e32 v[12:13], 2, v[24:25]
	v_add_nc_u64_e32 v[60:61], s[8:9], v[4:5]
	v_add_nc_u64_e32 v[62:63], s[10:11], v[4:5]
	v_lshlrev_b64_e32 v[4:5], 2, v[26:27]
	v_add_nc_u64_e32 v[64:65], s[8:9], v[6:7]
	v_add_nc_u64_e32 v[66:67], s[10:11], v[6:7]
	;; [unrolled: 3-line block ×3, first 2 shown]
	v_add_nc_u64_e32 v[68:69], s[8:9], v[12:13]
	v_add_nc_u64_e32 v[70:71], s[10:11], v[12:13]
	v_lshlrev_b64_e32 v[10:11], 2, v[16:17]
	v_add_nc_u64_e32 v[72:73], s[8:9], v[4:5]
	v_add_nc_u64_e32 v[74:75], s[10:11], v[4:5]
	v_lshlrev_b64_e32 v[4:5], 2, v[30:31]
	v_lshlrev_b64_e32 v[12:13], 2, v[32:33]
	v_add_nc_u64_e32 v[76:77], s[8:9], v[6:7]
	v_add_nc_u64_e32 v[78:79], s[10:11], v[6:7]
	v_lshlrev_b64_e32 v[6:7], 2, v[8:9]
	v_add_nc_u64_e32 v[80:81], s[8:9], v[10:11]
	v_add_nc_u64_e32 v[82:83], s[10:11], v[10:11]
	;; [unrolled: 1-line block ×8, first 2 shown]
	s_lshl_b64 s[22:23], s[22:23], 2
	s_mov_b64 s[8:9], 0xffffffffffffff01
	s_mov_b64 s[10:11], 0xffffffffffffff02
	s_mov_b64 s[40:41], 0xffffffffffffff0a
	s_mov_b64 s[42:43], 0xffffffffffffff0b
	s_mov_b64 s[44:45], 0xffffffffffffff0c
	s_mov_b64 s[46:47], 0xffffffffffffff0d
	s_mov_b64 s[48:49], 0xffffffffffffff0e
	s_mov_b64 s[50:51], 0xffffffffffffff0f
	s_mov_b64 s[52:53], 0xffffffffffffff10
	s_add_nc_u64 s[54:55], s[16:17], 0xff
.LBB151_85:                             ; =>This Inner Loop Header: Depth=1
	scratch_load_b64 v[4:5], off, off offset:204 ; 8-byte Folded Reload
	v_cmp_ge_i64_e64 s13, s[54:55], s[4:5]
	s_mov_b32 s2, -1
                                        ; implicit-def: $vgpr3
	s_and_b32 vcc_lo, exec_lo, s13
	s_wait_loadcnt 0x0
	v_add_nc_u64_e32 v[96:97], s[54:55], v[4:5]
	s_cbranch_vccz .LBB151_123
; %bb.86:                               ;   in Loop: Header=BB151_85 Depth=1
	s_load_b32 s2, s[20:21], 0xc
	s_clause 0x1
	scratch_load_b32 v3, off, off offset:200
	scratch_load_b32 v4, off, off offset:212
	v_mov_b32_e32 v99, 0
	s_wait_kmcnt 0x0
	s_and_b32 s2, s2, 0xffff
	s_wait_loadcnt 0x0
	v_mad_u32_u24 v3, v3, s2, v4
	s_mov_b32 s2, exec_lo
	s_delay_alu instid0(VALU_DEP_1) | instskip(SKIP_1) | instid1(VALU_DEP_1)
	v_and_b32_e32 v4, 31, v3
	s_wait_xcnt 0x0
	v_cmpx_gt_u32_e32 16, v4
	s_cbranch_execz .LBB151_90
; %bb.87:                               ;   in Loop: Header=BB151_85 Depth=1
	v_dual_mov_b32 v5, v2 :: v_dual_mov_b32 v99, 0
	s_mov_b32 s13, exec_lo
	s_delay_alu instid0(VALU_DEP_1) | instskip(NEXT) | instid1(VALU_DEP_1)
	v_add_nc_u64_e32 v[4:5], v[96:97], v[4:5]
	v_add_nc_u64_e32 v[4:5], s[8:9], v[4:5]
	s_delay_alu instid0(VALU_DEP_1)
	v_cmpx_gt_i64_e64 s[4:5], v[4:5]
	s_cbranch_execz .LBB151_89
; %bb.88:                               ;   in Loop: Header=BB151_85 Depth=1
	v_lshl_add_u64 v[4:5], v[4:5], 2, s[14:15]
	global_load_b32 v99, v[4:5], off
.LBB151_89:                             ;   in Loop: Header=BB151_85 Depth=1
	s_wait_xcnt 0x0
	s_or_b32 exec_lo, exec_lo, s13
.LBB151_90:                             ;   in Loop: Header=BB151_85 Depth=1
	s_delay_alu instid0(SALU_CYCLE_1)
	s_or_b32 exec_lo, exec_lo, s2
	v_add_nc_u64_e32 v[18:19], s[8:9], v[96:97]
	v_dual_mov_b32 v15, v2 :: v_dual_mov_b32 v16, v2
	v_dual_mov_b32 v17, v2 :: v_dual_mov_b32 v3, v2
	;; [unrolled: 1-line block ×7, first 2 shown]
	v_mov_b32_e32 v14, v2
	v_cmp_gt_i64_e32 vcc_lo, s[4:5], v[18:19]
	v_mov_b64_e32 v[32:33], v[16:17]
	v_mov_b64_e32 v[48:49], v[16:17]
	;; [unrolled: 1-line block ×16, first 2 shown]
	s_and_saveexec_b32 s2, vcc_lo
	s_cbranch_execz .LBB151_92
; %bb.91:                               ;   in Loop: Header=BB151_85 Depth=1
	v_add_nc_u64_e32 v[4:5], v[114:115], v[112:113]
	v_add_nc_u64_e32 v[6:7], v[116:117], v[112:113]
	v_dual_mov_b32 v35, v2 :: v_dual_mov_b32 v36, v2
	v_dual_mov_b32 v37, v2 :: v_dual_mov_b32 v38, v2
	;; [unrolled: 1-line block ×3, first 2 shown]
	global_load_b32 v34, v[4:5], off
	global_load_b32 v18, v[6:7], off
	v_dual_mov_b32 v41, v2 :: v_dual_mov_b32 v42, v2
	v_dual_mov_b32 v43, v2 :: v_dual_mov_b32 v44, v2
	;; [unrolled: 1-line block ×12, first 2 shown]
.LBB151_92:                             ;   in Loop: Header=BB151_85 Depth=1
	s_wait_xcnt 0x0
	s_or_b32 exec_lo, exec_lo, s2
	v_add_nc_u64_e32 v[4:5], s[10:11], v[96:97]
	s_mov_b32 s2, exec_lo
	s_delay_alu instid0(VALU_DEP_1)
	v_cmpx_gt_i64_e64 s[4:5], v[4:5]
	s_cbranch_execz .LBB151_94
; %bb.93:                               ;   in Loop: Header=BB151_85 Depth=1
	v_add_nc_u64_e32 v[4:5], v[92:93], v[112:113]
	global_load_b32 v35, v[4:5], off
	s_wait_xcnt 0x0
	v_add_nc_u64_e32 v[4:5], v[94:95], v[112:113]
	global_load_b32 v19, v[4:5], off
.LBB151_94:                             ;   in Loop: Header=BB151_85 Depth=1
	s_wait_xcnt 0x0
	s_or_b32 exec_lo, exec_lo, s2
	v_add_nc_u64_e32 v[4:5], s[24:25], v[96:97]
	s_mov_b32 s2, exec_lo
	s_delay_alu instid0(VALU_DEP_1)
	v_cmpx_gt_i64_e64 s[4:5], v[4:5]
	s_cbranch_execz .LBB151_96
; %bb.95:                               ;   in Loop: Header=BB151_85 Depth=1
	v_add_nc_u64_e32 v[4:5], v[88:89], v[112:113]
	global_load_b32 v36, v[4:5], off
	s_wait_xcnt 0x0
	v_add_nc_u64_e32 v[4:5], v[90:91], v[112:113]
	global_load_b32 v20, v[4:5], off
.LBB151_96:                             ;   in Loop: Header=BB151_85 Depth=1
	;; [unrolled: 14-line block ×3, first 2 shown]
	s_wait_xcnt 0x0
	s_or_b32 exec_lo, exec_lo, s2
	v_add_nc_u64_e32 v[4:5], s[28:29], v[96:97]
	s_mov_b32 s2, exec_lo
	s_delay_alu instid0(VALU_DEP_1)
	v_cmpx_gt_i64_e64 s[4:5], v[4:5]
	s_cbranch_execz .LBB151_100
; %bb.99:                               ;   in Loop: Header=BB151_85 Depth=1
	v_add_nc_u64_e32 v[4:5], v[80:81], v[112:113]
	global_load_b32 v38, v[4:5], off
	s_wait_xcnt 0x0
	v_add_nc_u64_e32 v[4:5], v[82:83], v[112:113]
	global_load_b32 v22, v[4:5], off
.LBB151_100:                            ;   in Loop: Header=BB151_85 Depth=1
	s_wait_xcnt 0x0
	s_or_b32 exec_lo, exec_lo, s2
	v_add_nc_u64_e32 v[4:5], s[30:31], v[96:97]
	s_mov_b32 s2, exec_lo
	s_delay_alu instid0(VALU_DEP_1)
	v_cmpx_gt_i64_e64 s[4:5], v[4:5]
	s_cbranch_execz .LBB151_102
; %bb.101:                              ;   in Loop: Header=BB151_85 Depth=1
	v_add_nc_u64_e32 v[4:5], v[76:77], v[112:113]
	global_load_b32 v39, v[4:5], off
	s_wait_xcnt 0x0
	v_add_nc_u64_e32 v[4:5], v[78:79], v[112:113]
	global_load_b32 v23, v[4:5], off
.LBB151_102:                            ;   in Loop: Header=BB151_85 Depth=1
	s_wait_xcnt 0x0
	s_or_b32 exec_lo, exec_lo, s2
	v_add_nc_u64_e32 v[4:5], s[34:35], v[96:97]
	s_mov_b32 s2, exec_lo
	s_delay_alu instid0(VALU_DEP_1)
	v_cmpx_gt_i64_e64 s[4:5], v[4:5]
	s_cbranch_execz .LBB151_104
; %bb.103:                              ;   in Loop: Header=BB151_85 Depth=1
	v_add_nc_u64_e32 v[4:5], v[72:73], v[112:113]
	global_load_b32 v40, v[4:5], off
	s_wait_xcnt 0x0
	v_add_nc_u64_e32 v[4:5], v[74:75], v[112:113]
	global_load_b32 v24, v[4:5], off
.LBB151_104:                            ;   in Loop: Header=BB151_85 Depth=1
	;; [unrolled: 14-line block ×11, first 2 shown]
	s_wait_xcnt 0x0
	s_or_b32 exec_lo, exec_lo, s2
	s_wait_loadcnt 0x0
	ds_bpermute_b32 v3, v2, v99
	v_dual_mul_f32 v4, v18, v34 :: v_dual_mul_f32 v5, v19, v35
	ds_bpermute_b32 v10, v2, v99 offset:16
	ds_bpermute_b32 v11, v2, v99 offset:20
	v_pk_mul_f32 v[16:17], v[22:23], v[38:39]
	v_pk_mul_f32 v[14:15], v[24:25], v[40:41]
	v_pk_mul_f32 v[12:13], v[26:27], v[42:43]
	v_pk_mul_f32 v[8:9], v[28:29], v[44:45]
	v_pk_mul_f32 v[6:7], v[30:31], v[46:47]
	s_mov_b32 s2, 0
	s_wait_dscnt 0x2
	v_fma_f32 v3, v4, v3, v98
	ds_bpermute_b32 v4, v2, v99 offset:4
	s_wait_dscnt 0x1
	v_pk_mul_f32 v[10:11], v[16:17], v[10:11]
	s_wait_dscnt 0x0
	v_fmac_f32_e32 v3, v5, v4
	ds_bpermute_b32 v4, v2, v99 offset:8
	v_mul_f32_e32 v5, v20, v36
	s_wait_dscnt 0x0
	s_delay_alu instid0(VALU_DEP_1) | instskip(SKIP_3) | instid1(VALU_DEP_1)
	v_fmac_f32_e32 v3, v5, v4
	ds_bpermute_b32 v4, v2, v99 offset:12
	v_mul_f32_e32 v5, v21, v37
	s_wait_dscnt 0x0
	v_fmac_f32_e32 v3, v5, v4
	v_pk_mul_f32 v[4:5], v[32:33], v[48:49]
	s_delay_alu instid0(VALU_DEP_2)
	v_add_f32_e32 v3, v3, v10
	ds_bpermute_b32 v10, v2, v99 offset:24
	v_add_f32_e32 v3, v3, v11
	ds_bpermute_b32 v11, v2, v99 offset:28
	s_wait_dscnt 0x0
	v_pk_mul_f32 v[10:11], v[14:15], v[10:11]
	s_delay_alu instid0(VALU_DEP_1)
	v_add_f32_e32 v3, v3, v10
	ds_bpermute_b32 v10, v2, v99 offset:32
	v_add_f32_e32 v3, v3, v11
	ds_bpermute_b32 v11, v2, v99 offset:36
	s_wait_dscnt 0x0
	v_pk_mul_f32 v[10:11], v[12:13], v[10:11]
	s_delay_alu instid0(VALU_DEP_1)
	;; [unrolled: 7-line block ×4, first 2 shown]
	v_add_f32_e32 v3, v3, v6
	ds_bpermute_b32 v6, v2, v99 offset:56
	v_add_f32_e32 v3, v3, v7
	ds_bpermute_b32 v7, v2, v99 offset:60
	s_wait_dscnt 0x0
	v_pk_mul_f32 v[4:5], v[4:5], v[6:7]
	s_delay_alu instid0(VALU_DEP_1) | instskip(NEXT) | instid1(VALU_DEP_1)
	v_add_f32_e32 v3, v3, v4
	v_add_f32_e32 v3, v3, v5
.LBB151_123:                            ;   in Loop: Header=BB151_85 Depth=1
	s_and_b32 vcc_lo, exec_lo, s2
	s_cbranch_vccz .LBB151_129
; %bb.124:                              ;   in Loop: Header=BB151_85 Depth=1
	s_load_b32 s2, s[20:21], 0x0
	s_wait_kmcnt 0x0
	s_cmp_lt_u32 s12, s2
	s_cselect_b32 s2, 12, 18
	s_delay_alu instid0(SALU_CYCLE_1)
	s_add_nc_u64 s[56:57], s[20:21], s[2:3]
	s_load_u16 s2, s[56:57], 0x0
	s_clause 0x1
	scratch_load_b32 v3, off, off offset:200
	scratch_load_b32 v4, off, off offset:212
	s_wait_loadcnt 0x0
	s_wait_kmcnt 0x0
	v_mad_u32_u24 v3, v3, s2, v4
	s_mov_b32 s2, exec_lo
	s_delay_alu instid0(VALU_DEP_1) | instskip(SKIP_1) | instid1(VALU_DEP_1)
	v_dual_mov_b32 v3, 0 :: v_dual_bitop2_b32 v4, 31, v3 bitop3:0x40
	s_wait_xcnt 0x0
	v_cmpx_gt_u32_e32 16, v4
	s_cbranch_execz .LBB151_128
; %bb.125:                              ;   in Loop: Header=BB151_85 Depth=1
	v_dual_mov_b32 v5, v2 :: v_dual_mov_b32 v3, 0
	s_mov_b32 s13, exec_lo
	s_delay_alu instid0(VALU_DEP_1) | instskip(NEXT) | instid1(VALU_DEP_1)
	v_add_nc_u64_e32 v[4:5], v[96:97], v[4:5]
	v_add_nc_u64_e32 v[4:5], s[8:9], v[4:5]
	s_delay_alu instid0(VALU_DEP_1)
	v_cmpx_gt_i64_e64 s[4:5], v[4:5]
	s_cbranch_execz .LBB151_127
; %bb.126:                              ;   in Loop: Header=BB151_85 Depth=1
	v_lshl_add_u64 v[4:5], v[4:5], 2, s[14:15]
	global_load_b32 v3, v[4:5], off
.LBB151_127:                            ;   in Loop: Header=BB151_85 Depth=1
	s_wait_xcnt 0x0
	s_or_b32 exec_lo, exec_lo, s13
.LBB151_128:                            ;   in Loop: Header=BB151_85 Depth=1
	s_delay_alu instid0(SALU_CYCLE_1)
	s_or_b32 exec_lo, exec_lo, s2
	v_add_nc_u64_e32 v[4:5], v[114:115], v[112:113]
	v_add_nc_u64_e32 v[28:29], v[100:101], v[112:113]
	;; [unrolled: 1-line block ×3, first 2 shown]
	global_load_b32 v30, v[4:5], off
	s_wait_xcnt 0x0
	v_add_nc_u64_e32 v[4:5], v[116:117], v[112:113]
	global_load_b32 v31, v[4:5], off
	scratch_load_b64 v[4:5], off, off       ; 8-byte Folded Reload
	s_wait_loadcnt 0x0
	v_add_nc_u64_e32 v[4:5], v[4:5], v[112:113]
	global_load_b32 v32, v[4:5], off
	scratch_load_b64 v[4:5], off, off offset:48 ; 8-byte Folded Reload
	s_wait_loadcnt 0x0
	v_add_nc_u64_e32 v[4:5], v[4:5], v[112:113]
	global_load_b32 v33, v[4:5], off
	scratch_load_b64 v[4:5], off, off offset:8 ; 8-byte Folded Reload
	;; [unrolled: 4-line block ×10, first 2 shown]
	s_wait_loadcnt 0x1
	v_pk_mul_f32 v[20:21], v[20:21], v[24:25]
	s_wait_loadcnt 0x0
	v_add_nc_u64_e32 v[4:5], v[4:5], v[112:113]
	global_load_b32 v22, v[4:5], off
	scratch_load_b64 v[4:5], off, off offset:96 ; 8-byte Folded Reload
	s_wait_loadcnt 0x0
	v_add_nc_u64_e32 v[4:5], v[4:5], v[112:113]
	global_load_b32 v26, v[4:5], off
	scratch_load_b64 v[4:5], off, off offset:72 ; 8-byte Folded Reload
	s_wait_loadcnt 0x0
	v_add_nc_u64_e32 v[4:5], v[4:5], v[112:113]
	global_load_b32 v23, v[4:5], off
	scratch_load_b64 v[4:5], off, off offset:104 ; 8-byte Folded Reload
	s_wait_loadcnt 0x0
	v_add_nc_u64_e32 v[4:5], v[4:5], v[112:113]
	global_load_b32 v27, v[4:5], off
	scratch_load_b64 v[4:5], off, off offset:112 ; 8-byte Folded Reload
	s_wait_loadcnt 0x1
	v_pk_mul_f32 v[22:23], v[22:23], v[26:27]
	s_wait_loadcnt 0x0
	v_add_nc_u64_e32 v[4:5], v[4:5], v[112:113]
	global_load_b32 v14, v[4:5], off
	scratch_load_b64 v[4:5], off, off offset:120 ; 8-byte Folded Reload
	s_wait_loadcnt 0x0
	v_add_nc_u64_e32 v[4:5], v[4:5], v[112:113]
	global_load_b32 v18, v[4:5], off
	scratch_load_b64 v[4:5], off, off offset:128 ; 8-byte Folded Reload
	s_wait_loadcnt 0x0
	v_add_nc_u64_e32 v[4:5], v[4:5], v[112:113]
	global_load_b32 v15, v[4:5], off
	scratch_load_b64 v[4:5], off, off offset:136 ; 8-byte Folded Reload
	s_wait_loadcnt 0x0
	v_add_nc_u64_e32 v[4:5], v[4:5], v[112:113]
	global_load_b32 v19, v[4:5], off
	scratch_load_b64 v[4:5], off, off offset:144 ; 8-byte Folded Reload
	;; [unrolled: 18-line block ×3, first 2 shown]
	s_wait_loadcnt 0x1
	v_pk_mul_f32 v[12:13], v[12:13], v[16:17]
	s_wait_loadcnt 0x0
	v_add_nc_u64_e32 v[4:5], v[4:5], v[112:113]
	global_load_b32 v8, v[4:5], off
	scratch_load_b64 v[4:5], off, off offset:184 ; 8-byte Folded Reload
	s_wait_loadcnt 0x0
	v_add_nc_u64_e32 v[4:5], v[4:5], v[112:113]
	global_load_b32 v10, v[4:5], off
	scratch_load_b64 v[4:5], off, off offset:192 ; 8-byte Folded Reload
	global_load_b32 v6, v[6:7], off
	s_wait_loadcnt 0x1
	v_add_nc_u64_e32 v[4:5], v[4:5], v[112:113]
	global_load_b32 v9, v[4:5], off
	s_wait_xcnt 0x0
	v_add_nc_u64_e32 v[4:5], v[106:107], v[112:113]
	global_load_b32 v11, v[4:5], off
	s_wait_xcnt 0x0
	v_add_nc_u64_e32 v[4:5], v[108:109], v[112:113]
	global_load_b32 v4, v[4:5], off
	global_load_b32 v5, v[28:29], off
	s_wait_xcnt 0x0
	v_add_nc_u64_e32 v[28:29], v[118:119], v[112:113]
	global_load_b32 v7, v[28:29], off
	s_wait_xcnt 0x0
	ds_bpermute_b32 v28, v2, v3
	v_mul_f32_e32 v29, v30, v31
	s_wait_dscnt 0x0
	s_delay_alu instid0(VALU_DEP_1)
	v_dual_fmac_f32 v98, v29, v28 :: v_dual_mul_f32 v29, v32, v33
	ds_bpermute_b32 v28, v2, v3 offset:4
	s_wait_dscnt 0x0
	v_dual_fmac_f32 v98, v29, v28 :: v_dual_mul_f32 v29, v34, v35
	ds_bpermute_b32 v28, v2, v3 offset:8
	s_wait_dscnt 0x0
	;; [unrolled: 3-line block ×3, first 2 shown]
	v_fmac_f32_e32 v98, v29, v28
	ds_bpermute_b32 v28, v2, v3 offset:16
	ds_bpermute_b32 v29, v2, v3 offset:20
	s_wait_dscnt 0x0
	v_pk_mul_f32 v[20:21], v[20:21], v[28:29]
	s_delay_alu instid0(VALU_DEP_1) | instskip(NEXT) | instid1(VALU_DEP_1)
	v_add_f32_e32 v20, v98, v20
	v_add_f32_e32 v24, v20, v21
	ds_bpermute_b32 v20, v2, v3 offset:24
	ds_bpermute_b32 v21, v2, v3 offset:28
	s_wait_dscnt 0x0
	v_pk_mul_f32 v[20:21], v[22:23], v[20:21]
	s_delay_alu instid0(VALU_DEP_1) | instskip(NEXT) | instid1(VALU_DEP_1)
	v_add_f32_e32 v20, v24, v20
	v_add_f32_e32 v22, v20, v21
	;; [unrolled: 7-line block ×4, first 2 shown]
	ds_bpermute_b32 v12, v2, v3 offset:48
	ds_bpermute_b32 v13, v2, v3 offset:52
	s_wait_loadcnt 0x3
	v_pk_mul_f32 v[8:9], v[8:9], v[10:11]
	s_wait_dscnt 0x0
	s_delay_alu instid0(VALU_DEP_1) | instskip(NEXT) | instid1(VALU_DEP_1)
	v_pk_mul_f32 v[8:9], v[8:9], v[12:13]
	v_add_f32_e32 v8, v14, v8
	s_delay_alu instid0(VALU_DEP_1)
	v_add_f32_e32 v10, v8, v9
	ds_bpermute_b32 v8, v2, v3 offset:56
	ds_bpermute_b32 v9, v2, v3 offset:60
	s_wait_loadcnt 0x0
	v_pk_mul_f32 v[4:5], v[4:5], v[6:7]
	s_wait_dscnt 0x0
	s_delay_alu instid0(VALU_DEP_1) | instskip(NEXT) | instid1(VALU_DEP_1)
	v_pk_mul_f32 v[4:5], v[4:5], v[8:9]
	v_add_f32_e32 v3, v10, v4
	s_delay_alu instid0(VALU_DEP_1)
	v_add_f32_e32 v3, v3, v5
.LBB151_129:                            ;   in Loop: Header=BB151_85 Depth=1
	scratch_load_b64 v[4:5], off, off       ; 8-byte Folded Reload
	s_add_nc_u64 s[16:17], s[16:17], s[18:19]
	v_add_nc_u64_e32 v[114:115], s[22:23], v[114:115]
	v_cmp_ge_i64_e64 s2, s[16:17], s[4:5]
	v_add_nc_u64_e32 v[116:117], s[22:23], v[116:117]
	v_add_nc_u64_e32 v[108:109], s[22:23], v[108:109]
	;; [unrolled: 1-line block ×36, first 2 shown]
	s_and_b32 vcc_lo, exec_lo, s2
	s_add_nc_u64 s[54:55], s[54:55], s[18:19]
	s_wait_loadcnt 0x0
	v_add_nc_u64_e32 v[4:5], s[22:23], v[4:5]
	s_clause 0x1
	scratch_store_b64 off, v[4:5], off
	scratch_load_b64 v[4:5], off, off offset:8
	s_wait_loadcnt 0x0
	v_add_nc_u64_e32 v[4:5], s[22:23], v[4:5]
	s_clause 0x1
	scratch_store_b64 off, v[4:5], off offset:8
	scratch_load_b64 v[4:5], off, off offset:16
	s_wait_loadcnt 0x0
	v_add_nc_u64_e32 v[4:5], s[22:23], v[4:5]
	s_clause 0x1
	scratch_store_b64 off, v[4:5], off offset:16
	;; [unrolled: 5-line block ×23, first 2 shown]
	scratch_load_b64 v[4:5], off, off offset:184
	s_wait_loadcnt 0x0
	v_add_nc_u64_e32 v[4:5], s[22:23], v[4:5]
	scratch_store_b64 off, v[4:5], off offset:184 ; 8-byte Folded Spill
	s_cbranch_vccnz .LBB151_131
; %bb.130:                              ;   in Loop: Header=BB151_85 Depth=1
	v_mov_b32_e32 v98, v3
	s_branch .LBB151_85
.LBB151_131:
	scratch_load_b32 v0, off, off offset:216 ; 4-byte Folded Reload
.LBB151_132:
	s_wait_loadcnt 0x0
	s_wait_xcnt 0x1
	v_and_b32_e32 v4, 0x3ff, v0
	v_bfe_u32 v0, v0, 10, 10
	s_mov_b32 s2, exec_lo
	s_delay_alu instid0(VALU_DEP_1) | instskip(SKIP_1) | instid1(VALU_DEP_2)
	v_mad_u32_u24 v1, 0x41, v0, v4
	v_mov_b32_e32 v5, 0
	v_lshl_add_u32 v2, v1, 2, 0
	v_sub_nc_u32_e32 v1, v1, v0
	ds_store_b32 v2, v3
	ds_store_b32 v2, v5 offset:4160
	s_wait_storecnt_dscnt 0x0
	s_barrier_signal -1
	s_barrier_wait -1
	s_wait_xcnt 0x0
	v_cmpx_gt_u32_e32 0x800, v1
	s_cbranch_execz .LBB151_142
; %bb.133:
	s_load_b64 s[2:3], s[0:1], 0x30
	v_dual_lshrrev_b32 v0, 5, v1 :: v_dual_bitop2_b32 v2, 31, v4 bitop3:0x40
	s_delay_alu instid0(VALU_DEP_1)
	v_cmp_gt_u32_e32 vcc_lo, 16, v2
	v_mul_u32_u24_e32 v5, 0x41, v2
                                        ; implicit-def: $vgpr2
	s_wait_xcnt 0x0
	s_and_saveexec_b32 s0, vcc_lo
; %bb.134:
	s_delay_alu instid0(VALU_DEP_1) | instskip(NEXT) | instid1(VALU_DEP_1)
	v_dual_lshlrev_b32 v2, 2, v0 :: v_dual_lshlrev_b32 v3, 2, v5
	v_add3_u32 v2, 0, v2, v3
	ds_load_b32 v2, v2
; %bb.135:
	s_or_b32 exec_lo, exec_lo, s0
	v_mbcnt_lo_u32_b32 v3, -1, 0
	s_mov_b32 s13, 0
	s_delay_alu instid0(SALU_CYCLE_1)
	s_lshl_b64 s[4:5], s[12:13], 6
	s_wait_kmcnt 0x0
	s_cmp_eq_u64 s[2:3], 0
	v_xor_b32_e32 v6, 8, v3
	s_cselect_b32 s8, -1, 0
	v_xor_b32_e32 v7, 4, v3
	v_xor_b32_e32 v10, 1, v3
	s_delay_alu instid0(VALU_DEP_3) | instskip(NEXT) | instid1(VALU_DEP_1)
	v_cmp_gt_i32_e64 s0, 32, v6
	v_cndmask_b32_e64 v6, v3, v6, s0
	s_delay_alu instid0(VALU_DEP_4) | instskip(NEXT) | instid1(VALU_DEP_1)
	v_cmp_gt_i32_e64 s0, 32, v7
	v_dual_lshlrev_b32 v6, 2, v6 :: v_dual_cndmask_b32 v7, v3, v7, s0
	s_wait_dscnt 0x0
	ds_bpermute_b32 v8, v6, v2
	s_wait_dscnt 0x0
	v_dual_add_f32 v2, v2, v8 :: v_dual_bitop2_b32 v8, 2, v3 bitop3:0x14
	s_delay_alu instid0(VALU_DEP_1) | instskip(NEXT) | instid1(VALU_DEP_1)
	v_cmp_gt_i32_e64 s0, 32, v8
	v_dual_lshlrev_b32 v7, 2, v7 :: v_dual_cndmask_b32 v8, v3, v8, s0
	ds_bpermute_b32 v9, v7, v2
	v_cmp_gt_i32_e64 s0, 32, v10
	s_wait_dscnt 0x0
	v_dual_lshlrev_b32 v8, 2, v8 :: v_dual_add_f32 v2, v2, v9
	ds_bpermute_b32 v9, v8, v2
	v_cndmask_b32_e64 v3, v3, v10, s0
	v_cmp_ne_u32_e64 s0, 0, v4
	s_wait_dscnt 0x0
	s_delay_alu instid0(VALU_DEP_2) | instskip(SKIP_4) | instid1(VALU_DEP_1)
	v_dual_add_f32 v10, v2, v9 :: v_dual_lshlrev_b32 v9, 2, v3
	v_or_b32_e32 v2, s4, v0
	ds_bpermute_b32 v11, v9, v10
	s_wait_dscnt 0x0
	v_dual_mov_b32 v3, s5 :: v_dual_add_f32 v4, v10, v11
	v_cmp_le_i64_e64 s1, s[6:7], v[2:3]
	s_or_b32 s1, s0, s1
	s_delay_alu instid0(SALU_CYCLE_1) | instskip(NEXT) | instid1(SALU_CYCLE_1)
	s_nor_b32 s9, s8, s1
	s_and_saveexec_b32 s1, s9
	s_cbranch_execz .LBB151_137
; %bb.136:
	v_lshl_add_u64 v[2:3], v[2:3], 2, s[2:3]
	global_store_b32 v[2:3], v4, off
.LBB151_137:
	s_wait_xcnt 0x0
	s_or_b32 exec_lo, exec_lo, s1
	v_cmp_gt_u32_e64 s1, 0x400, v1
	s_and_b32 exec_lo, exec_lo, s1
	s_cbranch_execz .LBB151_142
; %bb.138:
	s_and_saveexec_b32 s1, vcc_lo
; %bb.139:
	v_dual_lshlrev_b32 v1, 2, v0 :: v_dual_lshlrev_b32 v2, 2, v5
	s_delay_alu instid0(VALU_DEP_1)
	v_add3_u32 v1, 0, v1, v2
	ds_load_b32 v4, v1 offset:128
; %bb.140:
	s_or_b32 exec_lo, exec_lo, s1
	s_wait_dscnt 0x0
	ds_bpermute_b32 v1, v6, v4
	s_wait_dscnt 0x0
	v_dual_mov_b32 v5, s5 :: v_dual_add_f32 v1, v4, v1
	ds_bpermute_b32 v2, v7, v1
	s_wait_dscnt 0x0
	v_add_f32_e32 v1, v1, v2
	ds_bpermute_b32 v2, v8, v1
	s_wait_dscnt 0x0
	v_dual_add_f32 v2, v1, v2 :: v_dual_add_nc_u32 v1, 32, v0
	ds_bpermute_b32 v3, v9, v2
	v_or_b32_e32 v4, s4, v1
	s_delay_alu instid0(VALU_DEP_1) | instskip(SKIP_1) | instid1(SALU_CYCLE_1)
	v_cmp_le_i64_e32 vcc_lo, s[6:7], v[4:5]
	s_or_b32 s0, s0, vcc_lo
	s_nor_b32 s0, s8, s0
	s_delay_alu instid0(SALU_CYCLE_1) | instskip(NEXT) | instid1(SALU_CYCLE_1)
	s_and_saveexec_b32 s1, s0
	s_xor_b32 s1, exec_lo, s1
	s_cbranch_execz .LBB151_142
; %bb.141:
	s_wait_dscnt 0x0
	v_dual_mov_b32 v1, 0 :: v_dual_add_f32 v2, v2, v3
	s_delay_alu instid0(VALU_DEP_1) | instskip(NEXT) | instid1(VALU_DEP_1)
	v_add_nc_u64_e32 v[0:1], s[4:5], v[0:1]
	v_lshl_add_u64 v[0:1], v[0:1], 2, s[2:3]
	global_store_b32 v[0:1], v2, off offset:128
.LBB151_142:
	s_sendmsg sendmsg(MSG_DEALLOC_VGPRS)
	s_endpgm
	.section	.rodata,"a",@progbits
	.p2align	6, 0x0
	.amdhsa_kernel _ZN2at6native12_GLOBAL__N_135GammaBetaBackwardCUDAKernelTemplateIffLj64ELj16ELj256ELb0ELb0ELb1EEEvllPKT_S5_PKT0_S8_PS3_S9_
		.amdhsa_group_segment_fixed_size 0
		.amdhsa_private_segment_fixed_size 224
		.amdhsa_kernarg_size 320
		.amdhsa_user_sgpr_count 2
		.amdhsa_user_sgpr_dispatch_ptr 0
		.amdhsa_user_sgpr_queue_ptr 0
		.amdhsa_user_sgpr_kernarg_segment_ptr 1
		.amdhsa_user_sgpr_dispatch_id 0
		.amdhsa_user_sgpr_kernarg_preload_length 0
		.amdhsa_user_sgpr_kernarg_preload_offset 0
		.amdhsa_user_sgpr_private_segment_size 0
		.amdhsa_wavefront_size32 1
		.amdhsa_uses_dynamic_stack 0
		.amdhsa_enable_private_segment 1
		.amdhsa_system_sgpr_workgroup_id_x 1
		.amdhsa_system_sgpr_workgroup_id_y 1
		.amdhsa_system_sgpr_workgroup_id_z 0
		.amdhsa_system_sgpr_workgroup_info 0
		.amdhsa_system_vgpr_workitem_id 1
		.amdhsa_next_free_vgpr 128
		.amdhsa_next_free_sgpr 66
		.amdhsa_named_barrier_count 0
		.amdhsa_reserve_vcc 1
		.amdhsa_float_round_mode_32 0
		.amdhsa_float_round_mode_16_64 0
		.amdhsa_float_denorm_mode_32 3
		.amdhsa_float_denorm_mode_16_64 3
		.amdhsa_fp16_overflow 0
		.amdhsa_memory_ordered 1
		.amdhsa_forward_progress 1
		.amdhsa_inst_pref_size 91
		.amdhsa_round_robin_scheduling 0
		.amdhsa_exception_fp_ieee_invalid_op 0
		.amdhsa_exception_fp_denorm_src 0
		.amdhsa_exception_fp_ieee_div_zero 0
		.amdhsa_exception_fp_ieee_overflow 0
		.amdhsa_exception_fp_ieee_underflow 0
		.amdhsa_exception_fp_ieee_inexact 0
		.amdhsa_exception_int_div_zero 0
	.end_amdhsa_kernel
	.section	.text._ZN2at6native12_GLOBAL__N_135GammaBetaBackwardCUDAKernelTemplateIffLj64ELj16ELj256ELb0ELb0ELb1EEEvllPKT_S5_PKT0_S8_PS3_S9_,"axG",@progbits,_ZN2at6native12_GLOBAL__N_135GammaBetaBackwardCUDAKernelTemplateIffLj64ELj16ELj256ELb0ELb0ELb1EEEvllPKT_S5_PKT0_S8_PS3_S9_,comdat
.Lfunc_end151:
	.size	_ZN2at6native12_GLOBAL__N_135GammaBetaBackwardCUDAKernelTemplateIffLj64ELj16ELj256ELb0ELb0ELb1EEEvllPKT_S5_PKT0_S8_PS3_S9_, .Lfunc_end151-_ZN2at6native12_GLOBAL__N_135GammaBetaBackwardCUDAKernelTemplateIffLj64ELj16ELj256ELb0ELb0ELb1EEEvllPKT_S5_PKT0_S8_PS3_S9_
                                        ; -- End function
	.set _ZN2at6native12_GLOBAL__N_135GammaBetaBackwardCUDAKernelTemplateIffLj64ELj16ELj256ELb0ELb0ELb1EEEvllPKT_S5_PKT0_S8_PS3_S9_.num_vgpr, 128
	.set _ZN2at6native12_GLOBAL__N_135GammaBetaBackwardCUDAKernelTemplateIffLj64ELj16ELj256ELb0ELb0ELb1EEEvllPKT_S5_PKT0_S8_PS3_S9_.num_agpr, 0
	.set _ZN2at6native12_GLOBAL__N_135GammaBetaBackwardCUDAKernelTemplateIffLj64ELj16ELj256ELb0ELb0ELb1EEEvllPKT_S5_PKT0_S8_PS3_S9_.numbered_sgpr, 66
	.set _ZN2at6native12_GLOBAL__N_135GammaBetaBackwardCUDAKernelTemplateIffLj64ELj16ELj256ELb0ELb0ELb1EEEvllPKT_S5_PKT0_S8_PS3_S9_.num_named_barrier, 0
	.set _ZN2at6native12_GLOBAL__N_135GammaBetaBackwardCUDAKernelTemplateIffLj64ELj16ELj256ELb0ELb0ELb1EEEvllPKT_S5_PKT0_S8_PS3_S9_.private_seg_size, 224
	.set _ZN2at6native12_GLOBAL__N_135GammaBetaBackwardCUDAKernelTemplateIffLj64ELj16ELj256ELb0ELb0ELb1EEEvllPKT_S5_PKT0_S8_PS3_S9_.uses_vcc, 1
	.set _ZN2at6native12_GLOBAL__N_135GammaBetaBackwardCUDAKernelTemplateIffLj64ELj16ELj256ELb0ELb0ELb1EEEvllPKT_S5_PKT0_S8_PS3_S9_.uses_flat_scratch, 1
	.set _ZN2at6native12_GLOBAL__N_135GammaBetaBackwardCUDAKernelTemplateIffLj64ELj16ELj256ELb0ELb0ELb1EEEvllPKT_S5_PKT0_S8_PS3_S9_.has_dyn_sized_stack, 0
	.set _ZN2at6native12_GLOBAL__N_135GammaBetaBackwardCUDAKernelTemplateIffLj64ELj16ELj256ELb0ELb0ELb1EEEvllPKT_S5_PKT0_S8_PS3_S9_.has_recursion, 0
	.set _ZN2at6native12_GLOBAL__N_135GammaBetaBackwardCUDAKernelTemplateIffLj64ELj16ELj256ELb0ELb0ELb1EEEvllPKT_S5_PKT0_S8_PS3_S9_.has_indirect_call, 0
	.section	.AMDGPU.csdata,"",@progbits
; Kernel info:
; codeLenInByte = 11556
; TotalNumSgprs: 68
; NumVgprs: 128
; ScratchSize: 224
; MemoryBound: 0
; FloatMode: 240
; IeeeMode: 1
; LDSByteSize: 0 bytes/workgroup (compile time only)
; SGPRBlocks: 0
; VGPRBlocks: 7
; NumSGPRsForWavesPerEU: 68
; NumVGPRsForWavesPerEU: 128
; NamedBarCnt: 0
; Occupancy: 8
; WaveLimiterHint : 0
; COMPUTE_PGM_RSRC2:SCRATCH_EN: 1
; COMPUTE_PGM_RSRC2:USER_SGPR: 2
; COMPUTE_PGM_RSRC2:TRAP_HANDLER: 0
; COMPUTE_PGM_RSRC2:TGID_X_EN: 1
; COMPUTE_PGM_RSRC2:TGID_Y_EN: 1
; COMPUTE_PGM_RSRC2:TGID_Z_EN: 0
; COMPUTE_PGM_RSRC2:TIDIG_COMP_CNT: 1
	.section	.text._ZN2at6native12_GLOBAL__N_135GammaBetaBackwardCUDAKernelTemplateIffLj32ELj1ELj32ELb1ELb1ELb1EEEvllPKT_S5_PKT0_S8_PS3_S9_,"axG",@progbits,_ZN2at6native12_GLOBAL__N_135GammaBetaBackwardCUDAKernelTemplateIffLj32ELj1ELj32ELb1ELb1ELb1EEEvllPKT_S5_PKT0_S8_PS3_S9_,comdat
	.globl	_ZN2at6native12_GLOBAL__N_135GammaBetaBackwardCUDAKernelTemplateIffLj32ELj1ELj32ELb1ELb1ELb1EEEvllPKT_S5_PKT0_S8_PS3_S9_ ; -- Begin function _ZN2at6native12_GLOBAL__N_135GammaBetaBackwardCUDAKernelTemplateIffLj32ELj1ELj32ELb1ELb1ELb1EEEvllPKT_S5_PKT0_S8_PS3_S9_
	.p2align	8
	.type	_ZN2at6native12_GLOBAL__N_135GammaBetaBackwardCUDAKernelTemplateIffLj32ELj1ELj32ELb1ELb1ELb1EEEvllPKT_S5_PKT0_S8_PS3_S9_,@function
_ZN2at6native12_GLOBAL__N_135GammaBetaBackwardCUDAKernelTemplateIffLj32ELj1ELj32ELb1ELb1ELb1EEEvllPKT_S5_PKT0_S8_PS3_S9_: ; @_ZN2at6native12_GLOBAL__N_135GammaBetaBackwardCUDAKernelTemplateIffLj32ELj1ELj32ELb1ELb1ELb1EEEvllPKT_S5_PKT0_S8_PS3_S9_
; %bb.0:
	s_load_b128 s[4:7], s[0:1], 0x0
	s_bfe_u32 s2, ttmp6, 0x40010
	s_bfe_u32 s3, ttmp6, 0x40004
	s_add_co_i32 s2, s2, 1
	s_getreg_b32 s20, hwreg(HW_REG_IB_STS2, 6, 4)
	s_mul_i32 s2, ttmp7, s2
	v_mov_b32_e32 v27, 0
	s_add_co_i32 s3, s3, s2
	s_cmp_eq_u32 s20, 0
	v_bfe_u32 v2, v0, 10, 10
	s_cselect_b32 s21, ttmp7, s3
	s_mov_b32 s3, 0
	s_lshl_b32 s2, s21, 5
	v_and_b32_e32 v10, 0x3ff, v0
	s_wait_kmcnt 0x0
	v_cmp_le_i64_e64 s8, s[4:5], s[2:3]
	s_and_b32 vcc_lo, exec_lo, s8
	s_cbranch_vccnz .LBB152_5
; %bb.1:
	v_dual_mov_b32 v1, 0 :: v_dual_lshlrev_b32 v0, 5, v2
	s_clause 0x1
	s_load_b32 s12, s[0:1], 0x4c
	s_load_b32 s16, s[0:1], 0x44
	s_bfe_u32 s17, ttmp6, 0x4000c
	s_clause 0x1
	s_load_b128 s[8:11], s[0:1], 0x10
	s_load_b64 s[14:15], s[0:1], 0x28
	s_add_co_i32 s17, s17, 1
	v_add_nc_u64_e32 v[4:5], s[2:3], v[0:1]
	s_and_b32 s13, ttmp6, 15
	s_mul_i32 s17, ttmp9, s17
	v_dual_mov_b32 v12, 0x48 :: v_dual_mov_b32 v7, v1
	s_add_co_i32 s13, s13, s17
	v_dual_mov_b32 v14, 0x50 :: v_dual_mov_b32 v25, v1
	s_delay_alu instid0(VALU_DEP_3)
	v_mul_u64_e32 v[8:9], s[6:7], v[4:5]
	v_dual_mov_b32 v0, 60 :: v_dual_mov_b32 v3, 64
	v_mov_b32_e32 v11, 0x44
	v_mov_b32_e32 v13, 0x4c
	;; [unrolled: 1-line block ×4, first 2 shown]
	s_wait_kmcnt 0x0
	s_and_b32 s12, s12, 0xffff
	s_cmp_eq_u32 s20, 0
	v_mad_u32_u24 v6, v2, s12, v10
	s_cselect_b32 s12, ttmp9, s13
	s_mov_b32 s13, s3
	v_lshl_or_b32 v24, s12, 5, v10
	s_lshl_b32 s12, s16, 5
	v_and_b32_e32 v6, 31, v6
	v_mov_b32_e32 v17, 0x5c
	v_mov_b32_e32 v18, 0x60
	v_lshlrev_b64_e32 v[26:27], 2, v[24:25]
	v_mov_b32_e32 v19, 0x64
	v_add_nc_u64_e32 v[4:5], v[4:5], v[6:7]
	v_mov_b32_e32 v20, 0x68
	v_mov_b32_e32 v21, 0x6c
	;; [unrolled: 1-line block ×6, first 2 shown]
	v_lshl_add_u64 v[6:7], v[4:5], 2, s[14:15]
	s_mul_u64 s[16:17], s[6:7], s[12:13]
	s_lshl_b64 s[18:19], s[6:7], 2
	s_lshl_b64 s[14:15], s[16:17], 2
	;; [unrolled: 1-line block ×3, first 2 shown]
	v_lshl_add_u64 v[8:9], v[8:9], 2, v[26:27]
	v_mov_b32_e32 v27, 0
	s_branch .LBB152_3
.LBB152_2:                              ;   in Loop: Header=BB152_3 Depth=1
	s_wait_xcnt 0x0
	s_or_b32 exec_lo, exec_lo, s22
	v_add_nc_u64_e32 v[28:29], s[8:9], v[8:9]
	v_add_nc_u64_e32 v[30:31], s[10:11], v[8:9]
	s_add_nc_u64 s[2:3], s[2:3], s[12:13]
	v_add_nc_u64_e32 v[8:9], s[14:15], v[8:9]
	v_cmp_lt_i64_e64 s22, s[2:3], s[4:5]
	v_add_nc_u64_e32 v[6:7], s[16:17], v[6:7]
	v_add_nc_u64_e32 v[4:5], s[12:13], v[4:5]
	;; [unrolled: 1-line block ×4, first 2 shown]
	global_load_b32 v62, v[28:29], off
	global_load_b32 v63, v[30:31], off
	;; [unrolled: 1-line block ×4, first 2 shown]
	v_add_nc_u64_e32 v[36:37], s[18:19], v[32:33]
	v_add_nc_u64_e32 v[38:39], s[18:19], v[34:35]
	s_and_b32 vcc_lo, exec_lo, s22
	global_load_b32 v66, v[36:37], off
	global_load_b32 v67, v[38:39], off
	v_add_nc_u64_e32 v[40:41], s[18:19], v[36:37]
	v_add_nc_u64_e32 v[42:43], s[18:19], v[38:39]
	global_load_b32 v68, v[40:41], off
	global_load_b32 v69, v[42:43], off
	v_add_nc_u64_e32 v[44:45], s[18:19], v[40:41]
	v_add_nc_u64_e32 v[46:47], s[18:19], v[42:43]
	s_delay_alu instid0(VALU_DEP_2) | instskip(NEXT) | instid1(VALU_DEP_2)
	v_add_nc_u64_e32 v[48:49], s[18:19], v[44:45]
	v_add_nc_u64_e32 v[50:51], s[18:19], v[46:47]
	global_load_b32 v70, v[44:45], off
	global_load_b32 v71, v[46:47], off
	;; [unrolled: 1-line block ×3, first 2 shown]
	v_add_nc_u64_e32 v[52:53], s[18:19], v[48:49]
	v_add_nc_u64_e32 v[54:55], s[18:19], v[50:51]
	global_load_b32 v73, v[50:51], off
	global_load_b32 v74, v[52:53], off
	;; [unrolled: 1-line block ×3, first 2 shown]
	v_add_nc_u64_e32 v[56:57], s[18:19], v[52:53]
	v_add_nc_u64_e32 v[58:59], s[18:19], v[54:55]
	global_load_b32 v76, v[56:57], off
	global_load_b32 v77, v[58:59], off
	v_add_nc_u64_e32 v[60:61], s[18:19], v[56:57]
	s_wait_xcnt 0xf
	v_add_nc_u64_e32 v[28:29], s[18:19], v[58:59]
	global_load_b32 v58, v[60:61], off
	global_load_b32 v59, v[28:29], off
	v_add_nc_u64_e32 v[30:31], s[18:19], v[60:61]
	v_add_nc_u64_e32 v[32:33], s[18:19], v[28:29]
	global_load_b32 v60, v[30:31], off
	global_load_b32 v61, v[32:33], off
	v_add_nc_u64_e32 v[34:35], s[18:19], v[30:31]
	;; [unrolled: 4-line block ×3, first 2 shown]
	v_add_nc_u64_e32 v[40:41], s[18:19], v[36:37]
	s_delay_alu instid0(VALU_DEP_2) | instskip(NEXT) | instid1(VALU_DEP_2)
	v_add_nc_u64_e32 v[42:43], s[18:19], v[38:39]
	v_add_nc_u64_e32 v[44:45], s[18:19], v[40:41]
	global_load_b32 v80, v[38:39], off
	global_load_b32 v81, v[40:41], off
	;; [unrolled: 1-line block ×3, first 2 shown]
	v_add_nc_u64_e32 v[46:47], s[18:19], v[42:43]
	v_add_nc_u64_e32 v[48:49], s[18:19], v[44:45]
	global_load_b32 v83, v[44:45], off
	global_load_b32 v84, v[46:47], off
	;; [unrolled: 1-line block ×3, first 2 shown]
	v_add_nc_u64_e32 v[50:51], s[18:19], v[46:47]
	v_add_nc_u64_e32 v[52:53], s[18:19], v[48:49]
	global_load_b32 v86, v[50:51], off
	global_load_b32 v87, v[52:53], off
	v_add_nc_u64_e32 v[54:55], s[18:19], v[50:51]
	s_wait_xcnt 0xc
	v_add_nc_u64_e32 v[28:29], s[18:19], v[52:53]
	global_load_b32 v88, v[54:55], off
	global_load_b32 v89, v[28:29], off
	v_add_nc_u64_e32 v[56:57], s[18:19], v[54:55]
	s_wait_xcnt 0xd
	v_add_nc_u64_e32 v[30:31], s[18:19], v[28:29]
	global_load_b32 v90, v[56:57], off
	global_load_b32 v91, v[30:31], off
	s_wait_xcnt 0xe
	v_add_nc_u64_e32 v[32:33], s[18:19], v[56:57]
	s_wait_xcnt 0xd
	v_add_nc_u64_e32 v[34:35], s[18:19], v[30:31]
	s_wait_xcnt 0xc
	s_delay_alu instid0(VALU_DEP_2) | instskip(SKIP_1) | instid1(VALU_DEP_2)
	v_add_nc_u64_e32 v[36:37], s[18:19], v[32:33]
	s_wait_xcnt 0xb
	v_add_nc_u64_e32 v[38:39], s[18:19], v[34:35]
	global_load_b32 v92, v[32:33], off
	global_load_b32 v93, v[34:35], off
	;; [unrolled: 1-line block ×3, first 2 shown]
	s_wait_xcnt 0xd
	v_add_nc_u64_e32 v[40:41], s[18:19], v[36:37]
	s_wait_xcnt 0xc
	v_add_nc_u64_e32 v[42:43], s[18:19], v[38:39]
	s_wait_xcnt 0xb
	s_delay_alu instid0(VALU_DEP_2) | instskip(SKIP_1) | instid1(VALU_DEP_2)
	v_add_nc_u64_e32 v[44:45], s[18:19], v[40:41]
	s_wait_xcnt 0xa
	v_add_nc_u64_e32 v[46:47], s[18:19], v[42:43]
	global_load_b32 v95, v[38:39], off
	global_load_b32 v96, v[40:41], off
	;; [unrolled: 1-line block ×5, first 2 shown]
	v_add_nc_u64_e32 v[48:49], s[18:19], v[44:45]
	v_add_nc_u64_e32 v[28:29], s[18:19], v[46:47]
	global_load_b32 v37, v[48:49], off
	global_load_b32 v55, v[28:29], off
	v_add_nc_u64_e32 v[50:51], s[18:19], v[48:49]
	v_add_nc_u64_e32 v[30:31], s[18:19], v[28:29]
	s_delay_alu instid0(VALU_DEP_2) | instskip(NEXT) | instid1(VALU_DEP_2)
	v_add_nc_u64_e32 v[52:53], s[18:19], v[50:51]
	v_add_nc_u64_e32 v[32:33], s[18:19], v[30:31]
	global_load_b32 v44, v[50:51], off
	global_load_b32 v46, v[30:31], off
	;; [unrolled: 1-line block ×4, first 2 shown]
	v_add_nc_u64_e32 v[34:35], s[18:19], v[52:53]
	v_add_nc_u64_e32 v[38:39], s[18:19], v[32:33]
	s_delay_alu instid0(VALU_DEP_2) | instskip(SKIP_1) | instid1(VALU_DEP_2)
	v_add_nc_u64_e32 v[40:41], s[18:19], v[34:35]
	s_wait_xcnt 0x4
	v_add_nc_u64_e32 v[28:29], s[18:19], v[38:39]
	global_load_b32 v34, v[34:35], off
	global_load_b32 v52, v[38:39], off
	global_load_b32 v35, v[40:41], off
	global_load_b32 v53, v[28:29], off
	v_add_nc_u64_e32 v[42:43], s[18:19], v[40:41]
	v_add_nc_u64_e32 v[30:31], s[18:19], v[28:29]
	s_delay_alu instid0(VALU_DEP_2) | instskip(NEXT) | instid1(VALU_DEP_2)
	v_add_nc_u64_e32 v[32:33], s[18:19], v[42:43]
	v_add_nc_u64_e32 v[48:49], s[18:19], v[30:31]
	global_load_b32 v40, v[42:43], off
	global_load_b32 v56, v[30:31], off
                                        ; kill: killed $vgpr30_vgpr31
                                        ; kill: killed $vgpr42_vgpr43
	global_load_b32 v41, v[32:33], off
	global_load_b32 v57, v[48:49], off
	v_add_nc_u64_e32 v[50:51], s[18:19], v[32:33]
	s_wait_xcnt 0x4
	v_add_nc_u64_e32 v[28:29], s[18:19], v[48:49]
	s_delay_alu instid0(VALU_DEP_2) | instskip(SKIP_1) | instid1(VALU_DEP_2)
	v_add_nc_u64_e32 v[38:39], s[18:19], v[50:51]
	s_wait_xcnt 0x2
	v_add_nc_u64_e32 v[30:31], s[18:19], v[28:29]
	global_load_b32 v42, v[50:51], off
	global_load_b32 v48, v[28:29], off
                                        ; kill: killed $vgpr50_vgpr51
                                        ; kill: killed $vgpr28_vgpr29
	global_load_b32 v43, v[38:39], off
	global_load_b32 v49, v[30:31], off
	s_wait_loadcnt 0x3c
	s_wait_xcnt 0x3
	ds_bpermute_b32 v51, v11, v26
	v_mov_b32_e32 v50, 12
	v_add_nc_u64_e32 v[32:33], s[18:19], v[38:39]
	s_wait_xcnt 0x0
	v_add_nc_u64_e32 v[30:31], s[18:19], v[30:31]
	ds_bpermute_b32 v50, v50, v26
	v_add_nc_u64_e32 v[28:29], s[18:19], v[32:33]
	global_load_b32 v38, v[32:33], off
	global_load_b32 v39, v[28:29], off
	s_wait_xcnt 0x0
	v_add_nc_u64_e32 v[28:29], s[18:19], v[30:31]
	global_load_b32 v32, v[30:31], off
	global_load_b32 v33, v[28:29], off
	s_wait_xcnt 0x0
	ds_bpermute_b32 v28, v1, v26
	v_dual_mov_b32 v29, 4 :: v_dual_mov_b32 v30, 8
	ds_bpermute_b32 v29, v29, v26
	ds_bpermute_b32 v30, v30, v26
	s_wait_loadcnt 0x3e
	v_mul_f32_e32 v31, v62, v63
	s_wait_loadcnt_dscnt 0x3c02
	s_delay_alu instid0(VALU_DEP_1) | instskip(SKIP_1) | instid1(VALU_DEP_1)
	v_dual_fmac_f32 v27, v31, v28 :: v_dual_mul_f32 v28, v64, v65
	s_wait_dscnt 0x1
	v_dual_mov_b32 v31, 16 :: v_dual_fmac_f32 v27, v28, v29
	ds_bpermute_b32 v31, v31, v26
	s_wait_loadcnt 0x3a
	v_dual_mul_f32 v28, v66, v67 :: v_dual_mov_b32 v29, 20
	s_wait_dscnt 0x1
	s_delay_alu instid0(VALU_DEP_1)
	v_dual_fmac_f32 v27, v28, v30 :: v_dual_mov_b32 v30, 24
	ds_bpermute_b32 v29, v29, v26
	s_wait_loadcnt 0x38
	v_mul_f32_e32 v28, v68, v69
	ds_bpermute_b32 v30, v30, v26
	v_dual_fmac_f32 v27, v28, v50 :: v_dual_mov_b32 v50, 28
	ds_bpermute_b32 v50, v50, v26
	s_wait_loadcnt 0x36
	v_mul_f32_e32 v28, v70, v71
	s_wait_dscnt 0x3
	s_delay_alu instid0(VALU_DEP_1)
	v_dual_fmac_f32 v27, v28, v31 :: v_dual_mov_b32 v31, 32
	s_wait_loadcnt 0x34
	v_mul_f32_e32 v28, v72, v73
	ds_bpermute_b32 v31, v31, v26
	s_wait_loadcnt_dscnt 0x3203
	v_dual_fmac_f32 v27, v28, v29 :: v_dual_mul_f32 v28, v74, v75
	s_wait_dscnt 0x2
	s_delay_alu instid0(VALU_DEP_1)
	v_dual_mov_b32 v29, 36 :: v_dual_fmac_f32 v27, v28, v30
	v_mov_b32_e32 v30, 40
	ds_bpermute_b32 v29, v29, v26
	s_wait_loadcnt 0x30
	v_mul_f32_e32 v28, v76, v77
	ds_bpermute_b32 v30, v30, v26
	s_wait_loadcnt_dscnt 0x2e03
	v_dual_fmac_f32 v27, v28, v50 :: v_dual_mul_f32 v28, v58, v59
	v_mov_b32_e32 v50, 44
	ds_bpermute_b32 v58, v12, v26
	s_wait_dscnt 0x3
	v_dual_fmac_f32 v27, v28, v31 :: v_dual_mov_b32 v31, 48
	ds_bpermute_b32 v50, v50, v26
	s_wait_loadcnt 0x2c
	v_mul_f32_e32 v28, v60, v61
	ds_bpermute_b32 v31, v31, v26
	s_wait_loadcnt_dscnt 0x2a04
	v_dual_fmac_f32 v27, v28, v29 :: v_dual_mul_f32 v28, v78, v79
	s_wait_dscnt 0x3
	s_delay_alu instid0(VALU_DEP_1)
	v_dual_mov_b32 v29, 52 :: v_dual_fmac_f32 v27, v28, v30
	v_mov_b32_e32 v30, 56
	ds_bpermute_b32 v29, v29, v26
	ds_bpermute_b32 v30, v30, v26
	s_wait_loadcnt 0x28
	v_mul_f32_e32 v28, v80, v81
	s_wait_dscnt 0x3
	s_delay_alu instid0(VALU_DEP_1) | instskip(SKIP_4) | instid1(VALU_DEP_1)
	v_fmac_f32_e32 v27, v28, v50
	ds_bpermute_b32 v50, v0, v26
	s_wait_loadcnt 0x26
	v_mul_f32_e32 v28, v82, v83
	s_wait_dscnt 0x3
	v_fmac_f32_e32 v27, v28, v31
	ds_bpermute_b32 v31, v3, v26
	s_wait_loadcnt 0x24
	v_mul_f32_e32 v28, v84, v85
	s_wait_loadcnt_dscnt 0x2203
	s_delay_alu instid0(VALU_DEP_1)
	v_dual_fmac_f32 v27, v28, v29 :: v_dual_mul_f32 v28, v86, v87
	ds_bpermute_b32 v29, v15, v26
	s_wait_dscnt 0x3
	v_fmac_f32_e32 v27, v28, v30
	s_wait_loadcnt 0x20
	v_mul_f32_e32 v28, v88, v89
	s_wait_dscnt 0x2
	s_delay_alu instid0(VALU_DEP_1)
	v_fmac_f32_e32 v27, v28, v50
	ds_bpermute_b32 v28, v14, v26
	s_wait_loadcnt 0x1e
	v_mul_f32_e32 v30, v90, v91
	ds_bpermute_b32 v50, v13, v26
	s_wait_dscnt 0x3
	v_fmac_f32_e32 v27, v30, v31
	ds_bpermute_b32 v31, v17, v26
	s_wait_loadcnt 0x1c
	v_mul_f32_e32 v30, v92, v93
	s_delay_alu instid0(VALU_DEP_1) | instskip(SKIP_3) | instid1(VALU_DEP_1)
	v_fmac_f32_e32 v27, v30, v51
	ds_bpermute_b32 v30, v16, v26
	s_wait_loadcnt 0x1a
	v_mul_f32_e32 v51, v94, v95
	v_fmac_f32_e32 v27, v51, v58
	s_wait_loadcnt 0x14
	v_pk_mul_f32 v[36:37], v[36:37], v[54:55]
	s_wait_dscnt 0x3
	s_delay_alu instid0(VALU_DEP_1)
	v_pk_mul_f32 v[28:29], v[36:37], v[28:29]
	v_mul_f32_e32 v51, v96, v97
	ds_bpermute_b32 v36, v18, v26
	ds_bpermute_b32 v37, v19, v26
	s_wait_dscnt 0x4
	v_fmac_f32_e32 v27, v51, v50
	s_wait_loadcnt 0x10
	v_pk_mul_f32 v[44:45], v[44:45], v[46:47]
	s_delay_alu instid0(VALU_DEP_2) | instskip(NEXT) | instid1(VALU_DEP_1)
	v_add_f32_e32 v27, v27, v28
	v_add_f32_e32 v27, v27, v29
	s_wait_dscnt 0x2
	s_delay_alu instid0(VALU_DEP_3)
	v_pk_mul_f32 v[28:29], v[44:45], v[30:31]
	ds_bpermute_b32 v30, v20, v26
	ds_bpermute_b32 v31, v21, v26
	v_add_f32_e32 v27, v27, v28
	s_wait_loadcnt 0xc
	v_pk_mul_f32 v[34:35], v[34:35], v[52:53]
	s_delay_alu instid0(VALU_DEP_2) | instskip(SKIP_1) | instid1(VALU_DEP_2)
	v_add_f32_e32 v27, v27, v29
	s_wait_dscnt 0x2
	v_pk_mul_f32 v[28:29], v[34:35], v[36:37]
	ds_bpermute_b32 v34, v22, v26
	ds_bpermute_b32 v35, v23, v26
	v_add_f32_e32 v27, v27, v28
	s_wait_loadcnt 0x8
	v_pk_mul_f32 v[36:37], v[40:41], v[56:57]
	s_delay_alu instid0(VALU_DEP_2) | instskip(SKIP_1) | instid1(VALU_DEP_2)
	v_add_f32_e32 v27, v27, v29
	s_wait_dscnt 0x2
	;; [unrolled: 9-line block ×3, first 2 shown]
	v_pk_mul_f32 v[26:27], v[26:27], v[34:35]
	s_delay_alu instid0(VALU_DEP_1) | instskip(SKIP_2) | instid1(VALU_DEP_2)
	v_add_f32_e32 v26, v28, v26
	s_wait_loadcnt 0x0
	v_pk_mul_f32 v[28:29], v[38:39], v[32:33]
	v_add_f32_e32 v32, v26, v27
	s_wait_dscnt 0x0
	s_delay_alu instid0(VALU_DEP_2) | instskip(NEXT) | instid1(VALU_DEP_1)
	v_pk_mul_f32 v[26:27], v[28:29], v[30:31]
	v_add_f32_e32 v26, v32, v26
	s_delay_alu instid0(VALU_DEP_1)
	v_add_f32_e32 v27, v26, v27
	s_cbranch_vccz .LBB152_5
.LBB152_3:                              ; =>This Inner Loop Header: Depth=1
	v_mov_b32_e32 v26, 0
	s_mov_b32 s22, exec_lo
	v_cmpx_gt_i64_e64 s[4:5], v[4:5]
	s_cbranch_execz .LBB152_2
; %bb.4:                                ;   in Loop: Header=BB152_3 Depth=1
	global_load_b32 v26, v[6:7], off
	s_branch .LBB152_2
.LBB152_5:
	s_load_b64 s[2:3], s[0:1], 0x30
	s_wait_kmcnt 0x0
	s_cmp_eq_u64 s[2:3], 0
	s_cbranch_scc1 .LBB152_7
; %bb.6:
	s_load_u16 s0, s[0:1], 0x4e
	v_mov_b32_e32 v3, 0
	s_and_b32 s4, ttmp6, 15
	s_wait_xcnt 0x0
	s_mov_b32 s1, 0
	s_wait_kmcnt 0x0
	v_mad_nc_u64_u32 v[0:1], s0, s21, v[2:3]
	s_bfe_u32 s0, ttmp6, 0x4000c
	v_lshlrev_b32_e32 v2, 2, v10
	s_add_co_i32 s0, s0, 1
	s_delay_alu instid0(SALU_CYCLE_1) | instskip(NEXT) | instid1(SALU_CYCLE_1)
	s_mul_i32 s0, ttmp9, s0
	s_add_co_i32 s4, s4, s0
	s_cmp_eq_u32 s20, 0
	s_cselect_b32 s0, ttmp9, s4
	s_delay_alu instid0(VALU_DEP_2) | instskip(SKIP_1) | instid1(VALU_DEP_1)
	v_mul_u64_e32 v[0:1], s[6:7], v[0:1]
	s_lshl_b64 s[0:1], s[0:1], 7
	v_lshl_add_u64 v[0:1], v[0:1], 2, s[2:3]
	s_delay_alu instid0(VALU_DEP_1) | instskip(NEXT) | instid1(VALU_DEP_1)
	v_add_nc_u64_e32 v[0:1], s[0:1], v[0:1]
	v_add_nc_u64_e32 v[0:1], v[0:1], v[2:3]
	global_store_b32 v[0:1], v27, off
.LBB152_7:
	s_sendmsg sendmsg(MSG_DEALLOC_VGPRS)
	s_endpgm
	.section	.rodata,"a",@progbits
	.p2align	6, 0x0
	.amdhsa_kernel _ZN2at6native12_GLOBAL__N_135GammaBetaBackwardCUDAKernelTemplateIffLj32ELj1ELj32ELb1ELb1ELb1EEEvllPKT_S5_PKT0_S8_PS3_S9_
		.amdhsa_group_segment_fixed_size 0
		.amdhsa_private_segment_fixed_size 0
		.amdhsa_kernarg_size 320
		.amdhsa_user_sgpr_count 2
		.amdhsa_user_sgpr_dispatch_ptr 0
		.amdhsa_user_sgpr_queue_ptr 0
		.amdhsa_user_sgpr_kernarg_segment_ptr 1
		.amdhsa_user_sgpr_dispatch_id 0
		.amdhsa_user_sgpr_kernarg_preload_length 0
		.amdhsa_user_sgpr_kernarg_preload_offset 0
		.amdhsa_user_sgpr_private_segment_size 0
		.amdhsa_wavefront_size32 1
		.amdhsa_uses_dynamic_stack 0
		.amdhsa_enable_private_segment 0
		.amdhsa_system_sgpr_workgroup_id_x 1
		.amdhsa_system_sgpr_workgroup_id_y 1
		.amdhsa_system_sgpr_workgroup_id_z 0
		.amdhsa_system_sgpr_workgroup_info 0
		.amdhsa_system_vgpr_workitem_id 1
		.amdhsa_next_free_vgpr 98
		.amdhsa_next_free_sgpr 23
		.amdhsa_named_barrier_count 0
		.amdhsa_reserve_vcc 1
		.amdhsa_float_round_mode_32 0
		.amdhsa_float_round_mode_16_64 0
		.amdhsa_float_denorm_mode_32 3
		.amdhsa_float_denorm_mode_16_64 3
		.amdhsa_fp16_overflow 0
		.amdhsa_memory_ordered 1
		.amdhsa_forward_progress 1
		.amdhsa_inst_pref_size 21
		.amdhsa_round_robin_scheduling 0
		.amdhsa_exception_fp_ieee_invalid_op 0
		.amdhsa_exception_fp_denorm_src 0
		.amdhsa_exception_fp_ieee_div_zero 0
		.amdhsa_exception_fp_ieee_overflow 0
		.amdhsa_exception_fp_ieee_underflow 0
		.amdhsa_exception_fp_ieee_inexact 0
		.amdhsa_exception_int_div_zero 0
	.end_amdhsa_kernel
	.section	.text._ZN2at6native12_GLOBAL__N_135GammaBetaBackwardCUDAKernelTemplateIffLj32ELj1ELj32ELb1ELb1ELb1EEEvllPKT_S5_PKT0_S8_PS3_S9_,"axG",@progbits,_ZN2at6native12_GLOBAL__N_135GammaBetaBackwardCUDAKernelTemplateIffLj32ELj1ELj32ELb1ELb1ELb1EEEvllPKT_S5_PKT0_S8_PS3_S9_,comdat
.Lfunc_end152:
	.size	_ZN2at6native12_GLOBAL__N_135GammaBetaBackwardCUDAKernelTemplateIffLj32ELj1ELj32ELb1ELb1ELb1EEEvllPKT_S5_PKT0_S8_PS3_S9_, .Lfunc_end152-_ZN2at6native12_GLOBAL__N_135GammaBetaBackwardCUDAKernelTemplateIffLj32ELj1ELj32ELb1ELb1ELb1EEEvllPKT_S5_PKT0_S8_PS3_S9_
                                        ; -- End function
	.set _ZN2at6native12_GLOBAL__N_135GammaBetaBackwardCUDAKernelTemplateIffLj32ELj1ELj32ELb1ELb1ELb1EEEvllPKT_S5_PKT0_S8_PS3_S9_.num_vgpr, 98
	.set _ZN2at6native12_GLOBAL__N_135GammaBetaBackwardCUDAKernelTemplateIffLj32ELj1ELj32ELb1ELb1ELb1EEEvllPKT_S5_PKT0_S8_PS3_S9_.num_agpr, 0
	.set _ZN2at6native12_GLOBAL__N_135GammaBetaBackwardCUDAKernelTemplateIffLj32ELj1ELj32ELb1ELb1ELb1EEEvllPKT_S5_PKT0_S8_PS3_S9_.numbered_sgpr, 23
	.set _ZN2at6native12_GLOBAL__N_135GammaBetaBackwardCUDAKernelTemplateIffLj32ELj1ELj32ELb1ELb1ELb1EEEvllPKT_S5_PKT0_S8_PS3_S9_.num_named_barrier, 0
	.set _ZN2at6native12_GLOBAL__N_135GammaBetaBackwardCUDAKernelTemplateIffLj32ELj1ELj32ELb1ELb1ELb1EEEvllPKT_S5_PKT0_S8_PS3_S9_.private_seg_size, 0
	.set _ZN2at6native12_GLOBAL__N_135GammaBetaBackwardCUDAKernelTemplateIffLj32ELj1ELj32ELb1ELb1ELb1EEEvllPKT_S5_PKT0_S8_PS3_S9_.uses_vcc, 1
	.set _ZN2at6native12_GLOBAL__N_135GammaBetaBackwardCUDAKernelTemplateIffLj32ELj1ELj32ELb1ELb1ELb1EEEvllPKT_S5_PKT0_S8_PS3_S9_.uses_flat_scratch, 0
	.set _ZN2at6native12_GLOBAL__N_135GammaBetaBackwardCUDAKernelTemplateIffLj32ELj1ELj32ELb1ELb1ELb1EEEvllPKT_S5_PKT0_S8_PS3_S9_.has_dyn_sized_stack, 0
	.set _ZN2at6native12_GLOBAL__N_135GammaBetaBackwardCUDAKernelTemplateIffLj32ELj1ELj32ELb1ELb1ELb1EEEvllPKT_S5_PKT0_S8_PS3_S9_.has_recursion, 0
	.set _ZN2at6native12_GLOBAL__N_135GammaBetaBackwardCUDAKernelTemplateIffLj32ELj1ELj32ELb1ELb1ELb1EEEvllPKT_S5_PKT0_S8_PS3_S9_.has_indirect_call, 0
	.section	.AMDGPU.csdata,"",@progbits
; Kernel info:
; codeLenInByte = 2644
; TotalNumSgprs: 25
; NumVgprs: 98
; ScratchSize: 0
; MemoryBound: 0
; FloatMode: 240
; IeeeMode: 1
; LDSByteSize: 0 bytes/workgroup (compile time only)
; SGPRBlocks: 0
; VGPRBlocks: 6
; NumSGPRsForWavesPerEU: 25
; NumVGPRsForWavesPerEU: 98
; NamedBarCnt: 0
; Occupancy: 9
; WaveLimiterHint : 0
; COMPUTE_PGM_RSRC2:SCRATCH_EN: 0
; COMPUTE_PGM_RSRC2:USER_SGPR: 2
; COMPUTE_PGM_RSRC2:TRAP_HANDLER: 0
; COMPUTE_PGM_RSRC2:TGID_X_EN: 1
; COMPUTE_PGM_RSRC2:TGID_Y_EN: 1
; COMPUTE_PGM_RSRC2:TGID_Z_EN: 0
; COMPUTE_PGM_RSRC2:TIDIG_COMP_CNT: 1
	.section	.text._ZN2at6native12_GLOBAL__N_135GammaBetaBackwardCUDAKernelTemplateIffLj32ELj1ELj32ELb1ELb0ELb1EEEvllPKT_S5_PKT0_S8_PS3_S9_,"axG",@progbits,_ZN2at6native12_GLOBAL__N_135GammaBetaBackwardCUDAKernelTemplateIffLj32ELj1ELj32ELb1ELb0ELb1EEEvllPKT_S5_PKT0_S8_PS3_S9_,comdat
	.globl	_ZN2at6native12_GLOBAL__N_135GammaBetaBackwardCUDAKernelTemplateIffLj32ELj1ELj32ELb1ELb0ELb1EEEvllPKT_S5_PKT0_S8_PS3_S9_ ; -- Begin function _ZN2at6native12_GLOBAL__N_135GammaBetaBackwardCUDAKernelTemplateIffLj32ELj1ELj32ELb1ELb0ELb1EEEvllPKT_S5_PKT0_S8_PS3_S9_
	.p2align	8
	.type	_ZN2at6native12_GLOBAL__N_135GammaBetaBackwardCUDAKernelTemplateIffLj32ELj1ELj32ELb1ELb0ELb1EEEvllPKT_S5_PKT0_S8_PS3_S9_,@function
_ZN2at6native12_GLOBAL__N_135GammaBetaBackwardCUDAKernelTemplateIffLj32ELj1ELj32ELb1ELb0ELb1EEEvllPKT_S5_PKT0_S8_PS3_S9_: ; @_ZN2at6native12_GLOBAL__N_135GammaBetaBackwardCUDAKernelTemplateIffLj32ELj1ELj32ELb1ELb0ELb1EEEvllPKT_S5_PKT0_S8_PS3_S9_
; %bb.0:
	s_load_b256 s[4:11], s[0:1], 0x0
	s_bfe_u32 s3, ttmp6, 0x4000c
	s_bfe_u32 s12, ttmp6, 0x40010
	s_add_co_i32 s3, s3, 1
	s_add_co_i32 s12, s12, 1
	s_and_b32 s2, ttmp6, 15
	s_bfe_u32 s13, ttmp6, 0x40004
	s_mul_i32 s3, ttmp9, s3
	s_mul_i32 s12, ttmp7, s12
	s_getreg_b32 s14, hwreg(HW_REG_IB_STS2, 6, 4)
	s_add_co_i32 s2, s2, s3
	s_add_co_i32 s13, s13, s12
	s_cmp_eq_u32 s14, 0
	s_mov_b32 s17, 0
	s_cselect_b32 s12, ttmp9, s2
	s_cselect_b32 s30, ttmp7, s13
	s_lshl_b32 s13, s12, 5
	s_load_b64 s[14:15], s[0:1], 0x28
	s_or_b32 s16, s13, 31
	s_wait_kmcnt 0x0
	v_cmp_le_i64_e64 s2, s[6:7], s[16:17]
	s_lshl_b32 s16, s30, 5
	s_delay_alu instid0(SALU_CYCLE_1) | instskip(SKIP_2) | instid1(VALU_DEP_1)
	v_cmp_gt_i64_e64 s31, s[4:5], s[16:17]
	s_and_b32 vcc_lo, exec_lo, s2
	v_cndmask_b32_e64 v1, 0, 1, s31
	v_cmp_ne_u32_e64 s2, 1, v1
	s_cbranch_vccz .LBB153_141
; %bb.1:
	s_set_vgpr_msb 64                       ;  msbs: dst=1 src0=0 src1=0 src2=0
	v_mov_b32_e32 v38 /*v294*/, 0
	s_and_b32 vcc_lo, exec_lo, s2
	s_set_vgpr_msb 0                        ;  msbs: dst=0 src0=0 src1=0 src2=0
	s_cbranch_vccnz .LBB153_142
; %bb.2:
	v_bfe_u32 v1, v0, 10, 10
	v_mov_b32_e32 v2, 0
	v_and_b32_e32 v182, 0x3ff, v0
	s_load_b32 s3, s[0:1], 0x44
	s_mov_b32 s19, 0
	s_delay_alu instid0(VALU_DEP_2) | instskip(NEXT) | instid1(VALU_DEP_2)
	v_dual_mov_b32 v37, v2 :: v_dual_lshlrev_b32 v36, 5, v1
	v_dual_mov_b32 v9, v2 :: v_dual_add_nc_u32 v8, s13, v182
	v_mov_b32_e32 v183, 0
	s_mov_b32 s23, s19
	s_delay_alu instid0(VALU_DEP_3)
	v_add_nc_u64_e32 v[4:5], s[16:17], v[36:37]
	s_add_nc_u64 s[20:21], s[0:1], 64
	v_cmp_gt_i64_e64 s2, s[6:7], v[8:9]
	v_lshlrev_b64_e32 v[38:39], 2, v[8:9]
	s_mov_b64 s[26:27], 31
	s_mov_b64 s[28:29], s[16:17]
	v_add_nc_u64_e32 v[10:11], 31, v[4:5]
	v_add_nc_u64_e32 v[14:15], 29, v[4:5]
	;; [unrolled: 1-line block ×7, first 2 shown]
	v_mul_u64_e32 v[10:11], s[6:7], v[10:11]
	v_mul_u64_e32 v[14:15], s[6:7], v[14:15]
	;; [unrolled: 1-line block ×6, first 2 shown]
	v_add_nc_u64_e32 v[18:19], 27, v[4:5]
	v_add_nc_u64_e32 v[22:23], 25, v[4:5]
	;; [unrolled: 1-line block ×3, first 2 shown]
	v_mul_u64_e32 v[24:25], s[6:7], v[24:25]
	v_add_nc_u64_e32 v[30:31], 20, v[4:5]
	v_add_nc_u64_e32 v[32:33], 19, v[4:5]
	;; [unrolled: 1-line block ×3, first 2 shown]
	v_mul_u64_e32 v[18:19], s[6:7], v[18:19]
	v_mul_u64_e32 v[22:23], s[6:7], v[22:23]
	;; [unrolled: 1-line block ×3, first 2 shown]
	v_add_nc_u64_e32 v[20:21], 26, v[4:5]
	v_mul_u64_e32 v[30:31], s[6:7], v[30:31]
	v_mul_u64_e32 v[32:33], s[6:7], v[32:33]
	;; [unrolled: 1-line block ×4, first 2 shown]
	s_wait_kmcnt 0x0
	s_lshl_b32 s22, s3, 5
	v_mul_u64_e32 v[20:21], s[6:7], v[20:21]
	s_mul_u64 s[24:25], s[6:7], s[22:23]
	s_delay_alu instid0(SALU_CYCLE_1)
	s_lshl_b64 s[24:25], s[24:25], 2
	v_lshlrev_b64_e32 v[10:11], 2, v[10:11]
	v_lshlrev_b64_e32 v[14:15], 2, v[14:15]
	;; [unrolled: 1-line block ×5, first 2 shown]
	v_add_nc_u64_e32 v[44:45], s[8:9], v[10:11]
	v_add_nc_u64_e32 v[46:47], s[10:11], v[10:11]
	v_add_nc_u64_e32 v[10:11], 17, v[4:5]
	v_add_nc_u64_e32 v[52:53], s[8:9], v[14:15]
	v_add_nc_u64_e32 v[54:55], s[10:11], v[14:15]
	v_add_nc_u64_e32 v[56:57], s[8:9], v[16:17]
	v_add_nc_u64_e32 v[58:59], s[10:11], v[16:17]
	v_add_nc_u64_e32 v[14:15], 16, v[4:5]
	v_lshlrev_b64_e32 v[16:17], 2, v[26:27]
	v_mul_u64_e32 v[10:11], s[6:7], v[10:11]
	v_add_nc_u64_e32 v[76:77], s[8:9], v[8:9]
	v_add_nc_u64_e32 v[78:79], s[10:11], v[8:9]
	;; [unrolled: 1-line block ×4, first 2 shown]
	v_mul_u64_e32 v[8:9], s[6:7], v[14:15]
	v_add_nc_u64_e32 v[80:81], s[8:9], v[16:17]
	v_add_nc_u64_e32 v[82:83], s[10:11], v[16:17]
	v_add_nc_u64_e32 v[16:17], 14, v[4:5]
	v_lshlrev_b64_e32 v[12:13], 2, v[24:25]
	v_lshlrev_b64_e32 v[18:19], 2, v[18:19]
	;; [unrolled: 1-line block ×3, first 2 shown]
	v_add_nc_u64_e32 v[14:15], 15, v[4:5]
	v_add_nc_u64_e32 v[24:25], 11, v[4:5]
	;; [unrolled: 1-line block ×3, first 2 shown]
	v_mul_u64_e32 v[16:17], s[6:7], v[16:17]
	v_add_nc_u64_e32 v[72:73], s[8:9], v[12:13]
	v_add_nc_u64_e32 v[74:75], s[10:11], v[12:13]
	v_lshlrev_b64_e32 v[12:13], 2, v[28:29]
	v_add_nc_u64_e32 v[60:61], s[8:9], v[18:19]
	v_add_nc_u64_e32 v[62:63], s[10:11], v[18:19]
	;; [unrolled: 1-line block ×4, first 2 shown]
	v_lshlrev_b64_e32 v[18:19], 2, v[30:31]
	v_lshlrev_b64_e32 v[22:23], 2, v[34:35]
	v_add_nc_u64_e32 v[84:85], s[8:9], v[12:13]
	v_add_nc_u64_e32 v[86:87], s[10:11], v[12:13]
	v_lshlrev_b64_e32 v[12:13], 2, v[32:33]
	v_lshlrev_b64_e32 v[20:21], 2, v[20:21]
	v_mul_u64_e32 v[14:15], s[6:7], v[14:15]
	v_add_nc_u64_e32 v[88:89], s[8:9], v[18:19]
	v_add_nc_u64_e32 v[90:91], s[10:11], v[18:19]
	;; [unrolled: 1-line block ×7, first 2 shown]
	v_mul_u64_e32 v[24:25], s[6:7], v[24:25]
	v_lshlrev_b64_e32 v[10:11], 2, v[10:11]
	v_add_nc_u64_e32 v[28:29], 8, v[4:5]
	v_add_nc_u64_e32 v[98:99], s[10:11], v[22:23]
	v_mul_u64_e32 v[22:23], s[6:7], v[26:27]
	v_add_nc_u64_e32 v[26:27], 6, v[4:5]
	v_add_nc_u64_e32 v[64:65], s[8:9], v[20:21]
	;; [unrolled: 1-line block ×4, first 2 shown]
	v_mul_u64_e32 v[18:19], s[6:7], v[18:19]
	v_mul_u64_e32 v[12:13], s[6:7], v[12:13]
	v_add_nc_u64_e32 v[30:31], 7, v[4:5]
	v_lshlrev_b64_e32 v[8:9], 2, v[8:9]
	v_mul_u64_e32 v[28:29], s[6:7], v[28:29]
	v_add_nc_u64_e32 v[100:101], s[8:9], v[10:11]
	v_add_nc_u64_e32 v[32:33], 5, v[4:5]
	;; [unrolled: 1-line block ×3, first 2 shown]
	v_mul_u64_e32 v[10:11], s[6:7], v[26:27]
	v_add_nc_u64_e32 v[26:27], 4, v[4:5]
	v_add_nc_u64_e32 v[34:35], 3, v[4:5]
	;; [unrolled: 1-line block ×3, first 2 shown]
	v_mul_u64_e32 v[20:21], s[6:7], v[20:21]
	v_mul_u64_e32 v[30:31], s[6:7], v[30:31]
	v_add_nc_u64_e32 v[104:105], s[8:9], v[8:9]
	v_mul_u64_e32 v[32:33], s[6:7], v[32:33]
	v_add_nc_u64_e32 v[106:107], s[10:11], v[8:9]
	v_lshlrev_b64_e32 v[8:9], 2, v[16:17]
	v_mul_u64_e32 v[16:17], s[6:7], v[26:27]
	v_mul_u64_e32 v[26:27], s[6:7], v[34:35]
	;; [unrolled: 1-line block ×3, first 2 shown]
	v_lshlrev_b64_e32 v[14:15], 2, v[14:15]
	v_lshlrev_b64_e32 v[42:43], 2, v[6:7]
	v_add_nc_u64_e32 v[6:7], s[6:7], v[6:7]
	v_add_nc_u64_e32 v[112:113], s[8:9], v[8:9]
	;; [unrolled: 1-line block ×3, first 2 shown]
	v_lshlrev_b64_e32 v[8:9], 2, v[24:25]
	v_add_nc_u64_e32 v[108:109], s[8:9], v[14:15]
	v_add_nc_u64_e32 v[110:111], s[10:11], v[14:15]
	v_lshlrev_b64_e32 v[6:7], 2, v[6:7]
	v_add_nc_u64_e32 v[40:41], s[8:9], v[42:43]
	v_lshlrev_b64_e32 v[14:15], 2, v[18:19]
	v_lshlrev_b64_e32 v[12:13], 2, v[12:13]
	v_add_nc_u64_e32 v[124:125], s[8:9], v[8:9]
	v_add_nc_u64_e32 v[126:127], s[10:11], v[8:9]
	v_lshlrev_b64_e32 v[8:9], 2, v[28:29]
	v_add_nc_u64_e32 v[42:43], s[10:11], v[42:43]
	v_add_nc_u64_e32 v[164:165], s[8:9], v[6:7]
	;; [unrolled: 1-line block ×3, first 2 shown]
	v_lshlrev_b64_e32 v[10:11], 2, v[10:11]
	v_add_nc_u64_e32 v[122:123], s[10:11], v[14:15]
	v_lshlrev_b64_e32 v[14:15], 2, v[22:23]
	v_add_nc_u64_e32 v[128:129], s[8:9], v[12:13]
	v_lshlrev_b64_e32 v[20:21], 2, v[20:21]
	v_lshlrev_b64_e32 v[18:19], 2, v[30:31]
	v_add_nc_u64_e32 v[130:131], s[10:11], v[12:13]
	v_add_nc_u64_e32 v[136:137], s[8:9], v[8:9]
	;; [unrolled: 1-line block ×3, first 2 shown]
	v_lshlrev_b64_e32 v[8:9], 2, v[32:33]
	v_add_nc_u64_e32 v[144:145], s[8:9], v[10:11]
	v_lshlrev_b64_e32 v[12:13], 2, v[16:17]
	v_add_nc_u64_e32 v[146:147], s[10:11], v[10:11]
	v_lshlrev_b64_e32 v[10:11], 2, v[26:27]
	v_lshlrev_b64_e32 v[4:5], 2, v[4:5]
	v_add_nc_u64_e32 v[116:117], s[8:9], v[20:21]
	v_add_nc_u64_e32 v[118:119], s[10:11], v[20:21]
	v_add_nc_u64_e32 v[132:133], s[8:9], v[14:15]
	v_add_nc_u64_e32 v[134:135], s[10:11], v[14:15]
	v_add_nc_u64_e32 v[140:141], s[8:9], v[18:19]
	v_add_nc_u64_e32 v[142:143], s[10:11], v[18:19]
	v_add_nc_u64_e32 v[148:149], s[8:9], v[8:9]
	v_add_nc_u64_e32 v[150:151], s[10:11], v[8:9]
	v_add_nc_u64_e32 v[152:153], s[8:9], v[12:13]
	v_add_nc_u64_e32 v[154:155], s[10:11], v[12:13]
	v_add_nc_u64_e32 v[156:157], s[8:9], v[10:11]
	v_add_nc_u64_e32 v[158:159], s[10:11], v[10:11]
	v_add_nc_u64_e32 v[160:161], s[8:9], v[4:5]
	v_add_nc_u64_e32 v[162:163], s[10:11], v[4:5]
	v_add_nc_u64_e32 v[166:167], s[10:11], v[6:7]
.LBB153_3:                              ; =>This Inner Loop Header: Depth=1
	s_add_nc_u64 s[34:35], s[16:17], s[26:27]
	v_add_nc_u64_e32 v[168:169], s[16:17], v[36:37]
	v_cmp_ge_i64_e64 s3, s[34:35], s[4:5]
                                        ; implicit-def: $vgpr294
                                        ; implicit-def: $vgpr202
                                        ; implicit-def: $vgpr4_vgpr5_vgpr6_vgpr7_vgpr8_vgpr9_vgpr10_vgpr11_vgpr12_vgpr13_vgpr14_vgpr15_vgpr16_vgpr17_vgpr18_vgpr19_vgpr20_vgpr21_vgpr22_vgpr23_vgpr24_vgpr25_vgpr26_vgpr27_vgpr28_vgpr29_vgpr30_vgpr31_vgpr32_vgpr33_vgpr34_vgpr35
                                        ; implicit-def: $vgpr3
	s_and_b32 vcc_lo, exec_lo, s3
	s_mov_b32 s3, -1
	s_cbranch_vccz .LBB153_71
; %bb.4:                                ;   in Loop: Header=BB153_3 Depth=1
	s_load_b32 s3, s[20:21], 0xc
	v_dual_mov_b32 v185, 0 :: v_dual_mov_b32 v184, 0
	v_mov_b32_e32 v5, v2
	s_wait_kmcnt 0x0
	s_and_b32 s3, s3, 0xffff
	s_delay_alu instid0(SALU_CYCLE_1) | instskip(SKIP_1) | instid1(VALU_DEP_1)
	v_mad_u32_u24 v3, v1, s3, v182
	s_mov_b32 s3, exec_lo
	v_and_b32_e32 v4, 31, v3
	s_delay_alu instid0(VALU_DEP_1) | instskip(NEXT) | instid1(VALU_DEP_1)
	v_add_nc_u64_e32 v[4:5], v[168:169], v[4:5]
	v_cmpx_gt_i64_e64 s[4:5], v[4:5]
	s_cbranch_execz .LBB153_6
; %bb.5:                                ;   in Loop: Header=BB153_3 Depth=1
	v_lshl_add_u64 v[4:5], v[4:5], 2, s[14:15]
	global_load_b32 v184, v[4:5], off
.LBB153_6:                              ;   in Loop: Header=BB153_3 Depth=1
	s_wait_xcnt 0x0
	s_or_b32 exec_lo, exec_lo, s3
	v_dual_mov_b32 v31, v2 :: v_dual_mov_b32 v32, v2
	v_dual_mov_b32 v33, v2 :: v_dual_mov_b32 v3, v2
	;; [unrolled: 1-line block ×15, first 2 shown]
	v_mov_b32_e32 v30, v2
	v_cmp_gt_i64_e32 vcc_lo, s[4:5], v[168:169]
	v_mov_b64_e32 v[34:35], v[32:33]
	s_delay_alu instid0(VALU_DEP_3)
	v_mov_b64_e32 v[32:33], v[30:31]
	v_mov_b64_e32 v[30:31], v[28:29]
	;; [unrolled: 1-line block ×15, first 2 shown]
	s_and_b32 s18, s2, vcc_lo
	s_delay_alu instid0(SALU_CYCLE_1)
	s_and_saveexec_b32 s3, s18
	s_cbranch_execz .LBB153_8
; %bb.7:                                ;   in Loop: Header=BB153_3 Depth=1
	v_add_nc_u64_e32 v[6:7], v[40:41], v[38:39]
	v_add_nc_u64_e32 v[8:9], v[42:43], v[38:39]
	v_dual_mov_b32 v5, v2 :: v_dual_mov_b32 v11, v2
	v_dual_mov_b32 v12, v2 :: v_dual_mov_b32 v13, v2
	v_mov_b32_e32 v14, v2
	global_load_b32 v4, v[6:7], off
	global_load_b32 v185, v[8:9], off
	s_wait_xcnt 0x1
	v_dual_mov_b32 v6, v2 :: v_dual_mov_b32 v7, v2
	s_wait_xcnt 0x0
	v_dual_mov_b32 v8, v2 :: v_dual_mov_b32 v9, v2
	v_dual_mov_b32 v10, v2 :: v_dual_mov_b32 v15, v2
	;; [unrolled: 1-line block ×12, first 2 shown]
.LBB153_8:                              ;   in Loop: Header=BB153_3 Depth=1
	s_or_b32 exec_lo, exec_lo, s3
	v_add_nc_u64_e32 v[170:171], 1, v[168:169]
	v_dual_mov_b32 v3, 0 :: v_dual_mov_b32 v186, 0
	s_delay_alu instid0(VALU_DEP_2) | instskip(SKIP_1) | instid1(SALU_CYCLE_1)
	v_cmp_gt_i64_e32 vcc_lo, s[4:5], v[170:171]
	s_and_b32 s18, s2, vcc_lo
	s_and_saveexec_b32 s3, s18
	s_cbranch_execz .LBB153_10
; %bb.9:                                ;   in Loop: Header=BB153_3 Depth=1
	v_add_nc_u64_e32 v[170:171], v[164:165], v[38:39]
	v_add_nc_u64_e32 v[172:173], v[166:167], v[38:39]
	global_load_b32 v5, v[170:171], off
	global_load_b32 v186, v[172:173], off
.LBB153_10:                             ;   in Loop: Header=BB153_3 Depth=1
	s_wait_xcnt 0x0
	s_or_b32 exec_lo, exec_lo, s3
	v_add_nc_u64_e32 v[170:171], 2, v[168:169]
	s_delay_alu instid0(VALU_DEP_1) | instskip(SKIP_1) | instid1(SALU_CYCLE_1)
	v_cmp_gt_i64_e32 vcc_lo, s[4:5], v[170:171]
	s_and_b32 s18, s2, vcc_lo
	s_and_saveexec_b32 s3, s18
	s_cbranch_execz .LBB153_12
; %bb.11:                               ;   in Loop: Header=BB153_3 Depth=1
	v_add_nc_u64_e32 v[170:171], v[160:161], v[38:39]
	v_add_nc_u64_e32 v[172:173], v[162:163], v[38:39]
	global_load_b32 v6, v[170:171], off
	global_load_b32 v3, v[172:173], off
.LBB153_12:                             ;   in Loop: Header=BB153_3 Depth=1
	s_wait_xcnt 0x0
	s_or_b32 exec_lo, exec_lo, s3
	v_add_nc_u64_e32 v[170:171], 3, v[168:169]
	v_dual_mov_b32 v187, 0 :: v_dual_mov_b32 v188, 0
	s_delay_alu instid0(VALU_DEP_2) | instskip(SKIP_1) | instid1(SALU_CYCLE_1)
	v_cmp_gt_i64_e32 vcc_lo, s[4:5], v[170:171]
	s_and_b32 s18, s2, vcc_lo
	s_and_saveexec_b32 s3, s18
	s_cbranch_execz .LBB153_14
; %bb.13:                               ;   in Loop: Header=BB153_3 Depth=1
	v_add_nc_u64_e32 v[170:171], v[156:157], v[38:39]
	v_add_nc_u64_e32 v[172:173], v[158:159], v[38:39]
	global_load_b32 v7, v[170:171], off
	global_load_b32 v188, v[172:173], off
.LBB153_14:                             ;   in Loop: Header=BB153_3 Depth=1
	s_wait_xcnt 0x0
	s_or_b32 exec_lo, exec_lo, s3
	v_add_nc_u64_e32 v[170:171], 4, v[168:169]
	s_delay_alu instid0(VALU_DEP_1) | instskip(SKIP_1) | instid1(SALU_CYCLE_1)
	v_cmp_gt_i64_e32 vcc_lo, s[4:5], v[170:171]
	s_and_b32 s18, s2, vcc_lo
	s_and_saveexec_b32 s3, s18
	s_cbranch_execz .LBB153_16
; %bb.15:                               ;   in Loop: Header=BB153_3 Depth=1
	v_add_nc_u64_e32 v[170:171], v[152:153], v[38:39]
	v_add_nc_u64_e32 v[172:173], v[154:155], v[38:39]
	global_load_b32 v8, v[170:171], off
	global_load_b32 v187, v[172:173], off
.LBB153_16:                             ;   in Loop: Header=BB153_3 Depth=1
	s_wait_xcnt 0x0
	s_or_b32 exec_lo, exec_lo, s3
	v_add_nc_u64_e32 v[170:171], 5, v[168:169]
	v_dual_mov_b32 v189, 0 :: v_dual_mov_b32 v190, 0
	s_delay_alu instid0(VALU_DEP_2) | instskip(SKIP_1) | instid1(SALU_CYCLE_1)
	v_cmp_gt_i64_e32 vcc_lo, s[4:5], v[170:171]
	s_and_b32 s18, s2, vcc_lo
	s_and_saveexec_b32 s3, s18
	s_cbranch_execz .LBB153_18
; %bb.17:                               ;   in Loop: Header=BB153_3 Depth=1
	v_add_nc_u64_e32 v[170:171], v[148:149], v[38:39]
	v_add_nc_u64_e32 v[172:173], v[150:151], v[38:39]
	global_load_b32 v9, v[170:171], off
	global_load_b32 v190, v[172:173], off
.LBB153_18:                             ;   in Loop: Header=BB153_3 Depth=1
	;; [unrolled: 29-line block ×8, first 2 shown]
	s_wait_xcnt 0x0
	s_or_b32 exec_lo, exec_lo, s3
	v_add_nc_u64_e32 v[170:171], 18, v[168:169]
	s_delay_alu instid0(VALU_DEP_1) | instskip(SKIP_1) | instid1(SALU_CYCLE_1)
	v_cmp_gt_i64_e32 vcc_lo, s[4:5], v[170:171]
	s_and_b32 s18, s2, vcc_lo
	s_and_saveexec_b32 s3, s18
	s_cbranch_execz .LBB153_44
; %bb.43:                               ;   in Loop: Header=BB153_3 Depth=1
	v_add_nc_u64_e32 v[170:171], v[96:97], v[38:39]
	v_add_nc_u64_e32 v[172:173], v[98:99], v[38:39]
	global_load_b32 v22, v[170:171], off
	global_load_b32 v201, v[172:173], off
.LBB153_44:                             ;   in Loop: Header=BB153_3 Depth=1
	s_wait_xcnt 0x0
	s_or_b32 exec_lo, exec_lo, s3
	v_add_nc_u64_e32 v[170:171], 19, v[168:169]
	s_delay_alu instid0(VALU_DEP_1) | instskip(SKIP_2) | instid1(SALU_CYCLE_1)
	v_cmp_gt_i64_e32 vcc_lo, s[4:5], v[170:171]
	v_dual_mov_b32 v171, 0 :: v_dual_mov_b32 v170, 0
	s_and_b32 s18, s2, vcc_lo
	s_and_saveexec_b32 s3, s18
	s_cbranch_execz .LBB153_46
; %bb.45:                               ;   in Loop: Header=BB153_3 Depth=1
	v_add_nc_u64_e32 v[172:173], v[92:93], v[38:39]
	v_add_nc_u64_e32 v[174:175], v[94:95], v[38:39]
	global_load_b32 v23, v[172:173], off
	global_load_b32 v170, v[174:175], off
.LBB153_46:                             ;   in Loop: Header=BB153_3 Depth=1
	s_wait_xcnt 0x0
	s_or_b32 exec_lo, exec_lo, s3
	v_add_nc_u64_e32 v[172:173], 20, v[168:169]
	s_delay_alu instid0(VALU_DEP_1) | instskip(SKIP_1) | instid1(SALU_CYCLE_1)
	v_cmp_gt_i64_e32 vcc_lo, s[4:5], v[172:173]
	s_and_b32 s18, s2, vcc_lo
	s_and_saveexec_b32 s3, s18
	s_cbranch_execz .LBB153_48
; %bb.47:                               ;   in Loop: Header=BB153_3 Depth=1
	v_add_nc_u64_e32 v[172:173], v[88:89], v[38:39]
	v_add_nc_u64_e32 v[174:175], v[90:91], v[38:39]
	global_load_b32 v24, v[172:173], off
	global_load_b32 v171, v[174:175], off
.LBB153_48:                             ;   in Loop: Header=BB153_3 Depth=1
	s_wait_xcnt 0x0
	s_or_b32 exec_lo, exec_lo, s3
	v_add_nc_u64_e32 v[172:173], 21, v[168:169]
	s_delay_alu instid0(VALU_DEP_1) | instskip(SKIP_2) | instid1(SALU_CYCLE_1)
	v_cmp_gt_i64_e32 vcc_lo, s[4:5], v[172:173]
	v_dual_mov_b32 v173, 0 :: v_dual_mov_b32 v172, 0
	s_and_b32 s18, s2, vcc_lo
	s_and_saveexec_b32 s3, s18
	s_cbranch_execz .LBB153_50
; %bb.49:                               ;   in Loop: Header=BB153_3 Depth=1
	v_add_nc_u64_e32 v[174:175], v[84:85], v[38:39]
	v_add_nc_u64_e32 v[176:177], v[86:87], v[38:39]
	global_load_b32 v25, v[174:175], off
	global_load_b32 v172, v[176:177], off
.LBB153_50:                             ;   in Loop: Header=BB153_3 Depth=1
	;; [unrolled: 29-line block ×6, first 2 shown]
	s_wait_xcnt 0x0
	s_or_b32 exec_lo, exec_lo, s3
	v_add_nc_u64_e32 v[204:205], 30, v[168:169]
	s_delay_alu instid0(VALU_DEP_1) | instskip(SKIP_1) | instid1(SALU_CYCLE_1)
	v_cmp_gt_i64_e32 vcc_lo, s[4:5], v[204:205]
	s_and_b32 s18, s2, vcc_lo
	s_and_saveexec_b32 s3, s18
	s_cbranch_execz .LBB153_68
; %bb.67:                               ;   in Loop: Header=BB153_3 Depth=1
	v_add_nc_u64_e32 v[204:205], v[48:49], v[38:39]
	v_add_nc_u64_e32 v[206:207], v[50:51], v[38:39]
	global_load_b32 v34, v[204:205], off
	global_load_b32 v181, v[206:207], off
.LBB153_68:                             ;   in Loop: Header=BB153_3 Depth=1
	s_wait_xcnt 0x0
	s_or_b32 exec_lo, exec_lo, s3
	v_add_nc_u64_e32 v[204:205], 31, v[168:169]
	v_mov_b32_e32 v202, 0
	s_delay_alu instid0(VALU_DEP_2) | instskip(SKIP_1) | instid1(SALU_CYCLE_1)
	v_cmp_gt_i64_e32 vcc_lo, s[4:5], v[204:205]
	s_and_b32 s18, s2, vcc_lo
	s_and_saveexec_b32 s3, s18
	s_cbranch_execz .LBB153_70
; %bb.69:                               ;   in Loop: Header=BB153_3 Depth=1
	v_add_nc_u64_e32 v[204:205], v[44:45], v[38:39]
	v_add_nc_u64_e32 v[206:207], v[46:47], v[38:39]
	global_load_b32 v35, v[204:205], off
	global_load_b32 v202, v[206:207], off
.LBB153_70:                             ;   in Loop: Header=BB153_3 Depth=1
	s_wait_xcnt 0x0
	s_or_b32 exec_lo, exec_lo, s3
	s_wait_loadcnt 0x0
	ds_bpermute_b32 v204, v2, v184
	ds_bpermute_b32 v205, v2, v184 offset:4
	ds_bpermute_b32 v206, v2, v184 offset:8
	v_dual_mul_f32 v4, v185, v4 :: v_dual_mul_f32 v5, v186, v5
	ds_bpermute_b32 v185, v2, v184 offset:12
	ds_bpermute_b32 v186, v2, v184 offset:16
	s_mov_b32 s3, 0
	v_mul_f32_e32 v3, v3, v6
	ds_bpermute_b32 v6, v2, v184 offset:24
	s_wait_dscnt 0x5
	v_fma_f32 v204, v4, v204, v183
	ds_bpermute_b32 v4, v2, v184 offset:20
	s_wait_dscnt 0x5
	v_dual_fmac_f32 v204, v5, v205 :: v_dual_mul_f32 v5, v188, v7
	ds_bpermute_b32 v7, v2, v184 offset:28
	s_wait_dscnt 0x5
	v_fmac_f32_e32 v204, v3, v206
	v_mul_f32_e32 v3, v187, v8
	ds_bpermute_b32 v8, v2, v184 offset:32
	s_wait_dscnt 0x5
	v_fmac_f32_e32 v204, v5, v185
	v_mul_f32_e32 v5, v190, v9
	ds_bpermute_b32 v9, v2, v184 offset:36
	s_wait_dscnt 0x5
	v_fmac_f32_e32 v204, v3, v186
	s_wait_dscnt 0x3
	s_delay_alu instid0(VALU_DEP_1)
	v_dual_fmac_f32 v204, v5, v4 :: v_dual_mul_f32 v4, v192, v11
	v_mul_f32_e32 v3, v189, v10
	ds_bpermute_b32 v5, v2, v184 offset:40
	ds_bpermute_b32 v10, v2, v184 offset:60
	;; [unrolled: 1-line block ×3, first 2 shown]
	v_fmac_f32_e32 v204, v3, v6
	ds_bpermute_b32 v6, v2, v184 offset:44
	s_wait_dscnt 0x6
	v_dual_fmac_f32 v204, v4, v7 :: v_dual_mul_f32 v4, v194, v13
	v_mul_f32_e32 v3, v191, v12
	ds_bpermute_b32 v7, v2, v184 offset:48
	ds_bpermute_b32 v12, v2, v184 offset:68
	v_mul_f32_e32 v13, v203, v21
	s_wait_dscnt 0x7
	v_dual_fmac_f32 v204, v3, v8 :: v_dual_mul_f32 v3, v193, v14
	ds_bpermute_b32 v8, v2, v184 offset:52
	ds_bpermute_b32 v14, v2, v184 offset:72
	s_wait_dscnt 0x8
	v_fmac_f32_e32 v204, v4, v9
	v_mul_f32_e32 v4, v196, v15
	ds_bpermute_b32 v9, v2, v184 offset:56
	ds_bpermute_b32 v15, v2, v184 offset:104
	s_wait_dscnt 0x9
	v_fmac_f32_e32 v204, v3, v5
	v_mul_f32_e32 v3, v195, v16
	ds_bpermute_b32 v5, v2, v184 offset:80
	s_wait_dscnt 0x7
	v_dual_fmac_f32 v204, v4, v6 :: v_dual_mul_f32 v4, v198, v17
	s_wait_dscnt 0x6
	s_delay_alu instid0(VALU_DEP_1) | instskip(SKIP_2) | instid1(VALU_DEP_2)
	v_dual_fmac_f32 v204, v3, v7 :: v_dual_mul_f32 v3, v197, v18
	v_mov_b32_e32 v7, v24
	s_wait_dscnt 0x4
	v_fmac_f32_e32 v204, v4, v8
	v_mul_f32_e32 v6, v200, v19
	ds_bpermute_b32 v4, v2, v184 offset:76
	ds_bpermute_b32 v8, v2, v184 offset:84
	s_wait_dscnt 0x4
	v_fmac_f32_e32 v204, v3, v9
	v_mul_f32_e32 v3, v199, v20
	ds_bpermute_b32 v9, v2, v184 offset:88
	v_dual_fmac_f32 v204, v6, v10 :: v_dual_mov_b32 v6, v23
	s_delay_alu instid0(VALU_DEP_1) | instskip(SKIP_1) | instid1(VALU_DEP_3)
	v_dual_mov_b32 v10, v25 :: v_dual_fmac_f32 v204, v3, v11
	v_mul_f32_e32 v3, v201, v22
	v_pk_mul_f32 v[6:7], v[170:171], v[6:7]
	s_delay_alu instid0(VALU_DEP_3)
	v_dual_mov_b32 v11, v26 :: v_dual_fmac_f32 v204, v13, v12
	ds_bpermute_b32 v12, v2, v184 offset:92
	ds_bpermute_b32 v13, v2, v184 offset:96
	s_wait_dscnt 0x4
	v_pk_mul_f32 v[4:5], v[6:7], v[4:5]
	v_mov_b32_e32 v6, v27
	v_dual_fmac_f32 v204, v3, v14 :: v_dual_mov_b32 v7, v28
	v_pk_mul_f32 v[10:11], v[172:173], v[10:11]
	ds_bpermute_b32 v14, v2, v184 offset:100
	v_dual_add_f32 v3, v204, v4 :: v_dual_mov_b32 v4, v29
	s_wait_dscnt 0x3
	v_pk_mul_f32 v[8:9], v[10:11], v[8:9]
	ds_bpermute_b32 v10, v2, v184 offset:108
	ds_bpermute_b32 v11, v2, v184 offset:112
	v_dual_add_f32 v3, v3, v5 :: v_dual_mov_b32 v5, v30
	v_pk_mul_f32 v[6:7], v[174:175], v[6:7]
	s_delay_alu instid0(VALU_DEP_2) | instskip(SKIP_2) | instid1(VALU_DEP_3)
	v_add_f32_e32 v3, v3, v8
	v_mov_b32_e32 v8, v31
	s_wait_dscnt 0x3
	v_pk_mul_f32 v[6:7], v[6:7], v[12:13]
	v_pk_mul_f32 v[4:5], v[176:177], v[4:5]
	v_dual_add_f32 v3, v3, v9 :: v_dual_mov_b32 v9, v32
	s_wait_dscnt 0x2
	s_delay_alu instid0(VALU_DEP_2) | instskip(NEXT) | instid1(VALU_DEP_2)
	v_pk_mul_f32 v[4:5], v[4:5], v[14:15]
	v_add_f32_e32 v3, v3, v6
	s_delay_alu instid0(VALU_DEP_3)
	v_pk_mul_f32 v[8:9], v[178:179], v[8:9]
	ds_bpermute_b32 v6, v2, v184 offset:116
	s_wait_dscnt 0x1
	v_pk_mul_f32 v[8:9], v[8:9], v[10:11]
	v_add_f32_e32 v3, v3, v7
	ds_bpermute_b32 v7, v2, v184 offset:120
	v_dual_add_f32 v3, v3, v4 :: v_dual_mov_b32 v4, v33
	s_delay_alu instid0(VALU_DEP_1) | instskip(SKIP_3) | instid1(VALU_DEP_2)
	v_dual_add_f32 v10, v3, v5 :: v_dual_mov_b32 v5, v34
	ds_bpermute_b32 v3, v2, v184 offset:124
	v_add_f32_e32 v8, v10, v8
	v_pk_mul_f32 v[4:5], v[180:181], v[4:5]
	v_add_f32_e32 v8, v8, v9
	s_wait_dscnt 0x1
	s_delay_alu instid0(VALU_DEP_2) | instskip(NEXT) | instid1(VALU_DEP_1)
	v_pk_mul_f32 v[4:5], v[4:5], v[6:7]
	v_add_f32_e32 v4, v8, v4
	s_set_vgpr_msb 64                       ;  msbs: dst=1 src0=0 src1=0 src2=0
	s_delay_alu instid0(VALU_DEP_1)
	v_add_f32_e32 v38 /*v294*/, v4, v5
.LBB153_71:                             ;   in Loop: Header=BB153_3 Depth=1
	s_and_b32 vcc_lo, exec_lo, s3
	s_set_vgpr_msb 0                        ;  msbs: dst=0 src0=0 src1=0 src2=0
	s_cbranch_vccz .LBB153_137
; %bb.72:                               ;   in Loop: Header=BB153_3 Depth=1
	s_load_b32 s3, s[20:21], 0x0
	v_dual_mov_b32 v181, 0 :: v_dual_mov_b32 v180, 0
	v_mov_b32_e32 v5, v2
	s_wait_kmcnt 0x0
	s_cmp_lt_u32 s12, s3
	s_cselect_b32 s18, 12, 18
	s_delay_alu instid0(SALU_CYCLE_1)
	s_add_nc_u64 s[34:35], s[20:21], s[18:19]
	s_load_u16 s3, s[34:35], 0x0
	s_wait_dscnt 0x0
	s_wait_kmcnt 0x0
	v_mad_u32_u24 v3, v1, s3, v182
	s_mov_b32 s3, exec_lo
	s_delay_alu instid0(VALU_DEP_1) | instskip(NEXT) | instid1(VALU_DEP_1)
	v_and_b32_e32 v4, 31, v3
	v_add_nc_u64_e32 v[4:5], v[168:169], v[4:5]
	s_delay_alu instid0(VALU_DEP_1)
	v_cmpx_gt_i64_e64 s[4:5], v[4:5]
	s_cbranch_execz .LBB153_74
; %bb.73:                               ;   in Loop: Header=BB153_3 Depth=1
	v_lshl_add_u64 v[4:5], v[4:5], 2, s[14:15]
	global_load_b32 v180, v[4:5], off
.LBB153_74:                             ;   in Loop: Header=BB153_3 Depth=1
	s_wait_xcnt 0x0
	s_or_b32 exec_lo, exec_lo, s3
	v_dual_mov_b32 v31, v2 :: v_dual_mov_b32 v32, v2
	v_dual_mov_b32 v33, v2 :: v_dual_mov_b32 v3, v2
	;; [unrolled: 1-line block ×15, first 2 shown]
	v_mov_b32_e32 v30, v2
	v_mov_b64_e32 v[34:35], v[32:33]
	s_delay_alu instid0(VALU_DEP_2) | instskip(NEXT) | instid1(VALU_DEP_4)
	v_mov_b64_e32 v[32:33], v[30:31]
	v_mov_b64_e32 v[30:31], v[28:29]
	;; [unrolled: 1-line block ×15, first 2 shown]
	s_and_saveexec_b32 s3, s2
	s_cbranch_execz .LBB153_76
; %bb.75:                               ;   in Loop: Header=BB153_3 Depth=1
	v_add_nc_u64_e32 v[6:7], v[40:41], v[38:39]
	v_add_nc_u64_e32 v[8:9], v[42:43], v[38:39]
	v_dual_mov_b32 v5, v2 :: v_dual_mov_b32 v11, v2
	v_dual_mov_b32 v12, v2 :: v_dual_mov_b32 v13, v2
	v_mov_b32_e32 v14, v2
	global_load_b32 v4, v[6:7], off
	global_load_b32 v181, v[8:9], off
	s_wait_xcnt 0x1
	v_dual_mov_b32 v6, v2 :: v_dual_mov_b32 v7, v2
	s_wait_xcnt 0x0
	v_dual_mov_b32 v8, v2 :: v_dual_mov_b32 v9, v2
	v_dual_mov_b32 v10, v2 :: v_dual_mov_b32 v15, v2
	v_dual_mov_b32 v16, v2 :: v_dual_mov_b32 v17, v2
	v_dual_mov_b32 v18, v2 :: v_dual_mov_b32 v19, v2
	v_dual_mov_b32 v20, v2 :: v_dual_mov_b32 v21, v2
	v_dual_mov_b32 v22, v2 :: v_dual_mov_b32 v23, v2
	v_dual_mov_b32 v24, v2 :: v_dual_mov_b32 v25, v2
	v_dual_mov_b32 v26, v2 :: v_dual_mov_b32 v27, v2
	v_dual_mov_b32 v28, v2 :: v_dual_mov_b32 v29, v2
	v_dual_mov_b32 v30, v2 :: v_dual_mov_b32 v31, v2
	v_dual_mov_b32 v32, v2 :: v_dual_mov_b32 v33, v2
	v_dual_mov_b32 v34, v2 :: v_dual_mov_b32 v35, v2
.LBB153_76:                             ;   in Loop: Header=BB153_3 Depth=1
	s_or_b32 exec_lo, exec_lo, s3
	v_dual_mov_b32 v3, 0 :: v_dual_mov_b32 v184, 0
	s_and_saveexec_b32 s3, s2
	s_cbranch_execz .LBB153_78
; %bb.77:                               ;   in Loop: Header=BB153_3 Depth=1
	v_add_nc_u64_e32 v[168:169], v[164:165], v[38:39]
	v_add_nc_u64_e32 v[170:171], v[166:167], v[38:39]
	global_load_b32 v5, v[168:169], off
	global_load_b32 v184, v[170:171], off
.LBB153_78:                             ;   in Loop: Header=BB153_3 Depth=1
	s_wait_xcnt 0x0
	s_or_b32 exec_lo, exec_lo, s3
	s_and_saveexec_b32 s3, s2
	s_cbranch_execz .LBB153_80
; %bb.79:                               ;   in Loop: Header=BB153_3 Depth=1
	v_add_nc_u64_e32 v[168:169], v[160:161], v[38:39]
	v_add_nc_u64_e32 v[170:171], v[162:163], v[38:39]
	global_load_b32 v6, v[168:169], off
	global_load_b32 v3, v[170:171], off
.LBB153_80:                             ;   in Loop: Header=BB153_3 Depth=1
	s_wait_xcnt 0x0
	s_or_b32 exec_lo, exec_lo, s3
	v_dual_mov_b32 v185, 0 :: v_dual_mov_b32 v186, 0
	s_and_saveexec_b32 s3, s2
	s_cbranch_execz .LBB153_82
; %bb.81:                               ;   in Loop: Header=BB153_3 Depth=1
	v_add_nc_u64_e32 v[168:169], v[156:157], v[38:39]
	v_add_nc_u64_e32 v[170:171], v[158:159], v[38:39]
	global_load_b32 v7, v[168:169], off
	global_load_b32 v186, v[170:171], off
.LBB153_82:                             ;   in Loop: Header=BB153_3 Depth=1
	s_wait_xcnt 0x0
	s_or_b32 exec_lo, exec_lo, s3
	s_and_saveexec_b32 s3, s2
	s_cbranch_execz .LBB153_84
; %bb.83:                               ;   in Loop: Header=BB153_3 Depth=1
	v_add_nc_u64_e32 v[168:169], v[152:153], v[38:39]
	v_add_nc_u64_e32 v[170:171], v[154:155], v[38:39]
	global_load_b32 v8, v[168:169], off
	global_load_b32 v185, v[170:171], off
.LBB153_84:                             ;   in Loop: Header=BB153_3 Depth=1
	s_wait_xcnt 0x0
	;; [unrolled: 21-line block ×5, first 2 shown]
	s_or_b32 exec_lo, exec_lo, s3
	v_dual_mov_b32 v193, 0 :: v_dual_mov_b32 v194, 0
	s_and_saveexec_b32 s3, s2
	s_cbranch_execz .LBB153_98
; %bb.97:                               ;   in Loop: Header=BB153_3 Depth=1
	v_add_nc_u64_e32 v[168:169], v[124:125], v[38:39]
	v_add_nc_u64_e32 v[170:171], v[126:127], v[38:39]
	global_load_b32 v15, v[168:169], off
	global_load_b32 v194, v[170:171], off
.LBB153_98:                             ;   in Loop: Header=BB153_3 Depth=1
	s_wait_xcnt 0x0
	s_or_b32 exec_lo, exec_lo, s3
	s_and_saveexec_b32 s3, s2
	s_cbranch_execz .LBB153_100
; %bb.99:                               ;   in Loop: Header=BB153_3 Depth=1
	v_add_nc_u64_e32 v[168:169], v[120:121], v[38:39]
	v_add_nc_u64_e32 v[170:171], v[122:123], v[38:39]
	global_load_b32 v16, v[168:169], off
	global_load_b32 v193, v[170:171], off
.LBB153_100:                            ;   in Loop: Header=BB153_3 Depth=1
	s_wait_xcnt 0x0
	s_or_b32 exec_lo, exec_lo, s3
	v_dual_mov_b32 v195, 0 :: v_dual_mov_b32 v196, 0
	s_and_saveexec_b32 s3, s2
	s_cbranch_execz .LBB153_102
; %bb.101:                              ;   in Loop: Header=BB153_3 Depth=1
	v_add_nc_u64_e32 v[168:169], v[116:117], v[38:39]
	v_add_nc_u64_e32 v[170:171], v[118:119], v[38:39]
	global_load_b32 v17, v[168:169], off
	global_load_b32 v196, v[170:171], off
.LBB153_102:                            ;   in Loop: Header=BB153_3 Depth=1
	s_wait_xcnt 0x0
	s_or_b32 exec_lo, exec_lo, s3
	s_and_saveexec_b32 s3, s2
	s_cbranch_execz .LBB153_104
; %bb.103:                              ;   in Loop: Header=BB153_3 Depth=1
	v_add_nc_u64_e32 v[168:169], v[112:113], v[38:39]
	v_add_nc_u64_e32 v[170:171], v[114:115], v[38:39]
	global_load_b32 v18, v[168:169], off
	global_load_b32 v195, v[170:171], off
.LBB153_104:                            ;   in Loop: Header=BB153_3 Depth=1
	s_wait_xcnt 0x0
	s_or_b32 exec_lo, exec_lo, s3
	v_dual_mov_b32 v197, 0 :: v_dual_mov_b32 v198, 0
	s_and_saveexec_b32 s3, s2
	s_cbranch_execz .LBB153_106
; %bb.105:                              ;   in Loop: Header=BB153_3 Depth=1
	v_add_nc_u64_e32 v[168:169], v[108:109], v[38:39]
	v_add_nc_u64_e32 v[170:171], v[110:111], v[38:39]
	global_load_b32 v19, v[168:169], off
	global_load_b32 v198, v[170:171], off
.LBB153_106:                            ;   in Loop: Header=BB153_3 Depth=1
	s_wait_xcnt 0x0
	s_or_b32 exec_lo, exec_lo, s3
	s_and_saveexec_b32 s3, s2
	s_cbranch_execz .LBB153_108
; %bb.107:                              ;   in Loop: Header=BB153_3 Depth=1
	v_add_nc_u64_e32 v[168:169], v[104:105], v[38:39]
	v_add_nc_u64_e32 v[170:171], v[106:107], v[38:39]
	global_load_b32 v20, v[168:169], off
	global_load_b32 v197, v[170:171], off
.LBB153_108:                            ;   in Loop: Header=BB153_3 Depth=1
	;; [unrolled: 21-line block ×8, first 2 shown]
	s_wait_xcnt 0x0
	s_or_b32 exec_lo, exec_lo, s3
	v_dual_mov_b32 v179, 0 :: v_dual_mov_b32 v178, 0
	s_and_saveexec_b32 s3, s2
	s_cbranch_execnz .LBB153_139
; %bb.133:                              ;   in Loop: Header=BB153_3 Depth=1
	s_or_b32 exec_lo, exec_lo, s3
	s_and_saveexec_b32 s3, s2
	s_cbranch_execnz .LBB153_140
.LBB153_134:                            ;   in Loop: Header=BB153_3 Depth=1
	s_or_b32 exec_lo, exec_lo, s3
	v_mov_b32_e32 v202, 0
	s_and_saveexec_b32 s3, s2
	s_cbranch_execz .LBB153_136
.LBB153_135:                            ;   in Loop: Header=BB153_3 Depth=1
	v_add_nc_u64_e32 v[204:205], v[44:45], v[38:39]
	v_add_nc_u64_e32 v[206:207], v[46:47], v[38:39]
	global_load_b32 v35, v[204:205], off
	global_load_b32 v202, v[206:207], off
.LBB153_136:                            ;   in Loop: Header=BB153_3 Depth=1
	s_wait_xcnt 0x0
	s_or_b32 exec_lo, exec_lo, s3
	s_wait_loadcnt 0x0
	ds_bpermute_b32 v201, v2, v180
	ds_bpermute_b32 v203, v2, v180 offset:4
	ds_bpermute_b32 v204, v2, v180 offset:8
	v_dual_mul_f32 v4, v181, v4 :: v_dual_mul_f32 v5, v184, v5
	ds_bpermute_b32 v181, v2, v180 offset:12
	ds_bpermute_b32 v184, v2, v180 offset:16
	v_mul_f32_e32 v3, v3, v6
	ds_bpermute_b32 v6, v2, v180 offset:24
	s_wait_dscnt 0x5
	v_fmac_f32_e32 v183, v4, v201
	ds_bpermute_b32 v4, v2, v180 offset:20
	s_wait_dscnt 0x5
	v_fmac_f32_e32 v183, v5, v203
	v_mul_f32_e32 v5, v186, v7
	ds_bpermute_b32 v7, v2, v180 offset:28
	s_wait_dscnt 0x5
	v_fmac_f32_e32 v183, v3, v204
	v_mul_f32_e32 v3, v185, v8
	;; [unrolled: 4-line block ×4, first 2 shown]
	ds_bpermute_b32 v10, v2, v180 offset:60
	s_wait_dscnt 0x4
	v_dual_fmac_f32 v183, v5, v4 :: v_dual_mul_f32 v4, v190, v11
	ds_bpermute_b32 v5, v2, v180 offset:40
	ds_bpermute_b32 v11, v2, v180 offset:64
	v_dual_fmac_f32 v183, v3, v6 :: v_dual_mul_f32 v3, v189, v12
	ds_bpermute_b32 v6, v2, v180 offset:44
	ds_bpermute_b32 v12, v2, v180 offset:68
	s_wait_dscnt 0x7
	v_fmac_f32_e32 v183, v4, v7
	v_mul_f32_e32 v4, v192, v13
	ds_bpermute_b32 v7, v2, v180 offset:48
	s_wait_dscnt 0x7
	v_fmac_f32_e32 v183, v3, v8
	v_mul_f32_e32 v3, v191, v14
	ds_bpermute_b32 v8, v2, v180 offset:52
	ds_bpermute_b32 v14, v2, v180 offset:72
	s_wait_dscnt 0x8
	v_dual_fmac_f32 v183, v4, v9 :: v_dual_mul_f32 v4, v194, v15
	ds_bpermute_b32 v9, v2, v180 offset:56
	ds_bpermute_b32 v15, v2, v180 offset:104
	s_wait_dscnt 0x8
	v_dual_fmac_f32 v183, v3, v5 :: v_dual_mul_f32 v3, v193, v16
	ds_bpermute_b32 v5, v2, v180 offset:80
	s_wait_dscnt 0x7
	v_fmac_f32_e32 v183, v4, v6
	v_dual_mul_f32 v4, v196, v17 :: v_dual_mul_f32 v6, v198, v19
	s_wait_dscnt 0x5
	s_delay_alu instid0(VALU_DEP_2) | instskip(SKIP_2) | instid1(VALU_DEP_2)
	v_fmac_f32_e32 v183, v3, v7
	v_dual_mul_f32 v3, v195, v18 :: v_dual_mov_b32 v7, v24
	s_wait_dscnt 0x4
	v_fmac_f32_e32 v183, v4, v8
	ds_bpermute_b32 v4, v2, v180 offset:76
	ds_bpermute_b32 v8, v2, v180 offset:84
	s_wait_dscnt 0x4
	v_dual_fmac_f32 v183, v3, v9 :: v_dual_mul_f32 v3, v197, v20
	v_mul_f32_e32 v13, v200, v21
	ds_bpermute_b32 v9, v2, v180 offset:88
	v_dual_fmac_f32 v183, v6, v10 :: v_dual_mov_b32 v6, v23
	s_delay_alu instid0(VALU_DEP_1) | instskip(SKIP_1) | instid1(VALU_DEP_3)
	v_dual_mov_b32 v10, v25 :: v_dual_fmac_f32 v183, v3, v11
	v_mul_f32_e32 v3, v199, v22
	v_pk_mul_f32 v[6:7], v[168:169], v[6:7]
	s_delay_alu instid0(VALU_DEP_3)
	v_dual_fmac_f32 v183, v13, v12 :: v_dual_mov_b32 v11, v26
	ds_bpermute_b32 v12, v2, v180 offset:92
	ds_bpermute_b32 v13, v2, v180 offset:96
	s_wait_dscnt 0x4
	v_pk_mul_f32 v[4:5], v[6:7], v[4:5]
	v_fmac_f32_e32 v183, v3, v14
	v_pk_mul_f32 v[10:11], v[170:171], v[10:11]
	v_dual_mov_b32 v6, v27 :: v_dual_mov_b32 v7, v28
	ds_bpermute_b32 v14, v2, v180 offset:100
	v_dual_add_f32 v3, v183, v4 :: v_dual_mov_b32 v4, v29
	s_wait_dscnt 0x3
	v_pk_mul_f32 v[8:9], v[10:11], v[8:9]
	ds_bpermute_b32 v10, v2, v180 offset:108
	ds_bpermute_b32 v11, v2, v180 offset:112
	v_dual_add_f32 v3, v3, v5 :: v_dual_mov_b32 v5, v30
	v_pk_mul_f32 v[6:7], v[172:173], v[6:7]
	s_delay_alu instid0(VALU_DEP_2) | instskip(SKIP_1) | instid1(VALU_DEP_4)
	v_add_f32_e32 v3, v3, v8
	v_mov_b32_e32 v8, v31
	v_pk_mul_f32 v[4:5], v[174:175], v[4:5]
	s_wait_dscnt 0x3
	v_pk_mul_f32 v[6:7], v[6:7], v[12:13]
	v_dual_add_f32 v3, v3, v9 :: v_dual_mov_b32 v9, v32
	s_wait_dscnt 0x2
	v_pk_mul_f32 v[4:5], v[4:5], v[14:15]
	s_delay_alu instid0(VALU_DEP_2) | instskip(NEXT) | instid1(VALU_DEP_3)
	v_add_f32_e32 v3, v3, v6
	v_pk_mul_f32 v[8:9], v[176:177], v[8:9]
	ds_bpermute_b32 v6, v2, v180 offset:116
	s_wait_dscnt 0x1
	v_pk_mul_f32 v[8:9], v[8:9], v[10:11]
	v_add_f32_e32 v3, v3, v7
	ds_bpermute_b32 v7, v2, v180 offset:120
	v_dual_add_f32 v3, v3, v4 :: v_dual_mov_b32 v4, v33
	s_delay_alu instid0(VALU_DEP_1) | instskip(SKIP_3) | instid1(VALU_DEP_2)
	v_dual_add_f32 v10, v3, v5 :: v_dual_mov_b32 v5, v34
	ds_bpermute_b32 v3, v2, v180 offset:124
	v_add_f32_e32 v8, v10, v8
	v_pk_mul_f32 v[4:5], v[178:179], v[4:5]
	v_add_f32_e32 v8, v8, v9
	s_wait_dscnt 0x1
	s_delay_alu instid0(VALU_DEP_2) | instskip(NEXT) | instid1(VALU_DEP_1)
	v_pk_mul_f32 v[4:5], v[4:5], v[6:7]
	v_add_f32_e32 v4, v8, v4
	s_set_vgpr_msb 64                       ;  msbs: dst=1 src0=0 src1=0 src2=0
	s_delay_alu instid0(VALU_DEP_1)
	v_add_f32_e32 v38 /*v294*/, v4, v5
.LBB153_137:                            ;   in Loop: Header=BB153_3 Depth=1
	s_add_nc_u64 s[28:29], s[28:29], s[22:23]
	s_set_vgpr_msb 0                        ;  msbs: dst=0 src0=0 src1=0 src2=0
	v_mul_f32_e32 v4, v202, v35
	v_cmp_lt_i64_e64 s3, s[28:29], s[4:5]
	v_add_nc_u64_e32 v[40:41], s[24:25], v[40:41]
	v_add_nc_u64_e32 v[42:43], s[24:25], v[42:43]
	v_add_nc_u64_e32 v[44:45], s[24:25], v[44:45]
	v_add_nc_u64_e32 v[46:47], s[24:25], v[46:47]
	v_add_nc_u64_e32 v[48:49], s[24:25], v[48:49]
	v_add_nc_u64_e32 v[50:51], s[24:25], v[50:51]
	v_add_nc_u64_e32 v[52:53], s[24:25], v[52:53]
	v_add_nc_u64_e32 v[54:55], s[24:25], v[54:55]
	v_add_nc_u64_e32 v[56:57], s[24:25], v[56:57]
	v_add_nc_u64_e32 v[58:59], s[24:25], v[58:59]
	v_add_nc_u64_e32 v[60:61], s[24:25], v[60:61]
	v_add_nc_u64_e32 v[62:63], s[24:25], v[62:63]
	v_add_nc_u64_e32 v[64:65], s[24:25], v[64:65]
	v_add_nc_u64_e32 v[66:67], s[24:25], v[66:67]
	v_add_nc_u64_e32 v[68:69], s[24:25], v[68:69]
	v_add_nc_u64_e32 v[70:71], s[24:25], v[70:71]
	v_add_nc_u64_e32 v[72:73], s[24:25], v[72:73]
	v_add_nc_u64_e32 v[74:75], s[24:25], v[74:75]
	v_add_nc_u64_e32 v[76:77], s[24:25], v[76:77]
	v_add_nc_u64_e32 v[78:79], s[24:25], v[78:79]
	v_add_nc_u64_e32 v[80:81], s[24:25], v[80:81]
	v_add_nc_u64_e32 v[82:83], s[24:25], v[82:83]
	v_add_nc_u64_e32 v[84:85], s[24:25], v[84:85]
	v_add_nc_u64_e32 v[86:87], s[24:25], v[86:87]
	v_add_nc_u64_e32 v[88:89], s[24:25], v[88:89]
	v_add_nc_u64_e32 v[90:91], s[24:25], v[90:91]
	v_add_nc_u64_e32 v[92:93], s[24:25], v[92:93]
	v_add_nc_u64_e32 v[94:95], s[24:25], v[94:95]
	v_add_nc_u64_e32 v[96:97], s[24:25], v[96:97]
	v_add_nc_u64_e32 v[98:99], s[24:25], v[98:99]
	v_add_nc_u64_e32 v[100:101], s[24:25], v[100:101]
	v_add_nc_u64_e32 v[102:103], s[24:25], v[102:103]
	v_add_nc_u64_e32 v[104:105], s[24:25], v[104:105]
	v_add_nc_u64_e32 v[106:107], s[24:25], v[106:107]
	v_add_nc_u64_e32 v[108:109], s[24:25], v[108:109]
	v_add_nc_u64_e32 v[110:111], s[24:25], v[110:111]
	v_add_nc_u64_e32 v[112:113], s[24:25], v[112:113]
	v_add_nc_u64_e32 v[114:115], s[24:25], v[114:115]
	v_add_nc_u64_e32 v[116:117], s[24:25], v[116:117]
	v_add_nc_u64_e32 v[118:119], s[24:25], v[118:119]
	v_add_nc_u64_e32 v[120:121], s[24:25], v[120:121]
	v_add_nc_u64_e32 v[122:123], s[24:25], v[122:123]
	v_add_nc_u64_e32 v[124:125], s[24:25], v[124:125]
	v_add_nc_u64_e32 v[126:127], s[24:25], v[126:127]
	v_add_nc_u64_e32 v[128:129], s[24:25], v[128:129]
	v_add_nc_u64_e32 v[130:131], s[24:25], v[130:131]
	v_add_nc_u64_e32 v[132:133], s[24:25], v[132:133]
	v_add_nc_u64_e32 v[134:135], s[24:25], v[134:135]
	v_add_nc_u64_e32 v[136:137], s[24:25], v[136:137]
	v_add_nc_u64_e32 v[138:139], s[24:25], v[138:139]
	v_add_nc_u64_e32 v[140:141], s[24:25], v[140:141]
	v_add_nc_u64_e32 v[142:143], s[24:25], v[142:143]
	v_add_nc_u64_e32 v[144:145], s[24:25], v[144:145]
	v_add_nc_u64_e32 v[146:147], s[24:25], v[146:147]
	v_add_nc_u64_e32 v[148:149], s[24:25], v[148:149]
	v_add_nc_u64_e32 v[150:151], s[24:25], v[150:151]
	v_add_nc_u64_e32 v[152:153], s[24:25], v[152:153]
	v_add_nc_u64_e32 v[154:155], s[24:25], v[154:155]
	v_add_nc_u64_e32 v[156:157], s[24:25], v[156:157]
	v_add_nc_u64_e32 v[158:159], s[24:25], v[158:159]
	v_add_nc_u64_e32 v[160:161], s[24:25], v[160:161]
	v_add_nc_u64_e32 v[162:163], s[24:25], v[162:163]
	v_add_nc_u64_e32 v[164:165], s[24:25], v[164:165]
	v_add_nc_u64_e32 v[166:167], s[24:25], v[166:167]
	v_add_nc_u64_e32 v[36:37], s[22:23], v[36:37]
	s_wait_dscnt 0x0
	s_set_vgpr_msb 64                       ;  msbs: dst=1 src0=0 src1=0 src2=0
	v_fmac_f32_e32 v38 /*v294*/, v4, v3
	s_and_b32 vcc_lo, exec_lo, s3
	s_add_nc_u64 s[26:27], s[26:27], s[22:23]
	s_set_vgpr_msb 0                        ;  msbs: dst=0 src0=0 src1=0 src2=0
	s_cbranch_vccz .LBB153_142
; %bb.138:                              ;   in Loop: Header=BB153_3 Depth=1
	s_set_vgpr_msb 1                        ;  msbs: dst=0 src0=1 src1=0 src2=0
	v_mov_b32_e32 v183, v38 /*v294*/
	s_set_vgpr_msb 0                        ;  msbs: dst=0 src0=0 src1=0 src2=0
	s_branch .LBB153_3
.LBB153_139:                            ;   in Loop: Header=BB153_3 Depth=1
	v_add_nc_u64_e32 v[202:203], v[52:53], v[38:39]
	v_add_nc_u64_e32 v[204:205], v[54:55], v[38:39]
	global_load_b32 v33, v[202:203], off
	global_load_b32 v178, v[204:205], off
	s_wait_xcnt 0x0
	s_or_b32 exec_lo, exec_lo, s3
	s_and_saveexec_b32 s3, s2
	s_cbranch_execz .LBB153_134
.LBB153_140:                            ;   in Loop: Header=BB153_3 Depth=1
	v_add_nc_u64_e32 v[202:203], v[48:49], v[38:39]
	v_add_nc_u64_e32 v[204:205], v[50:51], v[38:39]
	global_load_b32 v34, v[202:203], off
	global_load_b32 v179, v[204:205], off
	s_wait_xcnt 0x0
	s_or_b32 exec_lo, exec_lo, s3
	v_mov_b32_e32 v202, 0
	s_and_saveexec_b32 s3, s2
	s_cbranch_execnz .LBB153_135
	s_branch .LBB153_136
.LBB153_141:
                                        ; implicit-def: $vgpr294
	s_load_b64 s[2:3], s[0:1], 0x30
	s_branch .LBB153_143
.LBB153_142:
	s_load_b64 s[2:3], s[0:1], 0x30
	s_cbranch_execnz .LBB153_219
.LBB153_143:
	s_set_vgpr_msb 64                       ;  msbs: dst=1 src0=0 src1=0 src2=0
	v_mov_b32_e32 v38 /*v294*/, 0
	s_and_not1_b32 vcc_lo, exec_lo, s31
	s_set_vgpr_msb 0                        ;  msbs: dst=0 src0=0 src1=0 src2=0
	s_cbranch_vccnz .LBB153_219
; %bb.144:
	v_bfe_u32 v1, v0, 10, 10
	v_mov_b32_e32 v2, 0
	s_set_vgpr_msb 64                       ;  msbs: dst=1 src0=0 src1=0 src2=0
	v_and_b32_e32 v50 /*v306*/, 0x3ff, v0
	s_load_b32 s18, s[0:1], 0x44
	s_mov_b32 s19, 0
	s_set_vgpr_msb 0                        ;  msbs: dst=0 src0=0 src1=0 src2=0
	v_dual_mov_b32 v5, v2 :: v_dual_lshlrev_b32 v4, 7, v1
	v_dual_mov_b32 v147, v2 :: v_dual_lshlrev_b32 v146, 5, v1
	s_mov_b32 s21, s19
	s_set_vgpr_msb 64                       ;  msbs: dst=1 src0=0 src1=0 src2=0
	v_mov_b32_e32 v51 /*v307*/, 0
	s_set_vgpr_msb 0                        ;  msbs: dst=0 src0=0 src1=0 src2=0
	v_lshl_add_u64 v[4:5], s[16:17], 2, v[4:5]
	s_add_nc_u64 s[22:23], s[0:1], 64
	s_mov_b64 s[24:25], s[16:17]
	s_delay_alu instid0(VALU_DEP_1)
	v_add_nc_u64_e32 v[6:7], 4, v[4:5]
	v_add_nc_u64_e32 v[8:9], 8, v[4:5]
	;; [unrolled: 1-line block ×5, first 2 shown]
	s_wait_kmcnt 0x0
	s_lshl_b32 s20, s18, 5
	v_mad_nc_u64_u32 v[36:37], s6, v6, s[8:9]
	v_mul_lo_u32 v3, s6, v7
	v_mul_lo_u32 v7, s7, v6
	v_mad_nc_u64_u32 v[38:39], s6, v6, s[10:11]
	v_mad_nc_u64_u32 v[40:41], s6, v8, s[8:9]
	v_mul_lo_u32 v6, s6, v9
	v_mul_lo_u32 v9, s7, v8
	v_mad_nc_u64_u32 v[44:45], s6, v8, s[10:11]
	;; [unrolled: 4-line block ×5, first 2 shown]
	v_add3_u32 v37, v7, v37, v3
	v_add3_u32 v39, v7, v39, v3
	;; [unrolled: 1-line block ×4, first 2 shown]
	v_add_nc_u64_e32 v[6:7], 24, v[4:5]
	v_add3_u32 v43, v11, v43, v8
	v_add3_u32 v47, v11, v47, v8
	;; [unrolled: 1-line block ×6, first 2 shown]
	v_mul_lo_u32 v3, s6, v7
	v_mul_lo_u32 v12, s7, v6
	v_mad_nc_u64_u32 v[56:57], s6, v6, s[8:9]
	v_add_nc_u64_e32 v[10:11], 32, v[4:5]
	v_mad_nc_u64_u32 v[58:59], s6, v6, s[10:11]
	v_add_nc_u64_e32 v[6:7], 36, v[4:5]
	v_add_nc_u64_e32 v[8:9], 28, v[4:5]
	s_delay_alu instid0(VALU_DEP_4)
	v_mul_lo_u32 v11, s6, v11
	v_mul_lo_u32 v15, s7, v10
	v_mad_nc_u64_u32 v[64:65], s6, v10, s[8:9]
	v_mad_nc_u64_u32 v[66:67], s6, v10, s[10:11]
	v_mul_lo_u32 v10, s6, v7
	v_mul_lo_u32 v16, s7, v6
	v_mad_nc_u64_u32 v[68:69], s6, v6, s[8:9]
	v_mad_nc_u64_u32 v[70:71], s6, v6, s[10:11]
	v_add_nc_u64_e32 v[6:7], 44, v[4:5]
	v_mul_lo_u32 v13, s6, v9
	v_mul_lo_u32 v14, s7, v8
	v_mad_nc_u64_u32 v[60:61], s6, v8, s[8:9]
	v_mad_nc_u64_u32 v[62:63], s6, v8, s[10:11]
	v_add_nc_u64_e32 v[8:9], 40, v[4:5]
	v_add3_u32 v57, v12, v57, v3
	v_add3_u32 v59, v12, v59, v3
	v_add3_u32 v65, v15, v65, v11
	v_add3_u32 v67, v15, v67, v11
	v_add3_u32 v69, v16, v69, v10
	v_add3_u32 v71, v16, v71, v10
	v_mul_lo_u32 v3, s6, v7
	v_mul_lo_u32 v12, s7, v6
	v_mad_nc_u64_u32 v[76:77], s6, v6, s[8:9]
	v_add_nc_u64_e32 v[10:11], 52, v[4:5]
	v_mad_nc_u64_u32 v[78:79], s6, v6, s[10:11]
	v_add_nc_u64_e32 v[6:7], 56, v[4:5]
	v_mul_lo_u32 v17, s6, v9
	v_mul_lo_u32 v18, s7, v8
	v_mad_nc_u64_u32 v[72:73], s6, v8, s[8:9]
	v_mad_nc_u64_u32 v[74:75], s6, v8, s[10:11]
	v_add_nc_u64_e32 v[8:9], 48, v[4:5]
	v_mul_lo_u32 v11, s6, v11
	v_mul_lo_u32 v15, s7, v10
	v_mad_nc_u64_u32 v[84:85], s6, v10, s[8:9]
	v_mad_nc_u64_u32 v[86:87], s6, v10, s[10:11]
	v_mul_lo_u32 v10, s6, v7
	v_mul_lo_u32 v16, s7, v6
	v_mad_nc_u64_u32 v[88:89], s6, v6, s[8:9]
	v_mad_nc_u64_u32 v[90:91], s6, v6, s[10:11]
	v_add3_u32 v61, v14, v61, v13
	v_add3_u32 v63, v14, v63, v13
	v_mul_lo_u32 v13, s6, v9
	v_mul_lo_u32 v14, s7, v8
	v_mad_nc_u64_u32 v[80:81], s6, v8, s[8:9]
	v_mad_nc_u64_u32 v[82:83], s6, v8, s[10:11]
	v_add_nc_u64_e32 v[8:9], 60, v[4:5]
	v_add_nc_u64_e32 v[6:7], 64, v[4:5]
	v_add3_u32 v73, v18, v73, v17
	v_add3_u32 v75, v18, v75, v17
	v_add3_u32 v77, v12, v77, v3
	v_add3_u32 v79, v12, v79, v3
	v_add3_u32 v85, v15, v85, v11
	v_mul_lo_u32 v17, s6, v9
	v_mul_lo_u32 v18, s7, v8
	v_mad_nc_u64_u32 v[92:93], s6, v8, s[8:9]
	v_mad_nc_u64_u32 v[94:95], s6, v8, s[10:11]
	v_add_nc_u64_e32 v[8:9], 0x44, v[4:5]
	v_add3_u32 v87, v15, v87, v11
	v_add3_u32 v89, v16, v89, v10
	;; [unrolled: 1-line block ×3, first 2 shown]
	v_mul_lo_u32 v3, s6, v7
	v_mul_lo_u32 v12, s7, v6
	v_mad_nc_u64_u32 v[96:97], s6, v6, s[8:9]
	v_add_nc_u64_e32 v[10:11], 0x48, v[4:5]
	v_mad_nc_u64_u32 v[98:99], s6, v6, s[10:11]
	v_add_nc_u64_e32 v[6:7], 0x4c, v[4:5]
	v_add3_u32 v81, v14, v81, v13
	v_add3_u32 v83, v14, v83, v13
	v_mul_lo_u32 v13, s6, v9
	v_mul_lo_u32 v14, s7, v8
	v_mad_nc_u64_u32 v[100:101], s6, v8, s[8:9]
	v_mad_nc_u64_u32 v[102:103], s6, v8, s[10:11]
	v_add_nc_u64_e32 v[8:9], 0x50, v[4:5]
	v_mul_lo_u32 v15, s7, v10
	v_mad_nc_u64_u32 v[104:105], s6, v10, s[8:9]
	v_mad_nc_u64_u32 v[106:107], s6, v10, s[10:11]
	v_mul_lo_u32 v10, s6, v7
	v_mul_lo_u32 v16, s7, v6
	v_mad_nc_u64_u32 v[108:109], s6, v6, s[8:9]
	v_mad_nc_u64_u32 v[110:111], s6, v6, s[10:11]
	v_add_nc_u64_e32 v[6:7], 0x54, v[4:5]
	v_add3_u32 v93, v18, v93, v17
	v_add3_u32 v95, v18, v95, v17
	v_mul_lo_u32 v17, s6, v9
	v_mul_lo_u32 v18, s7, v8
	v_mad_nc_u64_u32 v[112:113], s6, v8, s[8:9]
	v_mad_nc_u64_u32 v[114:115], s6, v8, s[10:11]
	v_add_nc_u64_e32 v[8:9], 0x58, v[4:5]
	v_add3_u32 v97, v12, v97, v3
	v_add3_u32 v99, v12, v99, v3
	v_mul_lo_u32 v3, s6, v7
	v_mul_lo_u32 v12, s7, v6
	v_mad_nc_u64_u32 v[116:117], s6, v6, s[8:9]
	v_mad_nc_u64_u32 v[118:119], s6, v6, s[10:11]
	v_mul_lo_u32 v11, s6, v11
	v_add3_u32 v101, v14, v101, v13
	v_add3_u32 v103, v14, v103, v13
	v_mul_lo_u32 v13, s6, v9
	v_mul_lo_u32 v14, s7, v8
	v_mad_nc_u64_u32 v[120:121], s6, v8, s[8:9]
	v_mad_nc_u64_u32 v[122:123], s6, v8, s[10:11]
	v_add_nc_u64_e32 v[8:9], 0x64, v[4:5]
	v_add3_u32 v109, v16, v109, v10
	v_add3_u32 v117, v12, v117, v3
	;; [unrolled: 1-line block ×6, first 2 shown]
	v_mul_lo_u32 v3, s6, v9
	v_mul_lo_u32 v12, s7, v8
	v_mad_nc_u64_u32 v[132:133], s6, v8, s[8:9]
	v_mad_nc_u64_u32 v[134:135], s6, v8, s[10:11]
	v_add_nc_u64_e32 v[8:9], 0x6c, v[4:5]
	v_add_nc_u64_e32 v[10:11], 0x5c, v[4:5]
	;; [unrolled: 1-line block ×3, first 2 shown]
	v_add3_u32 v121, v14, v121, v13
	v_add3_u32 v123, v14, v123, v13
	;; [unrolled: 1-line block ×4, first 2 shown]
	v_mul_lo_u32 v13, s6, v9
	v_mul_lo_u32 v14, s7, v8
	v_mad_nc_u64_u32 v[140:141], s6, v8, s[8:9]
	v_mad_nc_u64_u32 v[142:143], s6, v8, s[10:11]
	v_mul_lo_u32 v11, s6, v11
	v_mul_lo_u32 v15, s7, v10
	v_mad_nc_u64_u32 v[124:125], s6, v10, s[8:9]
	v_mad_nc_u64_u32 v[126:127], s6, v10, s[10:11]
	;; [unrolled: 4-line block ×3, first 2 shown]
	v_add_nc_u64_e32 v[6:7], 0x68, v[4:5]
	v_add3_u32 v133, v12, v133, v3
	v_add3_u32 v135, v12, v135, v3
	v_add3_u32 v141, v14, v141, v13
	v_add3_u32 v143, v14, v143, v13
	v_add_nc_u64_e32 v[12:13], s[16:17], v[146:147]
	v_add3_u32 v125, v15, v125, v11
	v_add3_u32 v127, v15, v127, v11
	v_mul_lo_u32 v11, s7, v6
	v_add3_u32 v129, v16, v129, v10
	v_add3_u32 v131, v16, v131, v10
	v_mul_lo_u32 v10, s6, v7
	v_mad_nc_u64_u32 v[136:137], s6, v6, s[8:9]
	v_mad_nc_u64_u32 v[138:139], s6, v6, s[10:11]
	v_add_nc_u64_e32 v[6:7], 0x70, v[4:5]
	v_mul_u64_e32 v[14:15], s[6:7], v[12:13]
	v_add_nc_u64_e32 v[8:9], 0x74, v[4:5]
	v_add_nc_u64_e32 v[16:17], 28, v[12:13]
	;; [unrolled: 1-line block ×5, first 2 shown]
	v_mul_lo_u32 v3, s6, v7
	v_mul_lo_u32 v18, s7, v6
	v_mad_nc_u64_u32 v[144:145], s6, v6, s[8:9]
	v_mad_nc_u64_u32 v[148:149], s6, v6, s[10:11]
	v_add_nc_u64_e32 v[6:7], 31, v[12:13]
	v_add3_u32 v137, v11, v137, v10
	v_add3_u32 v139, v11, v139, v10
	v_add_nc_u64_e32 v[10:11], 0x78, v[4:5]
	v_mul_lo_u32 v19, s6, v9
	v_mul_lo_u32 v20, s7, v8
	v_mad_nc_u64_u32 v[150:151], s6, v8, s[8:9]
	v_mad_nc_u64_u32 v[152:153], s6, v8, s[10:11]
	v_add_nc_u64_e32 v[8:9], 30, v[12:13]
	v_mul_u64_e32 v[6:7], s[6:7], v[6:7]
	v_mul_lo_u32 v21, s6, v11
	v_add_nc_u64_e32 v[4:5], 0x7c, v[4:5]
	v_mul_lo_u32 v22, s7, v10
	v_mad_nc_u64_u32 v[154:155], s6, v10, s[8:9]
	v_mad_nc_u64_u32 v[156:157], s6, v10, s[10:11]
	v_add_nc_u64_e32 v[10:11], 29, v[12:13]
	v_mul_u64_e32 v[8:9], s[6:7], v[8:9]
	v_add3_u32 v145, v18, v145, v3
	v_mul_lo_u32 v23, s6, v5
	v_mul_lo_u32 v24, s7, v4
	v_mad_nc_u64_u32 v[158:159], s6, v4, s[8:9]
	v_mad_nc_u64_u32 v[160:161], s6, v4, s[10:11]
	v_mul_u64_e32 v[4:5], s[6:7], v[10:11]
	v_mul_u64_e32 v[10:11], s[6:7], v[16:17]
	s_set_vgpr_msb 4                        ;  msbs: dst=0 src0=0 src1=1 src2=0
	v_dual_mov_b32 v17, v2 :: v_dual_add_nc_u32 v16, s13, v50 /*v306*/
	s_set_vgpr_msb 0                        ;  msbs: dst=0 src0=0 src1=0 src2=0
	v_add3_u32 v149, v18, v149, v3
	v_add3_u32 v151, v20, v151, v19
	;; [unrolled: 1-line block ×3, first 2 shown]
	v_add_nc_u64_e32 v[18:19], 27, v[12:13]
	v_lshlrev_b64_e32 v[162:163], 2, v[16:17]
	v_add_nc_u64_e32 v[16:17], 26, v[12:13]
	v_add3_u32 v155, v22, v155, v21
	v_add3_u32 v157, v22, v157, v21
	;; [unrolled: 1-line block ×4, first 2 shown]
	v_lshlrev_b64_e32 v[22:23], 2, v[14:15]
	v_mul_u64_e32 v[18:19], s[6:7], v[18:19]
	v_add_nc_u64_e32 v[24:25], 24, v[12:13]
	v_mul_u64_e32 v[16:17], s[6:7], v[16:17]
	v_add_nc_u64_e32 v[20:21], 25, v[12:13]
	v_lshlrev_b64_e32 v[6:7], 2, v[6:7]
	v_add_nc_u64_e32 v[30:31], 21, v[12:13]
	v_add_nc_u64_e32 v[164:165], s[8:9], v[22:23]
	;; [unrolled: 1-line block ×3, first 2 shown]
	v_mul_u64_e32 v[24:25], s[6:7], v[24:25]
	v_mul_u64_e32 v[22:23], s[6:7], v[26:27]
	;; [unrolled: 1-line block ×3, first 2 shown]
	v_add_nc_u64_e32 v[26:27], 20, v[12:13]
	v_lshlrev_b64_e32 v[8:9], 2, v[8:9]
	v_mul_u64_e32 v[28:29], s[6:7], v[28:29]
	v_add_nc_u64_e32 v[34:35], 18, v[12:13]
	v_add_nc_u64_e32 v[168:169], s[8:9], v[6:7]
	;; [unrolled: 1-line block ×4, first 2 shown]
	v_mul_u64_e32 v[26:27], s[6:7], v[26:27]
	v_mul_u64_e32 v[6:7], s[6:7], v[32:33]
	v_lshlrev_b64_e32 v[4:5], 2, v[4:5]
	v_lshlrev_b64_e32 v[10:11], 2, v[10:11]
	v_mul_u64_e32 v[30:31], s[6:7], v[30:31]
	v_add_nc_u64_e32 v[172:173], s[8:9], v[8:9]
	v_mul_u64_e32 v[32:33], s[6:7], v[34:35]
	v_add_nc_u64_e32 v[174:175], s[10:11], v[8:9]
	;; [unrolled: 2-line block ×3, first 2 shown]
	v_add_nc_u64_e32 v[178:179], s[10:11], v[4:5]
	v_add_nc_u64_e32 v[4:5], 16, v[12:13]
	;; [unrolled: 1-line block ×4, first 2 shown]
	v_lshlrev_b64_e32 v[18:19], 2, v[18:19]
	v_add_nc_u64_e32 v[34:35], 15, v[12:13]
	v_lshlrev_b64_e32 v[10:11], 2, v[16:17]
	v_mul_u64_e32 v[4:5], s[6:7], v[4:5]
	s_delay_alu instid0(VALU_DEP_4)
	v_add_nc_u64_e32 v[184:185], s[8:9], v[18:19]
	v_add_nc_u64_e32 v[186:187], s[10:11], v[18:19]
	v_lshlrev_b64_e32 v[18:19], 2, v[24:25]
	v_add_nc_u64_e32 v[188:189], s[8:9], v[10:11]
	v_add_nc_u64_e32 v[190:191], s[10:11], v[10:11]
	v_lshlrev_b64_e32 v[10:11], 2, v[22:23]
	;; [unrolled: 3-line block ×3, first 2 shown]
	v_add_nc_u64_e32 v[196:197], s[8:9], v[18:19]
	v_add_nc_u64_e32 v[198:199], s[10:11], v[18:19]
	v_mul_u64_e32 v[20:21], s[6:7], v[34:35]
	v_add_nc_u64_e32 v[200:201], s[8:9], v[10:11]
	v_mul_u64_e32 v[22:23], s[6:7], v[22:23]
	v_mul_u64_e32 v[24:25], s[6:7], v[24:25]
	v_add_nc_u64_e32 v[192:193], s[8:9], v[16:17]
	v_add_nc_u64_e32 v[194:195], s[10:11], v[16:17]
	v_lshlrev_b64_e32 v[16:17], 2, v[28:29]
	v_add_nc_u64_e32 v[202:203], s[10:11], v[10:11]
	v_lshlrev_b64_e32 v[10:11], 2, v[26:27]
	v_lshlrev_b64_e32 v[6:7], 2, v[6:7]
	v_add_nc_u64_e32 v[26:27], 11, v[12:13]
	v_lshlrev_b64_e32 v[18:19], 2, v[30:31]
	v_lshlrev_b64_e32 v[8:9], 2, v[8:9]
	v_add_nc_u64_e32 v[204:205], s[8:9], v[16:17]
	v_add_nc_u64_e32 v[206:207], s[10:11], v[16:17]
	v_lshlrev_b64_e32 v[16:17], 2, v[32:33]
	v_add_nc_u64_e32 v[212:213], s[8:9], v[10:11]
	v_add_nc_u64_e32 v[214:215], s[10:11], v[10:11]
	;; [unrolled: 1-line block ×4, first 2 shown]
	v_mul_u64_e32 v[26:27], s[6:7], v[26:27]
	v_add_nc_u64_e32 v[28:29], 9, v[12:13]
	v_add_nc_u64_e32 v[30:31], 8, v[12:13]
	;; [unrolled: 1-line block ×5, first 2 shown]
	v_mul_u64_e32 v[10:11], s[6:7], v[10:11]
	v_add_nc_u64_e32 v[222:223], s[10:11], v[16:17]
	v_mul_u64_e32 v[16:17], s[6:7], v[28:29]
	v_mul_u64_e32 v[28:29], s[6:7], v[30:31]
	v_add_nc_u64_e32 v[30:31], 6, v[12:13]
	v_mul_u64_e32 v[6:7], s[6:7], v[6:7]
	v_add_nc_u64_e32 v[32:33], 5, v[12:13]
	v_add_nc_u64_e32 v[224:225], s[8:9], v[8:9]
	;; [unrolled: 1-line block ×7, first 2 shown]
	v_lshlrev_b64_e32 v[4:5], 2, v[4:5]
	v_mul_u64_e32 v[30:31], s[6:7], v[30:31]
	v_mul_u64_e32 v[32:33], s[6:7], v[32:33]
	v_add_nc_u64_e32 v[34:35], 3, v[12:13]
	v_add_nc_u64_e32 v[12:13], 2, v[12:13]
	v_mul_u64_e32 v[8:9], s[6:7], v[8:9]
	v_mul_u64_e32 v[18:19], s[6:7], v[18:19]
	v_add_nc_u64_e32 v[228:229], s[8:9], v[4:5]
	v_add_nc_u64_e32 v[230:231], s[10:11], v[4:5]
	v_lshlrev_b64_e32 v[4:5], 2, v[22:23]
	v_lshlrev_b64_e32 v[22:23], 2, v[24:25]
	v_mul_u64_e32 v[24:25], s[6:7], v[34:35]
	v_mul_u64_e32 v[12:13], s[6:7], v[12:13]
	v_lshlrev_b64_e32 v[20:21], 2, v[20:21]
	v_add_nc_u64_e32 v[236:237], s[8:9], v[4:5]
	v_add_nc_u64_e32 v[238:239], s[10:11], v[4:5]
	v_lshlrev_b64_e32 v[4:5], 2, v[26:27]
	v_lshlrev_b64_e32 v[10:11], 2, v[10:11]
	v_add_nc_u64_e32 v[232:233], s[8:9], v[20:21]
	v_lshlrev_b64_e32 v[16:17], 2, v[16:17]
	v_add_nc_u64_e32 v[234:235], s[10:11], v[20:21]
	v_add_nc_u64_e32 v[240:241], s[8:9], v[22:23]
	v_lshlrev_b64_e32 v[6:7], 2, v[6:7]
	v_add_nc_u64_e32 v[248:249], s[8:9], v[4:5]
	;; [unrolled: 3-line block ×3, first 2 shown]
	v_add_nc_u64_e32 v[254:255], s[10:11], v[10:11]
	v_add_nc_u64_e32 v[242:243], s[10:11], v[22:23]
	s_set_vgpr_msb 64                       ;  msbs: dst=1 src0=0 src1=0 src2=0
	v_add_nc_u64_e32 v[8:9] /*v[264:265]*/, s[8:9], v[6:7]
	v_add_nc_u64_e32 v[10:11] /*v[266:267]*/, s[10:11], v[6:7]
	s_set_vgpr_msb 0                        ;  msbs: dst=0 src0=0 src1=0 src2=0
	v_lshlrev_b64_e32 v[10:11], 2, v[30:31]
	s_set_vgpr_msb 64                       ;  msbs: dst=1 src0=0 src1=0 src2=0
	v_add_nc_u64_e32 v[4:5] /*v[260:261]*/, s[8:9], v[4:5]
	v_add_nc_u64_e32 v[6:7] /*v[262:263]*/, s[10:11], v[4:5]
	s_set_vgpr_msb 0                        ;  msbs: dst=0 src0=0 src1=0 src2=0
	v_lshlrev_b64_e32 v[4:5], 2, v[32:33]
	v_lshlrev_b64_e32 v[6:7], 2, v[8:9]
	v_add_nc_u64_e32 v[8:9], s[6:7], v[14:15]
	v_lshlrev_b64_e32 v[18:19], 2, v[18:19]
	s_set_vgpr_msb 64                       ;  msbs: dst=1 src0=0 src1=0 src2=0
	v_add_nc_u64_e32 v[12:13] /*v[268:269]*/, s[8:9], v[10:11]
	v_add_nc_u64_e32 v[14:15] /*v[270:271]*/, s[10:11], v[10:11]
	v_add_nc_u64_e32 v[0:1] /*v[256:257]*/, s[8:9], v[16:17]
	s_set_vgpr_msb 0                        ;  msbs: dst=0 src0=0 src1=0 src2=0
	v_lshlrev_b64_e32 v[10:11], 2, v[24:25]
	v_lshlrev_b64_e32 v[12:13], 2, v[12:13]
	s_set_vgpr_msb 64                       ;  msbs: dst=1 src0=0 src1=0 src2=0
	v_add_nc_u64_e32 v[16:17] /*v[272:273]*/, s[8:9], v[4:5]
	v_add_nc_u64_e32 v[18:19] /*v[274:275]*/, s[10:11], v[4:5]
	s_set_vgpr_msb 0                        ;  msbs: dst=0 src0=0 src1=0 src2=0
	v_lshlrev_b64_e32 v[4:5], 2, v[8:9]
	v_add_nc_u64_e32 v[244:245], s[8:9], v[18:19]
	v_add_nc_u64_e32 v[246:247], s[10:11], v[18:19]
	s_set_vgpr_msb 64                       ;  msbs: dst=1 src0=0 src1=0 src2=0
	v_add_nc_u64_e32 v[2:3] /*v[258:259]*/, s[10:11], v[16:17]
	v_add_nc_u64_e32 v[20:21] /*v[276:277]*/, s[8:9], v[6:7]
	;; [unrolled: 1-line block ×9, first 2 shown]
	s_mul_u64 s[8:9], s[6:7], s[20:21]
	s_mov_b64 s[10:11], 31
	s_lshl_b64 s[8:9], s[8:9], 2
.LBB153_145:                            ; =>This Inner Loop Header: Depth=1
	s_add_nc_u64 s[26:27], s[16:17], s[10:11]
	s_set_vgpr_msb 64                       ;  msbs: dst=1 src0=0 src1=0 src2=0
	v_add_nc_u64_e32 v[36:37] /*v[292:293]*/, s[16:17], v[146:147]
	v_cmp_ge_i64_e64 s13, s[26:27], s[4:5]
                                        ; implicit-def: $vgpr294
	s_and_b32 vcc_lo, exec_lo, s13
	s_mov_b32 s13, -1
	s_set_vgpr_msb 0                        ;  msbs: dst=0 src0=0 src1=0 src2=0
	s_cbranch_vccz .LBB153_213
; %bb.146:                              ;   in Loop: Header=BB153_145 Depth=1
	s_load_b32 s13, s[22:23], 0xc
	s_set_vgpr_msb 64                       ;  msbs: dst=1 src0=0 src1=0 src2=0
	v_dual_mov_b32 v53 /*v309*/, 0 :: v_dual_mov_b32 v52 /*v308*/, 0
	s_set_vgpr_msb 16                       ;  msbs: dst=0 src0=0 src1=0 src2=1
	v_mov_b32_e32 v5, v2
	s_wait_kmcnt 0x0
	s_and_b32 s13, s13, 0xffff
	s_delay_alu instid0(SALU_CYCLE_1) | instskip(SKIP_1) | instid1(VALU_DEP_1)
	v_mad_u32_u24 v3, v1, s13, v50 /*v306*/
	s_mov_b32 s13, exec_lo
	v_and_b32_e32 v4, 31, v3
	s_set_vgpr_msb 1                        ;  msbs: dst=0 src0=1 src1=0 src2=0
	s_delay_alu instid0(VALU_DEP_1) | instskip(NEXT) | instid1(VALU_DEP_1)
	v_add_nc_u64_e32 v[4:5], v[36:37] /*v[292:293]*/, v[4:5]
	v_cmpx_gt_i64_e64 s[4:5], v[4:5]
	s_set_vgpr_msb 0                        ;  msbs: dst=0 src0=0 src1=0 src2=0
	s_cbranch_execz .LBB153_148
; %bb.147:                              ;   in Loop: Header=BB153_145 Depth=1
	v_lshl_add_u64 v[4:5], v[4:5], 2, s[14:15]
	s_set_vgpr_msb 64                       ;  msbs: dst=1 src0=0 src1=0 src2=0
	global_load_b32 v52 /*v308*/, v[4:5], off
.LBB153_148:                            ;   in Loop: Header=BB153_145 Depth=1
	s_wait_xcnt 0x0
	s_or_b32 exec_lo, exec_lo, s13
	s_set_vgpr_msb 4                        ;  msbs: dst=0 src0=0 src1=1 src2=0
	v_dual_mov_b32 v31, v2 :: v_dual_mov_b32 v32, v2
	v_dual_mov_b32 v33, v2 :: v_dual_mov_b32 v3, v2
	;; [unrolled: 1-line block ×15, first 2 shown]
	v_mov_b32_e32 v30, v2
	v_mov_b64_e32 v[34:35], v[32:33]
	s_delay_alu instid0(VALU_DEP_2) | instskip(NEXT) | instid1(VALU_DEP_4)
	v_mov_b64_e32 v[32:33], v[30:31]
	v_mov_b64_e32 v[30:31], v[28:29]
	;; [unrolled: 1-line block ×15, first 2 shown]
	s_mov_b32 s13, exec_lo
	v_cmpx_gt_i64_e64 s[4:5], v[36:37] /*v[292:293]*/
	s_set_vgpr_msb 0                        ;  msbs: dst=0 src0=0 src1=0 src2=0
	s_cbranch_execz .LBB153_150
; %bb.149:                              ;   in Loop: Header=BB153_145 Depth=1
	v_add_nc_u64_e32 v[6:7], v[164:165], v[162:163]
	v_add_nc_u64_e32 v[8:9], v[166:167], v[162:163]
	v_dual_mov_b32 v5, v2 :: v_dual_mov_b32 v11, v2
	v_dual_mov_b32 v12, v2 :: v_dual_mov_b32 v13, v2
	v_mov_b32_e32 v14, v2
	global_load_b32 v4, v[6:7], off
	s_set_vgpr_msb 64                       ;  msbs: dst=1 src0=0 src1=0 src2=0
	global_load_b32 v53 /*v309*/, v[8:9], off
	s_wait_xcnt 0x1
	s_set_vgpr_msb 0                        ;  msbs: dst=0 src0=0 src1=0 src2=0
	v_dual_mov_b32 v6, v2 :: v_dual_mov_b32 v7, v2
	s_wait_xcnt 0x0
	v_dual_mov_b32 v8, v2 :: v_dual_mov_b32 v9, v2
	v_dual_mov_b32 v10, v2 :: v_dual_mov_b32 v15, v2
	v_dual_mov_b32 v16, v2 :: v_dual_mov_b32 v17, v2
	v_dual_mov_b32 v18, v2 :: v_dual_mov_b32 v19, v2
	v_dual_mov_b32 v20, v2 :: v_dual_mov_b32 v21, v2
	v_dual_mov_b32 v22, v2 :: v_dual_mov_b32 v23, v2
	v_dual_mov_b32 v24, v2 :: v_dual_mov_b32 v25, v2
	v_dual_mov_b32 v26, v2 :: v_dual_mov_b32 v27, v2
	v_dual_mov_b32 v28, v2 :: v_dual_mov_b32 v29, v2
	v_dual_mov_b32 v30, v2 :: v_dual_mov_b32 v31, v2
	v_dual_mov_b32 v32, v2 :: v_dual_mov_b32 v33, v2
	v_dual_mov_b32 v34, v2 :: v_dual_mov_b32 v35, v2
.LBB153_150:                            ;   in Loop: Header=BB153_145 Depth=1
	s_or_b32 exec_lo, exec_lo, s13
	s_set_vgpr_msb 0x44                     ;  msbs: dst=1 src0=0 src1=1 src2=0
	v_add_nc_u64_e32 v[38:39] /*v[294:295]*/, 1, v[36:37] /*v[292:293]*/
	s_set_vgpr_msb 0                        ;  msbs: dst=0 src0=0 src1=0 src2=0
	v_mov_b32_e32 v3, 0
	s_set_vgpr_msb 64                       ;  msbs: dst=1 src0=0 src1=0 src2=0
	v_mov_b32_e32 v54 /*v310*/, 0
	s_mov_b32 s13, exec_lo
	s_set_vgpr_msb 4                        ;  msbs: dst=0 src0=0 src1=1 src2=0
	v_cmpx_gt_i64_e64 s[4:5], v[38:39] /*v[294:295]*/
	s_set_vgpr_msb 0                        ;  msbs: dst=0 src0=0 src1=0 src2=0
	s_cbranch_execz .LBB153_152
; %bb.151:                              ;   in Loop: Header=BB153_145 Depth=1
	s_set_vgpr_msb 0x41                     ;  msbs: dst=1 src0=1 src1=0 src2=0
	v_add_nc_u64_e32 v[38:39] /*v[294:295]*/, v[32:33] /*v[288:289]*/, v[162:163]
	v_add_nc_u64_e32 v[40:41] /*v[296:297]*/, v[34:35] /*v[290:291]*/, v[162:163]
	s_set_vgpr_msb 1                        ;  msbs: dst=0 src0=1 src1=0 src2=0
	global_load_b32 v5, v[38:39] /*v[294:295]*/, off
	s_set_vgpr_msb 0x41                     ;  msbs: dst=1 src0=1 src1=0 src2=0
	global_load_b32 v54 /*v310*/, v[40:41] /*v[296:297]*/, off
.LBB153_152:                            ;   in Loop: Header=BB153_145 Depth=1
	s_wait_xcnt 0x0
	s_or_b32 exec_lo, exec_lo, s13
	s_set_vgpr_msb 0x44                     ;  msbs: dst=1 src0=0 src1=1 src2=0
	v_add_nc_u64_e32 v[38:39] /*v[294:295]*/, 2, v[36:37] /*v[292:293]*/
	s_mov_b32 s13, exec_lo
	s_delay_alu instid0(VALU_DEP_1)
	v_cmpx_gt_i64_e64 s[4:5], v[38:39] /*v[294:295]*/
	s_set_vgpr_msb 0                        ;  msbs: dst=0 src0=0 src1=0 src2=0
	s_cbranch_execz .LBB153_154
; %bb.153:                              ;   in Loop: Header=BB153_145 Depth=1
	s_set_vgpr_msb 0x41                     ;  msbs: dst=1 src0=1 src1=0 src2=0
	v_add_nc_u64_e32 v[38:39] /*v[294:295]*/, v[28:29] /*v[284:285]*/, v[162:163]
	v_add_nc_u64_e32 v[40:41] /*v[296:297]*/, v[30:31] /*v[286:287]*/, v[162:163]
	s_set_vgpr_msb 1                        ;  msbs: dst=0 src0=1 src1=0 src2=0
	global_load_b32 v6, v[38:39] /*v[294:295]*/, off
	global_load_b32 v3, v[40:41] /*v[296:297]*/, off
.LBB153_154:                            ;   in Loop: Header=BB153_145 Depth=1
	s_wait_xcnt 0x0
	s_or_b32 exec_lo, exec_lo, s13
	s_set_vgpr_msb 0x44                     ;  msbs: dst=1 src0=0 src1=1 src2=0
	v_add_nc_u64_e32 v[38:39] /*v[294:295]*/, 3, v[36:37] /*v[292:293]*/
	v_dual_mov_b32 v55 /*v311*/, 0 :: v_dual_mov_b32 v56 /*v312*/, 0
	s_mov_b32 s13, exec_lo
	s_delay_alu instid0(VALU_DEP_2)
	v_cmpx_gt_i64_e64 s[4:5], v[38:39] /*v[294:295]*/
	s_set_vgpr_msb 0                        ;  msbs: dst=0 src0=0 src1=0 src2=0
	s_cbranch_execz .LBB153_156
; %bb.155:                              ;   in Loop: Header=BB153_145 Depth=1
	s_set_vgpr_msb 0x41                     ;  msbs: dst=1 src0=1 src1=0 src2=0
	v_add_nc_u64_e32 v[38:39] /*v[294:295]*/, v[24:25] /*v[280:281]*/, v[162:163]
	v_add_nc_u64_e32 v[40:41] /*v[296:297]*/, v[26:27] /*v[282:283]*/, v[162:163]
	s_set_vgpr_msb 1                        ;  msbs: dst=0 src0=1 src1=0 src2=0
	global_load_b32 v7, v[38:39] /*v[294:295]*/, off
	s_set_vgpr_msb 0x41                     ;  msbs: dst=1 src0=1 src1=0 src2=0
	global_load_b32 v56 /*v312*/, v[40:41] /*v[296:297]*/, off
.LBB153_156:                            ;   in Loop: Header=BB153_145 Depth=1
	s_wait_xcnt 0x0
	s_or_b32 exec_lo, exec_lo, s13
	s_set_vgpr_msb 0x44                     ;  msbs: dst=1 src0=0 src1=1 src2=0
	v_add_nc_u64_e32 v[38:39] /*v[294:295]*/, 4, v[36:37] /*v[292:293]*/
	s_mov_b32 s13, exec_lo
	s_delay_alu instid0(VALU_DEP_1)
	v_cmpx_gt_i64_e64 s[4:5], v[38:39] /*v[294:295]*/
	s_set_vgpr_msb 0                        ;  msbs: dst=0 src0=0 src1=0 src2=0
	s_cbranch_execz .LBB153_158
; %bb.157:                              ;   in Loop: Header=BB153_145 Depth=1
	s_set_vgpr_msb 0x41                     ;  msbs: dst=1 src0=1 src1=0 src2=0
	v_add_nc_u64_e32 v[38:39] /*v[294:295]*/, v[20:21] /*v[276:277]*/, v[162:163]
	v_add_nc_u64_e32 v[40:41] /*v[296:297]*/, v[22:23] /*v[278:279]*/, v[162:163]
	s_set_vgpr_msb 1                        ;  msbs: dst=0 src0=1 src1=0 src2=0
	global_load_b32 v8, v[38:39] /*v[294:295]*/, off
	s_set_vgpr_msb 0x41                     ;  msbs: dst=1 src0=1 src1=0 src2=0
	global_load_b32 v55 /*v311*/, v[40:41] /*v[296:297]*/, off
.LBB153_158:                            ;   in Loop: Header=BB153_145 Depth=1
	s_wait_xcnt 0x0
	s_or_b32 exec_lo, exec_lo, s13
	s_set_vgpr_msb 0x44                     ;  msbs: dst=1 src0=0 src1=1 src2=0
	v_add_nc_u64_e32 v[38:39] /*v[294:295]*/, 5, v[36:37] /*v[292:293]*/
	v_dual_mov_b32 v57 /*v313*/, 0 :: v_dual_mov_b32 v58 /*v314*/, 0
	s_mov_b32 s13, exec_lo
	s_delay_alu instid0(VALU_DEP_2)
	v_cmpx_gt_i64_e64 s[4:5], v[38:39] /*v[294:295]*/
	s_set_vgpr_msb 0                        ;  msbs: dst=0 src0=0 src1=0 src2=0
	s_cbranch_execz .LBB153_160
; %bb.159:                              ;   in Loop: Header=BB153_145 Depth=1
	s_set_vgpr_msb 0x41                     ;  msbs: dst=1 src0=1 src1=0 src2=0
	v_add_nc_u64_e32 v[38:39] /*v[294:295]*/, v[16:17] /*v[272:273]*/, v[162:163]
	v_add_nc_u64_e32 v[40:41] /*v[296:297]*/, v[18:19] /*v[274:275]*/, v[162:163]
	s_set_vgpr_msb 1                        ;  msbs: dst=0 src0=1 src1=0 src2=0
	global_load_b32 v9, v[38:39] /*v[294:295]*/, off
	s_set_vgpr_msb 0x41                     ;  msbs: dst=1 src0=1 src1=0 src2=0
	global_load_b32 v58 /*v314*/, v[40:41] /*v[296:297]*/, off
.LBB153_160:                            ;   in Loop: Header=BB153_145 Depth=1
	s_wait_xcnt 0x0
	s_or_b32 exec_lo, exec_lo, s13
	s_set_vgpr_msb 0x44                     ;  msbs: dst=1 src0=0 src1=1 src2=0
	v_add_nc_u64_e32 v[38:39] /*v[294:295]*/, 6, v[36:37] /*v[292:293]*/
	s_mov_b32 s13, exec_lo
	s_delay_alu instid0(VALU_DEP_1)
	v_cmpx_gt_i64_e64 s[4:5], v[38:39] /*v[294:295]*/
	s_set_vgpr_msb 0                        ;  msbs: dst=0 src0=0 src1=0 src2=0
	s_cbranch_execz .LBB153_162
; %bb.161:                              ;   in Loop: Header=BB153_145 Depth=1
	s_set_vgpr_msb 0x41                     ;  msbs: dst=1 src0=1 src1=0 src2=0
	v_add_nc_u64_e32 v[38:39] /*v[294:295]*/, v[12:13] /*v[268:269]*/, v[162:163]
	v_add_nc_u64_e32 v[40:41] /*v[296:297]*/, v[14:15] /*v[270:271]*/, v[162:163]
	s_set_vgpr_msb 1                        ;  msbs: dst=0 src0=1 src1=0 src2=0
	global_load_b32 v10, v[38:39] /*v[294:295]*/, off
	s_set_vgpr_msb 0x41                     ;  msbs: dst=1 src0=1 src1=0 src2=0
	global_load_b32 v57 /*v313*/, v[40:41] /*v[296:297]*/, off
.LBB153_162:                            ;   in Loop: Header=BB153_145 Depth=1
	;; [unrolled: 37-line block ×3, first 2 shown]
	s_wait_xcnt 0x0
	s_or_b32 exec_lo, exec_lo, s13
	s_set_vgpr_msb 0x44                     ;  msbs: dst=1 src0=0 src1=1 src2=0
	v_add_nc_u64_e32 v[38:39] /*v[294:295]*/, 9, v[36:37] /*v[292:293]*/
	v_dual_mov_b32 v61 /*v317*/, 0 :: v_dual_mov_b32 v62 /*v318*/, 0
	s_mov_b32 s13, exec_lo
	s_delay_alu instid0(VALU_DEP_2)
	v_cmpx_gt_i64_e64 s[4:5], v[38:39] /*v[294:295]*/
	s_set_vgpr_msb 0                        ;  msbs: dst=0 src0=0 src1=0 src2=0
	s_cbranch_execz .LBB153_168
; %bb.167:                              ;   in Loop: Header=BB153_145 Depth=1
	s_set_vgpr_msb 0x41                     ;  msbs: dst=1 src0=1 src1=0 src2=0
	v_add_nc_u64_e32 v[38:39] /*v[294:295]*/, v[0:1] /*v[256:257]*/, v[162:163]
	v_add_nc_u64_e32 v[40:41] /*v[296:297]*/, v[2:3] /*v[258:259]*/, v[162:163]
	s_set_vgpr_msb 1                        ;  msbs: dst=0 src0=1 src1=0 src2=0
	global_load_b32 v13, v[38:39] /*v[294:295]*/, off
	s_set_vgpr_msb 0x41                     ;  msbs: dst=1 src0=1 src1=0 src2=0
	global_load_b32 v62 /*v318*/, v[40:41] /*v[296:297]*/, off
.LBB153_168:                            ;   in Loop: Header=BB153_145 Depth=1
	s_wait_xcnt 0x0
	s_or_b32 exec_lo, exec_lo, s13
	s_set_vgpr_msb 0x44                     ;  msbs: dst=1 src0=0 src1=1 src2=0
	v_add_nc_u64_e32 v[38:39] /*v[294:295]*/, 10, v[36:37] /*v[292:293]*/
	s_mov_b32 s13, exec_lo
	s_delay_alu instid0(VALU_DEP_1)
	v_cmpx_gt_i64_e64 s[4:5], v[38:39] /*v[294:295]*/
	s_set_vgpr_msb 0                        ;  msbs: dst=0 src0=0 src1=0 src2=0
	s_cbranch_execz .LBB153_170
; %bb.169:                              ;   in Loop: Header=BB153_145 Depth=1
	s_set_vgpr_msb 64                       ;  msbs: dst=1 src0=0 src1=0 src2=0
	v_add_nc_u64_e32 v[38:39] /*v[294:295]*/, v[252:253], v[162:163]
	v_add_nc_u64_e32 v[40:41] /*v[296:297]*/, v[254:255], v[162:163]
	s_set_vgpr_msb 1                        ;  msbs: dst=0 src0=1 src1=0 src2=0
	global_load_b32 v14, v[38:39] /*v[294:295]*/, off
	s_set_vgpr_msb 0x41                     ;  msbs: dst=1 src0=1 src1=0 src2=0
	global_load_b32 v61 /*v317*/, v[40:41] /*v[296:297]*/, off
.LBB153_170:                            ;   in Loop: Header=BB153_145 Depth=1
	s_wait_xcnt 0x0
	s_or_b32 exec_lo, exec_lo, s13
	s_set_vgpr_msb 0x44                     ;  msbs: dst=1 src0=0 src1=1 src2=0
	v_add_nc_u64_e32 v[38:39] /*v[294:295]*/, 11, v[36:37] /*v[292:293]*/
	v_dual_mov_b32 v63 /*v319*/, 0 :: v_dual_mov_b32 v64 /*v320*/, 0
	s_mov_b32 s13, exec_lo
	s_delay_alu instid0(VALU_DEP_2)
	v_cmpx_gt_i64_e64 s[4:5], v[38:39] /*v[294:295]*/
	s_set_vgpr_msb 0                        ;  msbs: dst=0 src0=0 src1=0 src2=0
	s_cbranch_execz .LBB153_172
; %bb.171:                              ;   in Loop: Header=BB153_145 Depth=1
	s_set_vgpr_msb 64                       ;  msbs: dst=1 src0=0 src1=0 src2=0
	v_add_nc_u64_e32 v[38:39] /*v[294:295]*/, v[248:249], v[162:163]
	v_add_nc_u64_e32 v[40:41] /*v[296:297]*/, v[250:251], v[162:163]
	s_set_vgpr_msb 1                        ;  msbs: dst=0 src0=1 src1=0 src2=0
	global_load_b32 v15, v[38:39] /*v[294:295]*/, off
	s_set_vgpr_msb 0x41                     ;  msbs: dst=1 src0=1 src1=0 src2=0
	global_load_b32 v64 /*v320*/, v[40:41] /*v[296:297]*/, off
.LBB153_172:                            ;   in Loop: Header=BB153_145 Depth=1
	s_wait_xcnt 0x0
	s_or_b32 exec_lo, exec_lo, s13
	s_set_vgpr_msb 0x44                     ;  msbs: dst=1 src0=0 src1=1 src2=0
	v_add_nc_u64_e32 v[38:39] /*v[294:295]*/, 12, v[36:37] /*v[292:293]*/
	s_mov_b32 s13, exec_lo
	s_delay_alu instid0(VALU_DEP_1)
	v_cmpx_gt_i64_e64 s[4:5], v[38:39] /*v[294:295]*/
	s_set_vgpr_msb 0                        ;  msbs: dst=0 src0=0 src1=0 src2=0
	s_cbranch_execz .LBB153_174
; %bb.173:                              ;   in Loop: Header=BB153_145 Depth=1
	s_set_vgpr_msb 64                       ;  msbs: dst=1 src0=0 src1=0 src2=0
	v_add_nc_u64_e32 v[38:39] /*v[294:295]*/, v[244:245], v[162:163]
	v_add_nc_u64_e32 v[40:41] /*v[296:297]*/, v[246:247], v[162:163]
	s_set_vgpr_msb 1                        ;  msbs: dst=0 src0=1 src1=0 src2=0
	global_load_b32 v16, v[38:39] /*v[294:295]*/, off
	s_set_vgpr_msb 0x41                     ;  msbs: dst=1 src0=1 src1=0 src2=0
	global_load_b32 v63 /*v319*/, v[40:41] /*v[296:297]*/, off
.LBB153_174:                            ;   in Loop: Header=BB153_145 Depth=1
	s_wait_xcnt 0x0
	s_or_b32 exec_lo, exec_lo, s13
	s_set_vgpr_msb 0x44                     ;  msbs: dst=1 src0=0 src1=1 src2=0
	v_add_nc_u64_e32 v[38:39] /*v[294:295]*/, 13, v[36:37] /*v[292:293]*/
	v_dual_mov_b32 v65 /*v321*/, 0 :: v_dual_mov_b32 v66 /*v322*/, 0
	s_mov_b32 s13, exec_lo
	s_delay_alu instid0(VALU_DEP_2)
	v_cmpx_gt_i64_e64 s[4:5], v[38:39] /*v[294:295]*/
	s_set_vgpr_msb 0                        ;  msbs: dst=0 src0=0 src1=0 src2=0
	s_cbranch_execz .LBB153_176
; %bb.175:                              ;   in Loop: Header=BB153_145 Depth=1
	s_set_vgpr_msb 64                       ;  msbs: dst=1 src0=0 src1=0 src2=0
	v_add_nc_u64_e32 v[38:39] /*v[294:295]*/, v[240:241], v[162:163]
	v_add_nc_u64_e32 v[40:41] /*v[296:297]*/, v[242:243], v[162:163]
	s_set_vgpr_msb 1                        ;  msbs: dst=0 src0=1 src1=0 src2=0
	global_load_b32 v17, v[38:39] /*v[294:295]*/, off
	s_set_vgpr_msb 0x41                     ;  msbs: dst=1 src0=1 src1=0 src2=0
	global_load_b32 v66 /*v322*/, v[40:41] /*v[296:297]*/, off
.LBB153_176:                            ;   in Loop: Header=BB153_145 Depth=1
	;; [unrolled: 37-line block ×4, first 2 shown]
	s_wait_xcnt 0x0
	s_or_b32 exec_lo, exec_lo, s13
	s_set_vgpr_msb 0x44                     ;  msbs: dst=1 src0=0 src1=1 src2=0
	v_add_nc_u64_e32 v[38:39] /*v[294:295]*/, 18, v[36:37] /*v[292:293]*/
	s_mov_b32 s13, exec_lo
	s_delay_alu instid0(VALU_DEP_1)
	v_cmpx_gt_i64_e64 s[4:5], v[38:39] /*v[294:295]*/
	s_set_vgpr_msb 0                        ;  msbs: dst=0 src0=0 src1=0 src2=0
	s_cbranch_execz .LBB153_186
; %bb.185:                              ;   in Loop: Header=BB153_145 Depth=1
	s_set_vgpr_msb 64                       ;  msbs: dst=1 src0=0 src1=0 src2=0
	v_add_nc_u64_e32 v[38:39] /*v[294:295]*/, v[220:221], v[162:163]
	v_add_nc_u64_e32 v[40:41] /*v[296:297]*/, v[222:223], v[162:163]
	s_set_vgpr_msb 1                        ;  msbs: dst=0 src0=1 src1=0 src2=0
	global_load_b32 v22, v[38:39] /*v[294:295]*/, off
	s_set_vgpr_msb 0x41                     ;  msbs: dst=1 src0=1 src1=0 src2=0
	global_load_b32 v69 /*v325*/, v[40:41] /*v[296:297]*/, off
.LBB153_186:                            ;   in Loop: Header=BB153_145 Depth=1
	s_wait_xcnt 0x0
	s_or_b32 exec_lo, exec_lo, s13
	s_set_vgpr_msb 0x44                     ;  msbs: dst=1 src0=0 src1=1 src2=0
	v_add_nc_u64_e32 v[38:39] /*v[294:295]*/, 19, v[36:37] /*v[292:293]*/
	v_mov_b32_e32 v71 /*v327*/, 0
	s_delay_alu instid0(VALU_DEP_2)
	v_cmp_gt_i64_e32 vcc_lo, s[4:5], v[38:39] /*v[294:295]*/
	v_mov_b32_e32 v38 /*v294*/, 0
	s_and_saveexec_b32 s13, vcc_lo
	s_set_vgpr_msb 0                        ;  msbs: dst=0 src0=0 src1=0 src2=0
	s_cbranch_execz .LBB153_188
; %bb.187:                              ;   in Loop: Header=BB153_145 Depth=1
	s_set_vgpr_msb 64                       ;  msbs: dst=1 src0=0 src1=0 src2=0
	v_add_nc_u64_e32 v[40:41] /*v[296:297]*/, v[216:217], v[162:163]
	v_add_nc_u64_e32 v[42:43] /*v[298:299]*/, v[218:219], v[162:163]
	s_set_vgpr_msb 1                        ;  msbs: dst=0 src0=1 src1=0 src2=0
	global_load_b32 v23, v[40:41] /*v[296:297]*/, off
	s_set_vgpr_msb 0x41                     ;  msbs: dst=1 src0=1 src1=0 src2=0
	global_load_b32 v71 /*v327*/, v[42:43] /*v[298:299]*/, off
.LBB153_188:                            ;   in Loop: Header=BB153_145 Depth=1
	s_wait_xcnt 0x0
	s_or_b32 exec_lo, exec_lo, s13
	s_set_vgpr_msb 0x44                     ;  msbs: dst=1 src0=0 src1=1 src2=0
	v_add_nc_u64_e32 v[40:41] /*v[296:297]*/, 20, v[36:37] /*v[292:293]*/
	s_mov_b32 s13, exec_lo
	s_delay_alu instid0(VALU_DEP_1)
	v_cmpx_gt_i64_e64 s[4:5], v[40:41] /*v[296:297]*/
	s_set_vgpr_msb 0                        ;  msbs: dst=0 src0=0 src1=0 src2=0
	s_cbranch_execz .LBB153_190
; %bb.189:                              ;   in Loop: Header=BB153_145 Depth=1
	s_set_vgpr_msb 64                       ;  msbs: dst=1 src0=0 src1=0 src2=0
	v_add_nc_u64_e32 v[40:41] /*v[296:297]*/, v[212:213], v[162:163]
	v_add_nc_u64_e32 v[42:43] /*v[298:299]*/, v[214:215], v[162:163]
	s_set_vgpr_msb 1                        ;  msbs: dst=0 src0=1 src1=0 src2=0
	global_load_b32 v24, v[40:41] /*v[296:297]*/, off
	s_set_vgpr_msb 0x41                     ;  msbs: dst=1 src0=1 src1=0 src2=0
	global_load_b32 v38 /*v294*/, v[42:43] /*v[298:299]*/, off
.LBB153_190:                            ;   in Loop: Header=BB153_145 Depth=1
	s_wait_xcnt 0x0
	s_or_b32 exec_lo, exec_lo, s13
	s_set_vgpr_msb 0x44                     ;  msbs: dst=1 src0=0 src1=1 src2=0
	v_add_nc_u64_e32 v[40:41] /*v[296:297]*/, 21, v[36:37] /*v[292:293]*/
	v_mov_b32_e32 v39 /*v295*/, 0
	s_delay_alu instid0(VALU_DEP_2)
	v_cmp_gt_i64_e32 vcc_lo, s[4:5], v[40:41] /*v[296:297]*/
	v_mov_b32_e32 v40 /*v296*/, 0
	s_and_saveexec_b32 s13, vcc_lo
	s_set_vgpr_msb 0                        ;  msbs: dst=0 src0=0 src1=0 src2=0
	s_cbranch_execz .LBB153_192
; %bb.191:                              ;   in Loop: Header=BB153_145 Depth=1
	s_set_vgpr_msb 64                       ;  msbs: dst=1 src0=0 src1=0 src2=0
	v_add_nc_u64_e32 v[42:43] /*v[298:299]*/, v[208:209], v[162:163]
	v_add_nc_u64_e32 v[44:45] /*v[300:301]*/, v[210:211], v[162:163]
	s_set_vgpr_msb 1                        ;  msbs: dst=0 src0=1 src1=0 src2=0
	global_load_b32 v25, v[42:43] /*v[298:299]*/, off
	s_set_vgpr_msb 0x41                     ;  msbs: dst=1 src0=1 src1=0 src2=0
	global_load_b32 v39 /*v295*/, v[44:45] /*v[300:301]*/, off
.LBB153_192:                            ;   in Loop: Header=BB153_145 Depth=1
	;; [unrolled: 38-line block ×6, first 2 shown]
	s_wait_xcnt 0x0
	s_or_b32 exec_lo, exec_lo, s13
	s_set_vgpr_msb 0x44                     ;  msbs: dst=1 src0=0 src1=1 src2=0
	v_add_nc_u64_e32 v[72:73] /*v[328:329]*/, 30, v[36:37] /*v[292:293]*/
	s_mov_b32 s13, exec_lo
	s_delay_alu instid0(VALU_DEP_1)
	v_cmpx_gt_i64_e64 s[4:5], v[72:73] /*v[328:329]*/
	s_set_vgpr_msb 0                        ;  msbs: dst=0 src0=0 src1=0 src2=0
	s_cbranch_execz .LBB153_210
; %bb.209:                              ;   in Loop: Header=BB153_145 Depth=1
	s_set_vgpr_msb 64                       ;  msbs: dst=1 src0=0 src1=0 src2=0
	v_add_nc_u64_e32 v[72:73] /*v[328:329]*/, v[172:173], v[162:163]
	v_add_nc_u64_e32 v[74:75] /*v[330:331]*/, v[174:175], v[162:163]
	s_set_vgpr_msb 1                        ;  msbs: dst=0 src0=1 src1=0 src2=0
	global_load_b32 v34, v[72:73] /*v[328:329]*/, off
	s_set_vgpr_msb 0x41                     ;  msbs: dst=1 src0=1 src1=0 src2=0
	global_load_b32 v48 /*v304*/, v[74:75] /*v[330:331]*/, off
.LBB153_210:                            ;   in Loop: Header=BB153_145 Depth=1
	s_wait_xcnt 0x0
	s_or_b32 exec_lo, exec_lo, s13
	s_set_vgpr_msb 0x44                     ;  msbs: dst=1 src0=0 src1=1 src2=0
	v_add_nc_u64_e32 v[72:73] /*v[328:329]*/, 31, v[36:37] /*v[292:293]*/
	v_mov_b32_e32 v49 /*v305*/, 0
	s_mov_b32 s13, exec_lo
	s_delay_alu instid0(VALU_DEP_2)
	v_cmpx_gt_i64_e64 s[4:5], v[72:73] /*v[328:329]*/
	s_set_vgpr_msb 0                        ;  msbs: dst=0 src0=0 src1=0 src2=0
	s_cbranch_execz .LBB153_212
; %bb.211:                              ;   in Loop: Header=BB153_145 Depth=1
	s_set_vgpr_msb 64                       ;  msbs: dst=1 src0=0 src1=0 src2=0
	v_add_nc_u64_e32 v[72:73] /*v[328:329]*/, v[168:169], v[162:163]
	v_add_nc_u64_e32 v[74:75] /*v[330:331]*/, v[170:171], v[162:163]
	s_set_vgpr_msb 1                        ;  msbs: dst=0 src0=1 src1=0 src2=0
	global_load_b32 v35, v[72:73] /*v[328:329]*/, off
	s_set_vgpr_msb 0x41                     ;  msbs: dst=1 src0=1 src1=0 src2=0
	global_load_b32 v49 /*v305*/, v[74:75] /*v[330:331]*/, off
.LBB153_212:                            ;   in Loop: Header=BB153_145 Depth=1
	s_wait_xcnt 0x0
	s_or_b32 exec_lo, exec_lo, s13
	s_wait_loadcnt 0x0
	s_set_vgpr_msb 0x44                     ;  msbs: dst=1 src0=0 src1=1 src2=0
	ds_bpermute_b32 v72 /*v328*/, v2, v52 /*v308*/
	ds_bpermute_b32 v73 /*v329*/, v2, v52 /*v308*/ offset:4
	ds_bpermute_b32 v74 /*v330*/, v2, v52 /*v308*/ offset:8
	s_set_vgpr_msb 1                        ;  msbs: dst=0 src0=1 src1=0 src2=0
	v_dual_mul_f32 v4, v53 /*v309*/, v4 :: v_dual_mul_f32 v5, v54 /*v310*/, v5
	s_set_vgpr_msb 0x44                     ;  msbs: dst=1 src0=0 src1=1 src2=0
	ds_bpermute_b32 v53 /*v309*/, v2, v52 /*v308*/ offset:12
	ds_bpermute_b32 v54 /*v310*/, v2, v52 /*v308*/ offset:16
	s_set_vgpr_msb 0                        ;  msbs: dst=0 src0=0 src1=0 src2=0
	v_mul_f32_e32 v3, v3, v6
	s_set_vgpr_msb 4                        ;  msbs: dst=0 src0=0 src1=1 src2=0
	ds_bpermute_b32 v6, v2, v52 /*v308*/ offset:24
	s_mov_b32 s13, 0
	s_wait_dscnt 0x5
	s_set_vgpr_msb 0x54                     ;  msbs: dst=1 src0=0 src1=1 src2=1
	v_fma_f32 v72 /*v328*/, v4, v72 /*v328*/, v51 /*v307*/
	s_set_vgpr_msb 4                        ;  msbs: dst=0 src0=0 src1=1 src2=0
	ds_bpermute_b32 v4, v2, v52 /*v308*/ offset:20
	s_wait_dscnt 0x5
	s_set_vgpr_msb 0x44                     ;  msbs: dst=1 src0=0 src1=1 src2=0
	v_fmac_f32_e32 v72 /*v328*/, v5, v73 /*v329*/
	s_set_vgpr_msb 1                        ;  msbs: dst=0 src0=1 src1=0 src2=0
	v_mul_f32_e32 v5, v56 /*v312*/, v7
	s_set_vgpr_msb 4                        ;  msbs: dst=0 src0=0 src1=1 src2=0
	ds_bpermute_b32 v7, v2, v52 /*v308*/ offset:28
	s_wait_dscnt 0x5
	s_set_vgpr_msb 0x44                     ;  msbs: dst=1 src0=0 src1=1 src2=0
	v_fmac_f32_e32 v72 /*v328*/, v3, v74 /*v330*/
	s_set_vgpr_msb 1                        ;  msbs: dst=0 src0=1 src1=0 src2=0
	v_mul_f32_e32 v3, v55 /*v311*/, v8
	;; [unrolled: 7-line block ×4, first 2 shown]
	s_set_vgpr_msb 4                        ;  msbs: dst=0 src0=0 src1=1 src2=0
	ds_bpermute_b32 v10, v2, v52 /*v308*/ offset:60
	s_wait_dscnt 0x4
	s_set_vgpr_msb 64                       ;  msbs: dst=1 src0=0 src1=0 src2=0
	v_fmac_f32_e32 v72 /*v328*/, v5, v4
	s_set_vgpr_msb 1                        ;  msbs: dst=0 src0=1 src1=0 src2=0
	v_mul_f32_e32 v4, v60 /*v316*/, v11
	s_set_vgpr_msb 4                        ;  msbs: dst=0 src0=0 src1=1 src2=0
	ds_bpermute_b32 v5, v2, v52 /*v308*/ offset:40
	ds_bpermute_b32 v11, v2, v52 /*v308*/ offset:68
	s_set_vgpr_msb 64                       ;  msbs: dst=1 src0=0 src1=0 src2=0
	v_fmac_f32_e32 v72 /*v328*/, v3, v6
	s_set_vgpr_msb 1                        ;  msbs: dst=0 src0=1 src1=0 src2=0
	v_mul_f32_e32 v3, v59 /*v315*/, v12
	s_set_vgpr_msb 4                        ;  msbs: dst=0 src0=0 src1=1 src2=0
	ds_bpermute_b32 v6, v2, v52 /*v308*/ offset:44
	ds_bpermute_b32 v12, v2, v52 /*v308*/ offset:72
	s_wait_dscnt 0x7
	s_set_vgpr_msb 64                       ;  msbs: dst=1 src0=0 src1=0 src2=0
	v_fmac_f32_e32 v72 /*v328*/, v4, v7
	s_set_vgpr_msb 1                        ;  msbs: dst=0 src0=1 src1=0 src2=0
	v_mul_f32_e32 v4, v62 /*v318*/, v13
	s_set_vgpr_msb 4                        ;  msbs: dst=0 src0=0 src1=1 src2=0
	ds_bpermute_b32 v7, v2, v52 /*v308*/ offset:48
	ds_bpermute_b32 v13, v2, v52 /*v308*/ offset:76
	s_wait_dscnt 0x8
	s_set_vgpr_msb 64                       ;  msbs: dst=1 src0=0 src1=0 src2=0
	v_fmac_f32_e32 v72 /*v328*/, v3, v8
	s_set_vgpr_msb 1                        ;  msbs: dst=0 src0=1 src1=0 src2=0
	v_mul_f32_e32 v3, v61 /*v317*/, v14
	s_set_vgpr_msb 4                        ;  msbs: dst=0 src0=0 src1=1 src2=0
	ds_bpermute_b32 v8, v2, v52 /*v308*/ offset:52
	s_wait_dscnt 0x8
	s_set_vgpr_msb 64                       ;  msbs: dst=1 src0=0 src1=0 src2=0
	v_fmac_f32_e32 v72 /*v328*/, v4, v9
	s_set_vgpr_msb 1                        ;  msbs: dst=0 src0=1 src1=0 src2=0
	v_mul_f32_e32 v4, v64 /*v320*/, v15
	s_set_vgpr_msb 4                        ;  msbs: dst=0 src0=0 src1=1 src2=0
	;; [unrolled: 7-line block ×4, first 2 shown]
	ds_bpermute_b32 v6, v2, v52 /*v308*/ offset:64
	s_wait_dscnt 0x5
	s_set_vgpr_msb 64                       ;  msbs: dst=1 src0=0 src1=0 src2=0
	v_fmac_f32_e32 v72 /*v328*/, v3, v7
	s_set_vgpr_msb 1                        ;  msbs: dst=0 src0=1 src1=0 src2=0
	v_dual_mul_f32 v3, v65 /*v321*/, v18 :: v_dual_mul_f32 v7, v68 /*v324*/, v19
	s_wait_dscnt 0x3
	s_set_vgpr_msb 64                       ;  msbs: dst=1 src0=0 src1=0 src2=0
	v_fmac_f32_e32 v72 /*v328*/, v4, v8
	s_set_vgpr_msb 4                        ;  msbs: dst=0 src0=0 src1=1 src2=0
	ds_bpermute_b32 v4, v2, v52 /*v308*/ offset:80
	s_set_vgpr_msb 1                        ;  msbs: dst=0 src0=1 src1=0 src2=0
	v_mul_f32_e32 v8, v70 /*v326*/, v21
	s_wait_dscnt 0x3
	s_set_vgpr_msb 64                       ;  msbs: dst=1 src0=0 src1=0 src2=0
	v_fmac_f32_e32 v72 /*v328*/, v3, v9
	s_set_vgpr_msb 1                        ;  msbs: dst=0 src0=1 src1=0 src2=0
	v_mul_f32_e32 v3, v67 /*v323*/, v20
	s_set_vgpr_msb 64                       ;  msbs: dst=1 src0=0 src1=0 src2=0
	s_delay_alu instid0(VALU_DEP_2)
	v_fmac_f32_e32 v72 /*v328*/, v7, v10
	s_set_vgpr_msb 4                        ;  msbs: dst=0 src0=0 src1=1 src2=0
	ds_bpermute_b32 v7, v2, v52 /*v308*/ offset:92
	ds_bpermute_b32 v10, v2, v52 /*v308*/ offset:96
	s_wait_dscnt 0x3
	s_set_vgpr_msb 64                       ;  msbs: dst=1 src0=0 src1=0 src2=0
	v_fmac_f32_e32 v72 /*v328*/, v3, v6
	s_set_vgpr_msb 1                        ;  msbs: dst=0 src0=1 src1=0 src2=0
	v_mul_f32_e32 v3, v69 /*v325*/, v22
	s_set_vgpr_msb 4                        ;  msbs: dst=0 src0=0 src1=1 src2=0
	ds_bpermute_b32 v6, v2, v52 /*v308*/ offset:88
	s_set_vgpr_msb 64                       ;  msbs: dst=1 src0=0 src1=0 src2=0
	v_fmac_f32_e32 v72 /*v328*/, v8, v11
	s_set_vgpr_msb 1                        ;  msbs: dst=0 src0=1 src1=0 src2=0
	v_pk_mul_f32 v[8:9], v[38:39] /*v[294:295]*/, v[24:25]
	s_set_vgpr_msb 4                        ;  msbs: dst=0 src0=0 src1=1 src2=0
	ds_bpermute_b32 v11, v2, v52 /*v308*/ offset:100
	s_set_vgpr_msb 64                       ;  msbs: dst=1 src0=0 src1=0 src2=0
	v_fmac_f32_e32 v72 /*v328*/, v3, v12
	s_wait_dscnt 0x4
	s_set_vgpr_msb 0                        ;  msbs: dst=0 src0=0 src1=0 src2=0
	v_pk_mul_f32 v[4:5], v[8:9], v[4:5]
	s_set_vgpr_msb 1                        ;  msbs: dst=0 src0=1 src1=0 src2=0
	v_mul_f32_e32 v14, v71 /*v327*/, v23
	v_pk_mul_f32 v[8:9], v[40:41] /*v[296:297]*/, v[26:27]
	s_set_vgpr_msb 4                        ;  msbs: dst=0 src0=0 src1=1 src2=0
	ds_bpermute_b32 v12, v2, v52 /*v308*/ offset:104
	s_set_vgpr_msb 64                       ;  msbs: dst=1 src0=0 src1=0 src2=0
	v_fmac_f32_e32 v72 /*v328*/, v14, v13
	s_set_vgpr_msb 4                        ;  msbs: dst=0 src0=0 src1=1 src2=0
	ds_bpermute_b32 v13, v2, v52 /*v308*/ offset:108
	s_set_vgpr_msb 1                        ;  msbs: dst=0 src0=1 src1=0 src2=0
	v_add_f32_e32 v3, v72 /*v328*/, v4
	s_wait_dscnt 0x3
	s_set_vgpr_msb 0                        ;  msbs: dst=0 src0=0 src1=0 src2=0
	v_pk_mul_f32 v[6:7], v[8:9], v[6:7]
	s_set_vgpr_msb 4                        ;  msbs: dst=0 src0=0 src1=1 src2=0
	ds_bpermute_b32 v8, v2, v52 /*v308*/ offset:112
	ds_bpermute_b32 v9, v2, v52 /*v308*/ offset:116
	s_set_vgpr_msb 0                        ;  msbs: dst=0 src0=0 src1=0 src2=0
	v_add_f32_e32 v3, v3, v5
	s_set_vgpr_msb 1                        ;  msbs: dst=0 src0=1 src1=0 src2=0
	v_pk_mul_f32 v[4:5], v[42:43] /*v[298:299]*/, v[28:29]
	s_set_vgpr_msb 0                        ;  msbs: dst=0 src0=0 src1=0 src2=0
	s_delay_alu instid0(VALU_DEP_2) | instskip(SKIP_1) | instid1(VALU_DEP_2)
	v_add_f32_e32 v3, v3, v6
	s_wait_dscnt 0x4
	v_pk_mul_f32 v[4:5], v[4:5], v[10:11]
	s_set_vgpr_msb 1                        ;  msbs: dst=0 src0=1 src1=0 src2=0
	v_pk_mul_f32 v[10:11], v[46:47] /*v[302:303]*/, v[32:33]
	s_set_vgpr_msb 0                        ;  msbs: dst=0 src0=0 src1=0 src2=0
	v_add_f32_e32 v3, v3, v7
	s_set_vgpr_msb 1                        ;  msbs: dst=0 src0=1 src1=0 src2=0
	v_pk_mul_f32 v[6:7], v[44:45] /*v[300:301]*/, v[30:31]
	s_set_vgpr_msb 0                        ;  msbs: dst=0 src0=0 src1=0 src2=0
	s_delay_alu instid0(VALU_DEP_2)
	v_add_f32_e32 v3, v3, v4
	s_set_vgpr_msb 4                        ;  msbs: dst=0 src0=0 src1=1 src2=0
	ds_bpermute_b32 v4, v2, v52 /*v308*/ offset:120
	s_wait_dscnt 0x3
	s_set_vgpr_msb 0                        ;  msbs: dst=0 src0=0 src1=0 src2=0
	v_pk_mul_f32 v[6:7], v[6:7], v[12:13]
	s_wait_dscnt 0x1
	v_pk_mul_f32 v[8:9], v[10:11], v[8:9]
	v_add_f32_e32 v3, v3, v5
	s_set_vgpr_msb 4                        ;  msbs: dst=0 src0=0 src1=1 src2=0
	ds_bpermute_b32 v5, v2, v52 /*v308*/ offset:124
	s_set_vgpr_msb 0                        ;  msbs: dst=0 src0=0 src1=0 src2=0
	v_add_f32_e32 v3, v3, v6
	s_delay_alu instid0(VALU_DEP_1) | instskip(SKIP_3) | instid1(VALU_DEP_2)
	v_add_f32_e32 v3, v3, v7
	s_set_vgpr_msb 1                        ;  msbs: dst=0 src0=1 src1=0 src2=0
	v_pk_mul_f32 v[6:7], v[48:49] /*v[304:305]*/, v[34:35]
	s_set_vgpr_msb 0                        ;  msbs: dst=0 src0=0 src1=0 src2=0
	v_add_f32_e32 v3, v3, v8
	s_delay_alu instid0(VALU_DEP_1) | instskip(SKIP_2) | instid1(VALU_DEP_1)
	v_add_f32_e32 v3, v3, v9
	s_wait_dscnt 0x0
	v_pk_mul_f32 v[4:5], v[6:7], v[4:5]
	v_add_f32_e32 v3, v3, v4
	s_set_vgpr_msb 64                       ;  msbs: dst=1 src0=0 src1=0 src2=0
	s_delay_alu instid0(VALU_DEP_1)
	v_add_f32_e32 v38 /*v294*/, v3, v5
.LBB153_213:                            ;   in Loop: Header=BB153_145 Depth=1
	s_and_b32 vcc_lo, exec_lo, s13
	s_set_vgpr_msb 0                        ;  msbs: dst=0 src0=0 src1=0 src2=0
	s_cbranch_vccz .LBB153_217
; %bb.214:                              ;   in Loop: Header=BB153_145 Depth=1
	s_load_b32 s13, s[22:23], 0x0
	v_mov_b32_e32 v5, v2
	s_wait_kmcnt 0x0
	s_cmp_lt_u32 s12, s13
	s_cselect_b32 s18, 12, 18
	s_delay_alu instid0(SALU_CYCLE_1)
	s_add_nc_u64 s[26:27], s[22:23], s[18:19]
	s_load_u16 s13, s[26:27], 0x0
	s_wait_kmcnt 0x0
	s_set_vgpr_msb 16                       ;  msbs: dst=0 src0=0 src1=0 src2=1
	v_mad_u32_u24 v3, v1, s13, v50 /*v306*/
	s_mov_b32 s13, exec_lo
	s_delay_alu instid0(VALU_DEP_1) | instskip(SKIP_1) | instid1(VALU_DEP_1)
	v_dual_mov_b32 v3, 0 :: v_dual_bitop2_b32 v4, 31, v3 bitop3:0x40
	s_set_vgpr_msb 1                        ;  msbs: dst=0 src0=1 src1=0 src2=0
	v_add_nc_u64_e32 v[4:5], v[36:37] /*v[292:293]*/, v[4:5]
	s_delay_alu instid0(VALU_DEP_1)
	v_cmpx_gt_i64_e64 s[4:5], v[4:5]
	s_set_vgpr_msb 0                        ;  msbs: dst=0 src0=0 src1=0 src2=0
	s_cbranch_execz .LBB153_216
; %bb.215:                              ;   in Loop: Header=BB153_145 Depth=1
	v_lshl_add_u64 v[4:5], v[4:5], 2, s[14:15]
	global_load_b32 v3, v[4:5], off
.LBB153_216:                            ;   in Loop: Header=BB153_145 Depth=1
	s_wait_xcnt 0x0
	s_or_b32 exec_lo, exec_lo, s13
	v_add_nc_u64_e32 v[4:5], v[164:165], v[162:163]
	v_add_nc_u64_e32 v[6:7], v[166:167], v[162:163]
	;; [unrolled: 1-line block ×7, first 2 shown]
	s_set_vgpr_msb 64                       ;  msbs: dst=1 src0=0 src1=0 src2=0
	global_load_b32 v36 /*v292*/, v[4:5], off
	global_load_b32 v37 /*v293*/, v[6:7], off
	s_wait_xcnt 0x1
	s_set_vgpr_msb 0                        ;  msbs: dst=0 src0=0 src1=0 src2=0
	v_add_nc_u64_e32 v[4:5], v[40:41], v[162:163]
	s_wait_xcnt 0x0
	v_add_nc_u64_e32 v[6:7], v[44:45], v[162:163]
	s_set_vgpr_msb 64                       ;  msbs: dst=1 src0=0 src1=0 src2=0
	global_load_b32 v38 /*v294*/, v[8:9], off
	global_load_b32 v39 /*v295*/, v[10:11], off
	s_wait_xcnt 0x1
	s_set_vgpr_msb 0                        ;  msbs: dst=0 src0=0 src1=0 src2=0
	v_add_nc_u64_e32 v[8:9], v[42:43], v[162:163]
	s_wait_xcnt 0x0
	v_add_nc_u64_e32 v[10:11], v[46:47], v[162:163]
	v_add_nc_u64_e32 v[18:19], v[110:111], v[162:163]
	s_set_vgpr_msb 64                       ;  msbs: dst=1 src0=0 src1=0 src2=0
	global_load_b32 v40 /*v296*/, v[4:5], off
	global_load_b32 v41 /*v297*/, v[6:7], off
	s_wait_xcnt 0x1
	s_set_vgpr_msb 0                        ;  msbs: dst=0 src0=0 src1=0 src2=0
	v_add_nc_u64_e32 v[4:5], v[48:49], v[162:163]
	s_wait_xcnt 0x0
	v_add_nc_u64_e32 v[6:7], v[50:51], v[162:163]
	s_set_vgpr_msb 64                       ;  msbs: dst=1 src0=0 src1=0 src2=0
	global_load_b32 v42 /*v298*/, v[8:9], off
	global_load_b32 v43 /*v299*/, v[10:11], off
	s_wait_xcnt 0x1
	s_set_vgpr_msb 0                        ;  msbs: dst=0 src0=0 src1=0 src2=0
	v_add_nc_u64_e32 v[8:9], v[52:53], v[162:163]
	s_wait_xcnt 0x0
	;; [unrolled: 8-line block ×11, first 2 shown]
	v_add_nc_u64_e32 v[6:7], v[90:91], v[162:163]
	s_set_vgpr_msb 64                       ;  msbs: dst=1 src0=0 src1=0 src2=0
	global_load_b32 v64 /*v320*/, v[8:9], off
	global_load_b32 v65 /*v321*/, v[10:11], off
	s_wait_xcnt 0x1
	s_set_vgpr_msb 0                        ;  msbs: dst=0 src0=0 src1=0 src2=0
	v_add_nc_u64_e32 v[8:9], v[94:95], v[162:163]
	s_set_vgpr_msb 64                       ;  msbs: dst=1 src0=0 src1=0 src2=0
	global_load_b32 v66 /*v322*/, v[4:5], off
	global_load_b32 v67 /*v323*/, v[6:7], off
	s_wait_xcnt 0x2
	s_set_vgpr_msb 0                        ;  msbs: dst=0 src0=0 src1=0 src2=0
	;; [unrolled: 6-line block ×3, first 2 shown]
	v_add_nc_u64_e32 v[4:5], v[100:101], v[162:163]
	s_wait_xcnt 0x2
	v_add_nc_u64_e32 v[6:7], v[102:103], v[162:163]
	s_set_vgpr_msb 64                       ;  msbs: dst=1 src0=0 src1=0 src2=0
	global_load_b32 v70 /*v326*/, v[10:11], off
	global_load_b32 v71 /*v327*/, v[14:15], off
	;; [unrolled: 1-line block ×4, first 2 shown]
	s_wait_xcnt 0x4
	s_set_vgpr_msb 0                        ;  msbs: dst=0 src0=0 src1=0 src2=0
	v_add_nc_u64_e32 v[8:9], v[106:107], v[162:163]
	v_add_nc_u64_e32 v[12:13], v[108:109], v[162:163]
	s_wait_xcnt 0x3
	v_add_nc_u64_e32 v[10:11], v[112:113], v[162:163]
	s_wait_xcnt 0x2
	v_add_nc_u64_e32 v[14:15], v[114:115], v[162:163]
	v_add_nc_u64_e32 v[20:21], v[116:117], v[162:163]
	s_wait_xcnt 0x1
	v_add_nc_u64_e32 v[4:5], v[118:119], v[162:163]
	s_set_vgpr_msb 64                       ;  msbs: dst=1 src0=0 src1=0 src2=0
	global_load_b32 v74 /*v330*/, v[16:17], off
	global_load_b32 v75 /*v331*/, v[8:9], off
	;; [unrolled: 1-line block ×4, first 2 shown]
	s_set_vgpr_msb 0                        ;  msbs: dst=0 src0=0 src1=0 src2=0
	global_load_b32 v22, v[10:11], off
	global_load_b32 v24, v[14:15], off
	;; [unrolled: 1-line block ×4, first 2 shown]
	s_wait_xcnt 0x8
	v_add_nc_u64_e32 v[6:7], v[120:121], v[162:163]
	s_wait_xcnt 0x0
	v_add_nc_u64_e32 v[4:5], v[122:123], v[162:163]
	v_add_nc_u64_e32 v[8:9], v[124:125], v[162:163]
	;; [unrolled: 1-line block ×3, first 2 shown]
	global_load_b32 v14, v[6:7], off
	global_load_b32 v16, v[4:5], off
	;; [unrolled: 1-line block ×4, first 2 shown]
	v_add_nc_u64_e32 v[12:13], v[128:129], v[162:163]
	s_wait_xcnt 0x2
	v_add_nc_u64_e32 v[4:5], v[130:131], v[162:163]
	v_add_nc_u64_e32 v[6:7], v[132:133], v[162:163]
	s_wait_xcnt 0x1
	v_add_nc_u64_e32 v[8:9], v[134:135], v[162:163]
	s_wait_xcnt 0x0
	v_add_nc_u64_e32 v[10:11], v[136:137], v[162:163]
	global_load_b32 v18, v[12:13], off
	global_load_b32 v20, v[4:5], off
	;; [unrolled: 1-line block ×4, first 2 shown]
	s_wait_xcnt 0x2
	v_add_nc_u64_e32 v[4:5], v[138:139], v[162:163]
	s_wait_xcnt 0x1
	v_add_nc_u64_e32 v[6:7], v[140:141], v[162:163]
	;; [unrolled: 2-line block ×3, first 2 shown]
	v_add_nc_u64_e32 v[12:13], v[144:145], v[162:163]
	global_load_b32 v26, v[10:11], off
	global_load_b32 v28, v[4:5], off
	;; [unrolled: 1-line block ×4, first 2 shown]
	s_wait_xcnt 0x2
	v_add_nc_u64_e32 v[4:5], v[148:149], v[162:163]
	s_wait_xcnt 0x1
	v_add_nc_u64_e32 v[6:7], v[150:151], v[162:163]
	;; [unrolled: 2-line block ×3, first 2 shown]
	global_load_b32 v10, v[12:13], off
	global_load_b32 v30, v[4:5], off
	global_load_b32 v11, v[6:7], off
	global_load_b32 v31, v[8:9], off
	s_wait_xcnt 0x2
	v_add_nc_u64_e32 v[4:5], v[154:155], v[162:163]
	s_wait_xcnt 0x1
	v_add_nc_u64_e32 v[6:7], v[156:157], v[162:163]
	;; [unrolled: 2-line block ×3, first 2 shown]
	v_add_nc_u64_e32 v[12:13], v[160:161], v[162:163]
	global_load_b32 v32, v[4:5], off
	global_load_b32 v34, v[6:7], off
	;; [unrolled: 1-line block ×4, first 2 shown]
	s_wait_loadcnt 0x3e
	s_wait_xcnt 0x3
	ds_bpermute_b32 v4, v2, v3
	ds_bpermute_b32 v5, v2, v3 offset:4
	s_wait_xcnt 0x2
	ds_bpermute_b32 v6, v2, v3 offset:8
	ds_bpermute_b32 v7, v2, v3 offset:12
	s_wait_xcnt 0x1
	ds_bpermute_b32 v9, v2, v3 offset:16
	s_wait_xcnt 0x0
	ds_bpermute_b32 v13, v2, v3 offset:68
	s_set_vgpr_msb 5                        ;  msbs: dst=0 src0=1 src1=1 src2=0
	v_mul_f32_e32 v8, v36 /*v292*/, v37 /*v293*/
	s_set_vgpr_msb 64                       ;  msbs: dst=1 src0=0 src1=0 src2=0
	ds_bpermute_b32 v36 /*v292*/, v2, v3 offset:72
	ds_bpermute_b32 v37 /*v293*/, v2, v3 offset:76
	s_wait_loadcnt 0x3c
	s_set_vgpr_msb 5                        ;  msbs: dst=0 src0=1 src1=1 src2=0
	v_mul_f32_e32 v12, v38 /*v294*/, v39 /*v295*/
	s_wait_dscnt 0x7
	s_set_vgpr_msb 64                       ;  msbs: dst=1 src0=0 src1=0 src2=0
	v_fmac_f32_e32 v51 /*v307*/, v8, v4
	s_set_vgpr_msb 0                        ;  msbs: dst=0 src0=0 src1=0 src2=0
	ds_bpermute_b32 v4, v2, v3 offset:20
	s_wait_loadcnt 0x3a
	s_set_vgpr_msb 5                        ;  msbs: dst=0 src0=1 src1=1 src2=0
	v_mul_f32_e32 v8, v40 /*v296*/, v41 /*v297*/
	s_wait_dscnt 0x7
	s_set_vgpr_msb 64                       ;  msbs: dst=1 src0=0 src1=0 src2=0
	v_fmac_f32_e32 v51 /*v307*/, v12, v5
	s_set_vgpr_msb 0                        ;  msbs: dst=0 src0=0 src1=0 src2=0
	ds_bpermute_b32 v5, v2, v3 offset:24
	;; [unrolled: 8-line block ×12, first 2 shown]
	s_wait_loadcnt 0x24
	s_set_vgpr_msb 5                        ;  msbs: dst=0 src0=1 src1=1 src2=0
	v_mul_f32_e32 v5, v64 /*v320*/, v65 /*v321*/
	s_wait_dscnt 0x4
	s_set_vgpr_msb 64                       ;  msbs: dst=1 src0=0 src1=0 src2=0
	v_fmac_f32_e32 v51 /*v307*/, v4, v6
	s_wait_loadcnt 0x20
	s_set_vgpr_msb 5                        ;  msbs: dst=0 src0=1 src1=1 src2=0
	v_dual_mul_f32 v4, v66 /*v322*/, v67 /*v323*/ :: v_dual_mul_f32 v6, v68 /*v324*/, v69 /*v325*/
	s_wait_loadcnt 0x18
	s_set_vgpr_msb 0x45                     ;  msbs: dst=1 src0=1 src1=1 src2=0
	v_mul_f32_e32 v38 /*v294*/, v76 /*v332*/, v77 /*v333*/
	s_wait_dscnt 0x3
	s_set_vgpr_msb 64                       ;  msbs: dst=1 src0=0 src1=0 src2=0
	v_fmac_f32_e32 v51 /*v307*/, v5, v7
	s_set_vgpr_msb 0                        ;  msbs: dst=0 src0=0 src1=0 src2=0
	ds_bpermute_b32 v5, v2, v3 offset:84
	s_set_vgpr_msb 5                        ;  msbs: dst=0 src0=1 src1=1 src2=0
	v_mul_f32_e32 v7, v70 /*v326*/, v71 /*v327*/
	s_wait_dscnt 0x3
	s_set_vgpr_msb 64                       ;  msbs: dst=1 src0=0 src1=0 src2=0
	v_fmac_f32_e32 v51 /*v307*/, v4, v8
	s_set_vgpr_msb 0                        ;  msbs: dst=0 src0=0 src1=0 src2=0
	ds_bpermute_b32 v4, v2, v3 offset:80
	s_set_vgpr_msb 5                        ;  msbs: dst=0 src0=1 src1=1 src2=0
	v_mul_f32_e32 v8, v72 /*v328*/, v73 /*v329*/
	s_wait_dscnt 0x3
	s_set_vgpr_msb 64                       ;  msbs: dst=1 src0=0 src1=0 src2=0
	v_fmac_f32_e32 v51 /*v307*/, v6, v9
	s_set_vgpr_msb 0                        ;  msbs: dst=0 src0=0 src1=0 src2=0
	ds_bpermute_b32 v6, v2, v3 offset:88
	s_wait_dscnt 0x3
	s_set_vgpr_msb 64                       ;  msbs: dst=1 src0=0 src1=0 src2=0
	v_fmac_f32_e32 v51 /*v307*/, v7, v12
	s_set_vgpr_msb 0                        ;  msbs: dst=0 src0=0 src1=0 src2=0
	ds_bpermute_b32 v7, v2, v3 offset:92
	s_set_vgpr_msb 5                        ;  msbs: dst=0 src0=1 src1=1 src2=0
	v_mul_f32_e32 v12, v74 /*v330*/, v75 /*v331*/
	s_set_vgpr_msb 64                       ;  msbs: dst=1 src0=0 src1=0 src2=0
	v_fmac_f32_e32 v51 /*v307*/, v8, v13
	s_wait_loadcnt 0x14
	s_set_vgpr_msb 0                        ;  msbs: dst=0 src0=0 src1=0 src2=0
	v_pk_mul_f32 v[8:9], v[22:23], v[24:25]
	ds_bpermute_b32 v13, v2, v3 offset:100
	s_set_vgpr_msb 0x44                     ;  msbs: dst=1 src0=0 src1=1 src2=0
	v_fmac_f32_e32 v51 /*v307*/, v12, v36 /*v292*/
	s_wait_dscnt 0x3
	s_set_vgpr_msb 0                        ;  msbs: dst=0 src0=0 src1=0 src2=0
	v_pk_mul_f32 v[4:5], v[8:9], v[4:5]
	s_wait_loadcnt 0x10
	v_pk_mul_f32 v[8:9], v[14:15], v[16:17]
	ds_bpermute_b32 v12, v2, v3 offset:96
	ds_bpermute_b32 v14, v2, v3 offset:104
	s_set_vgpr_msb 0x45                     ;  msbs: dst=1 src0=1 src1=1 src2=0
	v_fmac_f32_e32 v51 /*v307*/, v38 /*v294*/, v37 /*v293*/
	s_set_vgpr_msb 0                        ;  msbs: dst=0 src0=0 src1=0 src2=0
	ds_bpermute_b32 v15, v2, v3 offset:108
	s_wait_loadcnt 0x4
	v_pk_mul_f32 v[10:11], v[10:11], v[30:31]
	s_set_vgpr_msb 1                        ;  msbs: dst=0 src0=1 src1=0 src2=0
	v_add_f32_e32 v4, v51 /*v307*/, v4
	s_wait_dscnt 0x4
	s_set_vgpr_msb 0                        ;  msbs: dst=0 src0=0 src1=0 src2=0
	v_pk_mul_f32 v[6:7], v[8:9], v[6:7]
	ds_bpermute_b32 v9, v2, v3 offset:116
	v_add_f32_e32 v8, v4, v5
	v_pk_mul_f32 v[4:5], v[18:19], v[20:21]
	s_delay_alu instid0(VALU_DEP_2)
	v_add_f32_e32 v6, v8, v6
	ds_bpermute_b32 v8, v2, v3 offset:112
	s_wait_dscnt 0x4
	v_pk_mul_f32 v[4:5], v[4:5], v[12:13]
	v_add_f32_e32 v12, v6, v7
	v_pk_mul_f32 v[6:7], v[26:27], v[28:29]
	s_wait_dscnt 0x2
	s_delay_alu instid0(VALU_DEP_1)
	v_pk_mul_f32 v[6:7], v[6:7], v[14:15]
	s_wait_dscnt 0x0
	v_pk_mul_f32 v[8:9], v[10:11], v[8:9]
	v_add_f32_e32 v12, v12, v4
	ds_bpermute_b32 v4, v2, v3 offset:120
	v_add_f32_e32 v12, v12, v5
	ds_bpermute_b32 v5, v2, v3 offset:124
	v_add_f32_e32 v3, v12, v6
	s_delay_alu instid0(VALU_DEP_1) | instskip(SKIP_2) | instid1(VALU_DEP_2)
	v_add_f32_e32 v3, v3, v7
	s_wait_loadcnt 0x0
	v_pk_mul_f32 v[6:7], v[32:33], v[34:35]
	v_add_f32_e32 v3, v3, v8
	s_delay_alu instid0(VALU_DEP_1) | instskip(SKIP_1) | instid1(VALU_DEP_3)
	v_add_f32_e32 v3, v3, v9
	s_wait_dscnt 0x0
	v_pk_mul_f32 v[4:5], v[6:7], v[4:5]
	s_delay_alu instid0(VALU_DEP_1) | instskip(SKIP_1) | instid1(VALU_DEP_1)
	v_add_f32_e32 v3, v3, v4
	s_set_vgpr_msb 64                       ;  msbs: dst=1 src0=0 src1=0 src2=0
	v_add_f32_e32 v38 /*v294*/, v3, v5
.LBB153_217:                            ;   in Loop: Header=BB153_145 Depth=1
	s_add_nc_u64 s[24:25], s[24:25], s[20:21]
	s_set_vgpr_msb 0                        ;  msbs: dst=0 src0=0 src1=0 src2=0
	v_add_nc_u64_e32 v[164:165], s[8:9], v[164:165]
	v_cmp_ge_i64_e64 s13, s[24:25], s[4:5]
	v_add_nc_u64_e32 v[166:167], s[8:9], v[166:167]
	v_add_nc_u64_e32 v[36:37], s[8:9], v[36:37]
	;; [unrolled: 1-line block ×108, first 2 shown]
	s_set_vgpr_msb 0x44                     ;  msbs: dst=1 src0=0 src1=1 src2=0
	v_add_nc_u64_e32 v[0:1] /*v[256:257]*/, s[8:9], v[0:1] /*v[256:257]*/
	v_add_nc_u64_e32 v[2:3] /*v[258:259]*/, s[8:9], v[2:3] /*v[258:259]*/
	;; [unrolled: 1-line block ×18, first 2 shown]
	s_and_b32 vcc_lo, exec_lo, s13
	s_add_nc_u64 s[10:11], s[10:11], s[20:21]
	s_set_vgpr_msb 0                        ;  msbs: dst=0 src0=0 src1=0 src2=0
	s_cbranch_vccnz .LBB153_219
; %bb.218:                              ;   in Loop: Header=BB153_145 Depth=1
	s_set_vgpr_msb 0x41                     ;  msbs: dst=1 src0=1 src1=0 src2=0
	v_mov_b32_e32 v51 /*v307*/, v38 /*v294*/
	s_set_vgpr_msb 0                        ;  msbs: dst=0 src0=0 src1=0 src2=0
	s_branch .LBB153_145
.LBB153_219:
	s_mov_b32 s13, 0
	s_delay_alu instid0(SALU_CYCLE_1)
	s_lshl_b64 s[4:5], s[12:13], 5
	s_wait_kmcnt 0x0
	s_cmp_lg_u64 s[2:3], 0
	v_and_or_b32 v2, 0x3ff, v0, s4
	v_mov_b32_e32 v3, s5
	s_cselect_b32 s4, -1, 0
	s_delay_alu instid0(VALU_DEP_1) | instskip(SKIP_1) | instid1(SALU_CYCLE_1)
	v_cmp_gt_i64_e32 vcc_lo, s[6:7], v[2:3]
	s_and_b32 s4, vcc_lo, s4
	s_and_saveexec_b32 s5, s4
	s_cbranch_execz .LBB153_221
; %bb.220:
	s_load_u16 s0, s[0:1], 0x4e
	v_bfe_u32 v0, v0, 10, 10
	v_mov_b32_e32 v1, 0
	s_wait_kmcnt 0x0
	s_delay_alu instid0(VALU_DEP_1) | instskip(NEXT) | instid1(VALU_DEP_1)
	v_mad_nc_u64_u32 v[0:1], s0, s30, v[0:1]
	v_mul_u64_e32 v[0:1], s[6:7], v[0:1]
	s_delay_alu instid0(VALU_DEP_1) | instskip(NEXT) | instid1(VALU_DEP_1)
	v_lshl_add_u64 v[0:1], v[0:1], 2, s[2:3]
	v_lshl_add_u64 v[0:1], v[2:3], 2, v[0:1]
	s_set_vgpr_msb 4                        ;  msbs: dst=0 src0=0 src1=1 src2=0
	global_store_b32 v[0:1], v38 /*v294*/, off
.LBB153_221:
	s_sendmsg sendmsg(MSG_DEALLOC_VGPRS)
	s_endpgm
	.section	.rodata,"a",@progbits
	.p2align	6, 0x0
	.amdhsa_kernel _ZN2at6native12_GLOBAL__N_135GammaBetaBackwardCUDAKernelTemplateIffLj32ELj1ELj32ELb1ELb0ELb1EEEvllPKT_S5_PKT0_S8_PS3_S9_
		.amdhsa_group_segment_fixed_size 0
		.amdhsa_private_segment_fixed_size 0
		.amdhsa_kernarg_size 320
		.amdhsa_user_sgpr_count 2
		.amdhsa_user_sgpr_dispatch_ptr 0
		.amdhsa_user_sgpr_queue_ptr 0
		.amdhsa_user_sgpr_kernarg_segment_ptr 1
		.amdhsa_user_sgpr_dispatch_id 0
		.amdhsa_user_sgpr_kernarg_preload_length 0
		.amdhsa_user_sgpr_kernarg_preload_offset 0
		.amdhsa_user_sgpr_private_segment_size 0
		.amdhsa_wavefront_size32 1
		.amdhsa_uses_dynamic_stack 0
		.amdhsa_enable_private_segment 0
		.amdhsa_system_sgpr_workgroup_id_x 1
		.amdhsa_system_sgpr_workgroup_id_y 1
		.amdhsa_system_sgpr_workgroup_id_z 0
		.amdhsa_system_sgpr_workgroup_info 0
		.amdhsa_system_vgpr_workitem_id 1
		.amdhsa_next_free_vgpr 334
		.amdhsa_next_free_sgpr 36
		.amdhsa_named_barrier_count 0
		.amdhsa_reserve_vcc 1
		.amdhsa_float_round_mode_32 0
		.amdhsa_float_round_mode_16_64 0
		.amdhsa_float_denorm_mode_32 3
		.amdhsa_float_denorm_mode_16_64 3
		.amdhsa_fp16_overflow 0
		.amdhsa_memory_ordered 1
		.amdhsa_forward_progress 1
		.amdhsa_inst_pref_size 138
		.amdhsa_round_robin_scheduling 0
		.amdhsa_exception_fp_ieee_invalid_op 0
		.amdhsa_exception_fp_denorm_src 0
		.amdhsa_exception_fp_ieee_div_zero 0
		.amdhsa_exception_fp_ieee_overflow 0
		.amdhsa_exception_fp_ieee_underflow 0
		.amdhsa_exception_fp_ieee_inexact 0
		.amdhsa_exception_int_div_zero 0
	.end_amdhsa_kernel
	.section	.text._ZN2at6native12_GLOBAL__N_135GammaBetaBackwardCUDAKernelTemplateIffLj32ELj1ELj32ELb1ELb0ELb1EEEvllPKT_S5_PKT0_S8_PS3_S9_,"axG",@progbits,_ZN2at6native12_GLOBAL__N_135GammaBetaBackwardCUDAKernelTemplateIffLj32ELj1ELj32ELb1ELb0ELb1EEEvllPKT_S5_PKT0_S8_PS3_S9_,comdat
.Lfunc_end153:
	.size	_ZN2at6native12_GLOBAL__N_135GammaBetaBackwardCUDAKernelTemplateIffLj32ELj1ELj32ELb1ELb0ELb1EEEvllPKT_S5_PKT0_S8_PS3_S9_, .Lfunc_end153-_ZN2at6native12_GLOBAL__N_135GammaBetaBackwardCUDAKernelTemplateIffLj32ELj1ELj32ELb1ELb0ELb1EEEvllPKT_S5_PKT0_S8_PS3_S9_
                                        ; -- End function
	.set _ZN2at6native12_GLOBAL__N_135GammaBetaBackwardCUDAKernelTemplateIffLj32ELj1ELj32ELb1ELb0ELb1EEEvllPKT_S5_PKT0_S8_PS3_S9_.num_vgpr, 334
	.set _ZN2at6native12_GLOBAL__N_135GammaBetaBackwardCUDAKernelTemplateIffLj32ELj1ELj32ELb1ELb0ELb1EEEvllPKT_S5_PKT0_S8_PS3_S9_.num_agpr, 0
	.set _ZN2at6native12_GLOBAL__N_135GammaBetaBackwardCUDAKernelTemplateIffLj32ELj1ELj32ELb1ELb0ELb1EEEvllPKT_S5_PKT0_S8_PS3_S9_.numbered_sgpr, 36
	.set _ZN2at6native12_GLOBAL__N_135GammaBetaBackwardCUDAKernelTemplateIffLj32ELj1ELj32ELb1ELb0ELb1EEEvllPKT_S5_PKT0_S8_PS3_S9_.num_named_barrier, 0
	.set _ZN2at6native12_GLOBAL__N_135GammaBetaBackwardCUDAKernelTemplateIffLj32ELj1ELj32ELb1ELb0ELb1EEEvllPKT_S5_PKT0_S8_PS3_S9_.private_seg_size, 0
	.set _ZN2at6native12_GLOBAL__N_135GammaBetaBackwardCUDAKernelTemplateIffLj32ELj1ELj32ELb1ELb0ELb1EEEvllPKT_S5_PKT0_S8_PS3_S9_.uses_vcc, 1
	.set _ZN2at6native12_GLOBAL__N_135GammaBetaBackwardCUDAKernelTemplateIffLj32ELj1ELj32ELb1ELb0ELb1EEEvllPKT_S5_PKT0_S8_PS3_S9_.uses_flat_scratch, 0
	.set _ZN2at6native12_GLOBAL__N_135GammaBetaBackwardCUDAKernelTemplateIffLj32ELj1ELj32ELb1ELb0ELb1EEEvllPKT_S5_PKT0_S8_PS3_S9_.has_dyn_sized_stack, 0
	.set _ZN2at6native12_GLOBAL__N_135GammaBetaBackwardCUDAKernelTemplateIffLj32ELj1ELj32ELb1ELb0ELb1EEEvllPKT_S5_PKT0_S8_PS3_S9_.has_recursion, 0
	.set _ZN2at6native12_GLOBAL__N_135GammaBetaBackwardCUDAKernelTemplateIffLj32ELj1ELj32ELb1ELb0ELb1EEEvllPKT_S5_PKT0_S8_PS3_S9_.has_indirect_call, 0
	.section	.AMDGPU.csdata,"",@progbits
; Kernel info:
; codeLenInByte = 17552
; TotalNumSgprs: 38
; NumVgprs: 334
; ScratchSize: 0
; MemoryBound: 0
; FloatMode: 240
; IeeeMode: 1
; LDSByteSize: 0 bytes/workgroup (compile time only)
; SGPRBlocks: 0
; VGPRBlocks: 20
; NumSGPRsForWavesPerEU: 38
; NumVGPRsForWavesPerEU: 334
; NamedBarCnt: 0
; Occupancy: 3
; WaveLimiterHint : 0
; COMPUTE_PGM_RSRC2:SCRATCH_EN: 0
; COMPUTE_PGM_RSRC2:USER_SGPR: 2
; COMPUTE_PGM_RSRC2:TRAP_HANDLER: 0
; COMPUTE_PGM_RSRC2:TGID_X_EN: 1
; COMPUTE_PGM_RSRC2:TGID_Y_EN: 1
; COMPUTE_PGM_RSRC2:TGID_Z_EN: 0
; COMPUTE_PGM_RSRC2:TIDIG_COMP_CNT: 1
	.section	.text._ZN2at6native12_GLOBAL__N_135GammaBetaBackwardCUDAKernelTemplateIffLj32ELj1ELj8ELb1ELb1ELb1EEEvllPKT_S5_PKT0_S8_PS3_S9_,"axG",@progbits,_ZN2at6native12_GLOBAL__N_135GammaBetaBackwardCUDAKernelTemplateIffLj32ELj1ELj8ELb1ELb1ELb1EEEvllPKT_S5_PKT0_S8_PS3_S9_,comdat
	.globl	_ZN2at6native12_GLOBAL__N_135GammaBetaBackwardCUDAKernelTemplateIffLj32ELj1ELj8ELb1ELb1ELb1EEEvllPKT_S5_PKT0_S8_PS3_S9_ ; -- Begin function _ZN2at6native12_GLOBAL__N_135GammaBetaBackwardCUDAKernelTemplateIffLj32ELj1ELj8ELb1ELb1ELb1EEEvllPKT_S5_PKT0_S8_PS3_S9_
	.p2align	8
	.type	_ZN2at6native12_GLOBAL__N_135GammaBetaBackwardCUDAKernelTemplateIffLj32ELj1ELj8ELb1ELb1ELb1EEEvllPKT_S5_PKT0_S8_PS3_S9_,@function
_ZN2at6native12_GLOBAL__N_135GammaBetaBackwardCUDAKernelTemplateIffLj32ELj1ELj8ELb1ELb1ELb1EEEvllPKT_S5_PKT0_S8_PS3_S9_: ; @_ZN2at6native12_GLOBAL__N_135GammaBetaBackwardCUDAKernelTemplateIffLj32ELj1ELj8ELb1ELb1ELb1EEEvllPKT_S5_PKT0_S8_PS3_S9_
; %bb.0:
	s_load_b128 s[4:7], s[0:1], 0x0
	s_bfe_u32 s2, ttmp6, 0x40010
	s_bfe_u32 s3, ttmp6, 0x40004
	s_add_co_i32 s2, s2, 1
	s_getreg_b32 s22, hwreg(HW_REG_IB_STS2, 6, 4)
	s_mul_i32 s2, ttmp7, s2
	s_mov_b32 s13, 0
	s_add_co_i32 s3, s3, s2
	s_cmp_eq_u32 s22, 0
	v_mov_b32_e32 v16, 0
	s_cselect_b32 s23, ttmp7, s3
	v_bfe_u32 v2, v0, 10, 10
	s_lshl_b32 s12, s23, 3
	v_and_b32_e32 v10, 0x3ff, v0
	s_wait_kmcnt 0x0
	v_cmp_le_i64_e64 s2, s[4:5], s[12:13]
	s_and_b32 vcc_lo, exec_lo, s2
	s_cbranch_vccnz .LBB154_7
; %bb.1:
	v_dual_mov_b32 v1, 0 :: v_dual_lshlrev_b32 v0, 3, v2
	s_load_b32 s2, s[0:1], 0x4c
	s_bfe_u32 s15, ttmp6, 0x4000c
	s_clause 0x2
	s_load_b32 s3, s[0:1], 0x44
	s_load_b128 s[8:11], s[0:1], 0x10
	s_load_b64 s[16:17], s[0:1], 0x28
	s_add_co_i32 s15, s15, 1
	v_add_nc_u64_e32 v[4:5], s[12:13], v[0:1]
	s_and_b32 s14, ttmp6, 15
	s_mul_i32 s15, ttmp9, s15
	v_dual_mov_b32 v11, 12 :: v_dual_mov_b32 v7, v1
	s_add_co_i32 s14, s14, s15
	s_mov_b32 s15, s13
	s_delay_alu instid0(VALU_DEP_2)
	v_mul_u64_e32 v[8:9], s[6:7], v[4:5]
	v_dual_mov_b32 v0, 8 :: v_dual_mov_b32 v3, 4
	v_dual_mov_b32 v12, 16 :: v_dual_mov_b32 v13, 20
	v_dual_mov_b32 v14, 24 :: v_dual_mov_b32 v15, 28
	s_wait_kmcnt 0x0
	s_and_b32 s2, s2, 0xffff
	s_cmp_eq_u32 s22, 0
	v_mad_u32_u24 v6, v2, s2, v10
	s_cselect_b32 s2, ttmp9, s14
	v_mov_b32_e32 v17, v1
	v_lshl_or_b32 v16, s2, 5, v10
	s_lshl_b32 s14, s3, 3
	v_and_b32_e32 v6, 31, v6
	s_mul_u64 s[18:19], s[6:7], s[14:15]
	s_lshl_b64 s[20:21], s[6:7], 2
	v_lshlrev_b64_e32 v[16:17], 2, v[16:17]
	s_lshl_b64 s[18:19], s[18:19], 2
	v_add_nc_u64_e32 v[4:5], v[4:5], v[6:7]
	v_cmp_gt_u32_e64 s2, 8, v6
	s_delay_alu instid0(VALU_DEP_2)
	v_lshl_add_u64 v[6:7], v[4:5], 2, s[16:17]
	s_lshl_b64 s[16:17], s[14:15], 2
	v_lshl_add_u64 v[8:9], v[8:9], 2, v[16:17]
	v_mov_b32_e32 v16, 0
	s_branch .LBB154_4
.LBB154_2:                              ;   in Loop: Header=BB154_4 Depth=1
	s_wait_xcnt 0x0
	s_or_b32 exec_lo, exec_lo, s24
.LBB154_3:                              ;   in Loop: Header=BB154_4 Depth=1
	s_delay_alu instid0(SALU_CYCLE_1)
	s_or_b32 exec_lo, exec_lo, s3
	v_add_nc_u64_e32 v[18:19], s[8:9], v[8:9]
	v_add_nc_u64_e32 v[20:21], s[10:11], v[8:9]
	s_add_nc_u64 s[12:13], s[12:13], s[14:15]
	v_add_nc_u64_e32 v[6:7], s[16:17], v[6:7]
	v_cmp_lt_i64_e64 s3, s[12:13], s[4:5]
	v_add_nc_u64_e32 v[4:5], s[14:15], v[4:5]
	v_add_nc_u64_e32 v[8:9], s[18:19], v[8:9]
	v_add_nc_u64_e32 v[22:23], s[20:21], v[18:19]
	v_add_nc_u64_e32 v[24:25], s[20:21], v[20:21]
	global_load_b32 v30, v[18:19], off
	global_load_b32 v32, v[20:21], off
	global_load_b32 v31, v[22:23], off
	global_load_b32 v33, v[24:25], off
	v_add_nc_u64_e32 v[26:27], s[20:21], v[22:23]
	v_add_nc_u64_e32 v[28:29], s[20:21], v[24:25]
	s_and_b32 vcc_lo, exec_lo, s3
	s_wait_xcnt 0x3
	s_delay_alu instid0(VALU_DEP_2) | instskip(SKIP_1) | instid1(VALU_DEP_2)
	v_add_nc_u64_e32 v[18:19], s[20:21], v[26:27]
	s_wait_xcnt 0x2
	v_add_nc_u64_e32 v[20:21], s[20:21], v[28:29]
	global_load_b32 v34, v[26:27], off
	global_load_b32 v36, v[28:29], off
	;; [unrolled: 1-line block ×4, first 2 shown]
	s_wait_xcnt 0x5
	v_add_nc_u64_e32 v[22:23], s[20:21], v[18:19]
	s_wait_xcnt 0x4
	v_add_nc_u64_e32 v[24:25], s[20:21], v[20:21]
	s_wait_xcnt 0x1
	s_delay_alu instid0(VALU_DEP_2) | instskip(SKIP_1) | instid1(VALU_DEP_2)
	v_add_nc_u64_e32 v[18:19], s[20:21], v[22:23]
	s_wait_xcnt 0x0
	v_add_nc_u64_e32 v[20:21], s[20:21], v[24:25]
	global_load_b32 v22, v[22:23], off
	global_load_b32 v38, v[24:25], off
	;; [unrolled: 1-line block ×4, first 2 shown]
	v_add_nc_u64_e32 v[26:27], s[20:21], v[18:19]
	v_add_nc_u64_e32 v[28:29], s[20:21], v[20:21]
	s_wait_xcnt 0x1
	s_delay_alu instid0(VALU_DEP_2) | instskip(SKIP_1) | instid1(VALU_DEP_2)
	v_add_nc_u64_e32 v[18:19], s[20:21], v[26:27]
	s_wait_xcnt 0x0
	v_add_nc_u64_e32 v[20:21], s[20:21], v[28:29]
	global_load_b32 v24, v[26:27], off
	global_load_b32 v40, v[28:29], off
	;; [unrolled: 1-line block ×4, first 2 shown]
	s_wait_loadcnt 0x10
	s_wait_xcnt 0x1
	ds_bpermute_b32 v18, v1, v17
	ds_bpermute_b32 v19, v3, v17
	s_wait_xcnt 0x0
	ds_bpermute_b32 v20, v0, v17
	ds_bpermute_b32 v21, v11, v17
	s_wait_loadcnt 0xc
	v_pk_mul_f32 v[26:27], v[30:31], v[32:33]
	s_wait_dscnt 0x2
	s_delay_alu instid0(VALU_DEP_1)
	v_pk_mul_f32 v[18:19], v[26:27], v[18:19]
	ds_bpermute_b32 v26, v12, v17
	ds_bpermute_b32 v27, v13, v17
	v_add_f32_e32 v16, v16, v18
	s_wait_loadcnt 0x8
	v_pk_mul_f32 v[28:29], v[34:35], v[36:37]
	s_delay_alu instid0(VALU_DEP_2) | instskip(SKIP_4) | instid1(VALU_DEP_1)
	v_add_f32_e32 v30, v16, v19
	ds_bpermute_b32 v16, v14, v17
	ds_bpermute_b32 v17, v15, v17
	s_wait_dscnt 0x4
	v_pk_mul_f32 v[18:19], v[28:29], v[20:21]
	v_add_f32_e32 v18, v30, v18
	s_wait_loadcnt 0x4
	v_pk_mul_f32 v[20:21], v[22:23], v[38:39]
	s_delay_alu instid0(VALU_DEP_2) | instskip(SKIP_1) | instid1(VALU_DEP_2)
	v_add_f32_e32 v22, v18, v19
	s_wait_dscnt 0x2
	v_pk_mul_f32 v[18:19], v[20:21], v[26:27]
	s_wait_loadcnt 0x0
	v_pk_mul_f32 v[20:21], v[24:25], v[40:41]
	s_wait_dscnt 0x0
	s_delay_alu instid0(VALU_DEP_1) | instskip(SKIP_1) | instid1(VALU_DEP_1)
	v_pk_mul_f32 v[16:17], v[20:21], v[16:17]
	v_add_f32_e32 v18, v22, v18
	v_add_f32_e32 v18, v18, v19
	s_delay_alu instid0(VALU_DEP_1) | instskip(NEXT) | instid1(VALU_DEP_1)
	v_add_f32_e32 v16, v18, v16
	v_add_f32_e32 v16, v16, v17
	s_cbranch_vccz .LBB154_7
.LBB154_4:                              ; =>This Inner Loop Header: Depth=1
	v_mov_b32_e32 v17, 0
	s_and_saveexec_b32 s3, s2
	s_cbranch_execz .LBB154_3
; %bb.5:                                ;   in Loop: Header=BB154_4 Depth=1
	v_mov_b32_e32 v17, 0
	s_mov_b32 s24, exec_lo
	v_cmpx_gt_i64_e64 s[4:5], v[4:5]
	s_cbranch_execz .LBB154_2
; %bb.6:                                ;   in Loop: Header=BB154_4 Depth=1
	global_load_b32 v17, v[6:7], off
	s_branch .LBB154_2
.LBB154_7:
	s_load_b64 s[2:3], s[0:1], 0x30
	s_wait_kmcnt 0x0
	s_cmp_eq_u64 s[2:3], 0
	s_cbranch_scc1 .LBB154_9
; %bb.8:
	s_load_u16 s0, s[0:1], 0x4e
	v_mov_b32_e32 v3, 0
	s_and_b32 s4, ttmp6, 15
	s_wait_xcnt 0x0
	s_mov_b32 s1, 0
	s_wait_kmcnt 0x0
	v_mad_nc_u64_u32 v[0:1], s0, s23, v[2:3]
	s_bfe_u32 s0, ttmp6, 0x4000c
	v_lshlrev_b32_e32 v2, 2, v10
	s_add_co_i32 s0, s0, 1
	s_delay_alu instid0(SALU_CYCLE_1) | instskip(NEXT) | instid1(SALU_CYCLE_1)
	s_mul_i32 s0, ttmp9, s0
	s_add_co_i32 s4, s4, s0
	s_cmp_eq_u32 s22, 0
	s_cselect_b32 s0, ttmp9, s4
	s_delay_alu instid0(VALU_DEP_2) | instskip(SKIP_1) | instid1(VALU_DEP_1)
	v_mul_u64_e32 v[0:1], s[6:7], v[0:1]
	s_lshl_b64 s[0:1], s[0:1], 7
	v_lshl_add_u64 v[0:1], v[0:1], 2, s[2:3]
	s_delay_alu instid0(VALU_DEP_1) | instskip(NEXT) | instid1(VALU_DEP_1)
	v_add_nc_u64_e32 v[0:1], s[0:1], v[0:1]
	v_add_nc_u64_e32 v[0:1], v[0:1], v[2:3]
	global_store_b32 v[0:1], v16, off
.LBB154_9:
	s_endpgm
	.section	.rodata,"a",@progbits
	.p2align	6, 0x0
	.amdhsa_kernel _ZN2at6native12_GLOBAL__N_135GammaBetaBackwardCUDAKernelTemplateIffLj32ELj1ELj8ELb1ELb1ELb1EEEvllPKT_S5_PKT0_S8_PS3_S9_
		.amdhsa_group_segment_fixed_size 0
		.amdhsa_private_segment_fixed_size 0
		.amdhsa_kernarg_size 320
		.amdhsa_user_sgpr_count 2
		.amdhsa_user_sgpr_dispatch_ptr 0
		.amdhsa_user_sgpr_queue_ptr 0
		.amdhsa_user_sgpr_kernarg_segment_ptr 1
		.amdhsa_user_sgpr_dispatch_id 0
		.amdhsa_user_sgpr_kernarg_preload_length 0
		.amdhsa_user_sgpr_kernarg_preload_offset 0
		.amdhsa_user_sgpr_private_segment_size 0
		.amdhsa_wavefront_size32 1
		.amdhsa_uses_dynamic_stack 0
		.amdhsa_enable_private_segment 0
		.amdhsa_system_sgpr_workgroup_id_x 1
		.amdhsa_system_sgpr_workgroup_id_y 1
		.amdhsa_system_sgpr_workgroup_id_z 0
		.amdhsa_system_sgpr_workgroup_info 0
		.amdhsa_system_vgpr_workitem_id 1
		.amdhsa_next_free_vgpr 42
		.amdhsa_next_free_sgpr 25
		.amdhsa_named_barrier_count 0
		.amdhsa_reserve_vcc 1
		.amdhsa_float_round_mode_32 0
		.amdhsa_float_round_mode_16_64 0
		.amdhsa_float_denorm_mode_32 3
		.amdhsa_float_denorm_mode_16_64 3
		.amdhsa_fp16_overflow 0
		.amdhsa_memory_ordered 1
		.amdhsa_forward_progress 1
		.amdhsa_inst_pref_size 9
		.amdhsa_round_robin_scheduling 0
		.amdhsa_exception_fp_ieee_invalid_op 0
		.amdhsa_exception_fp_denorm_src 0
		.amdhsa_exception_fp_ieee_div_zero 0
		.amdhsa_exception_fp_ieee_overflow 0
		.amdhsa_exception_fp_ieee_underflow 0
		.amdhsa_exception_fp_ieee_inexact 0
		.amdhsa_exception_int_div_zero 0
	.end_amdhsa_kernel
	.section	.text._ZN2at6native12_GLOBAL__N_135GammaBetaBackwardCUDAKernelTemplateIffLj32ELj1ELj8ELb1ELb1ELb1EEEvllPKT_S5_PKT0_S8_PS3_S9_,"axG",@progbits,_ZN2at6native12_GLOBAL__N_135GammaBetaBackwardCUDAKernelTemplateIffLj32ELj1ELj8ELb1ELb1ELb1EEEvllPKT_S5_PKT0_S8_PS3_S9_,comdat
.Lfunc_end154:
	.size	_ZN2at6native12_GLOBAL__N_135GammaBetaBackwardCUDAKernelTemplateIffLj32ELj1ELj8ELb1ELb1ELb1EEEvllPKT_S5_PKT0_S8_PS3_S9_, .Lfunc_end154-_ZN2at6native12_GLOBAL__N_135GammaBetaBackwardCUDAKernelTemplateIffLj32ELj1ELj8ELb1ELb1ELb1EEEvllPKT_S5_PKT0_S8_PS3_S9_
                                        ; -- End function
	.set _ZN2at6native12_GLOBAL__N_135GammaBetaBackwardCUDAKernelTemplateIffLj32ELj1ELj8ELb1ELb1ELb1EEEvllPKT_S5_PKT0_S8_PS3_S9_.num_vgpr, 42
	.set _ZN2at6native12_GLOBAL__N_135GammaBetaBackwardCUDAKernelTemplateIffLj32ELj1ELj8ELb1ELb1ELb1EEEvllPKT_S5_PKT0_S8_PS3_S9_.num_agpr, 0
	.set _ZN2at6native12_GLOBAL__N_135GammaBetaBackwardCUDAKernelTemplateIffLj32ELj1ELj8ELb1ELb1ELb1EEEvllPKT_S5_PKT0_S8_PS3_S9_.numbered_sgpr, 25
	.set _ZN2at6native12_GLOBAL__N_135GammaBetaBackwardCUDAKernelTemplateIffLj32ELj1ELj8ELb1ELb1ELb1EEEvllPKT_S5_PKT0_S8_PS3_S9_.num_named_barrier, 0
	.set _ZN2at6native12_GLOBAL__N_135GammaBetaBackwardCUDAKernelTemplateIffLj32ELj1ELj8ELb1ELb1ELb1EEEvllPKT_S5_PKT0_S8_PS3_S9_.private_seg_size, 0
	.set _ZN2at6native12_GLOBAL__N_135GammaBetaBackwardCUDAKernelTemplateIffLj32ELj1ELj8ELb1ELb1ELb1EEEvllPKT_S5_PKT0_S8_PS3_S9_.uses_vcc, 1
	.set _ZN2at6native12_GLOBAL__N_135GammaBetaBackwardCUDAKernelTemplateIffLj32ELj1ELj8ELb1ELb1ELb1EEEvllPKT_S5_PKT0_S8_PS3_S9_.uses_flat_scratch, 0
	.set _ZN2at6native12_GLOBAL__N_135GammaBetaBackwardCUDAKernelTemplateIffLj32ELj1ELj8ELb1ELb1ELb1EEEvllPKT_S5_PKT0_S8_PS3_S9_.has_dyn_sized_stack, 0
	.set _ZN2at6native12_GLOBAL__N_135GammaBetaBackwardCUDAKernelTemplateIffLj32ELj1ELj8ELb1ELb1ELb1EEEvllPKT_S5_PKT0_S8_PS3_S9_.has_recursion, 0
	.set _ZN2at6native12_GLOBAL__N_135GammaBetaBackwardCUDAKernelTemplateIffLj32ELj1ELj8ELb1ELb1ELb1EEEvllPKT_S5_PKT0_S8_PS3_S9_.has_indirect_call, 0
	.section	.AMDGPU.csdata,"",@progbits
; Kernel info:
; codeLenInByte = 1084
; TotalNumSgprs: 27
; NumVgprs: 42
; ScratchSize: 0
; MemoryBound: 0
; FloatMode: 240
; IeeeMode: 1
; LDSByteSize: 0 bytes/workgroup (compile time only)
; SGPRBlocks: 0
; VGPRBlocks: 2
; NumSGPRsForWavesPerEU: 27
; NumVGPRsForWavesPerEU: 42
; NamedBarCnt: 0
; Occupancy: 16
; WaveLimiterHint : 0
; COMPUTE_PGM_RSRC2:SCRATCH_EN: 0
; COMPUTE_PGM_RSRC2:USER_SGPR: 2
; COMPUTE_PGM_RSRC2:TRAP_HANDLER: 0
; COMPUTE_PGM_RSRC2:TGID_X_EN: 1
; COMPUTE_PGM_RSRC2:TGID_Y_EN: 1
; COMPUTE_PGM_RSRC2:TGID_Z_EN: 0
; COMPUTE_PGM_RSRC2:TIDIG_COMP_CNT: 1
	.section	.text._ZN2at6native12_GLOBAL__N_135GammaBetaBackwardCUDAKernelTemplateIffLj32ELj1ELj8ELb1ELb0ELb1EEEvllPKT_S5_PKT0_S8_PS3_S9_,"axG",@progbits,_ZN2at6native12_GLOBAL__N_135GammaBetaBackwardCUDAKernelTemplateIffLj32ELj1ELj8ELb1ELb0ELb1EEEvllPKT_S5_PKT0_S8_PS3_S9_,comdat
	.globl	_ZN2at6native12_GLOBAL__N_135GammaBetaBackwardCUDAKernelTemplateIffLj32ELj1ELj8ELb1ELb0ELb1EEEvllPKT_S5_PKT0_S8_PS3_S9_ ; -- Begin function _ZN2at6native12_GLOBAL__N_135GammaBetaBackwardCUDAKernelTemplateIffLj32ELj1ELj8ELb1ELb0ELb1EEEvllPKT_S5_PKT0_S8_PS3_S9_
	.p2align	8
	.type	_ZN2at6native12_GLOBAL__N_135GammaBetaBackwardCUDAKernelTemplateIffLj32ELj1ELj8ELb1ELb0ELb1EEEvllPKT_S5_PKT0_S8_PS3_S9_,@function
_ZN2at6native12_GLOBAL__N_135GammaBetaBackwardCUDAKernelTemplateIffLj32ELj1ELj8ELb1ELb0ELb1EEEvllPKT_S5_PKT0_S8_PS3_S9_: ; @_ZN2at6native12_GLOBAL__N_135GammaBetaBackwardCUDAKernelTemplateIffLj32ELj1ELj8ELb1ELb0ELb1EEEvllPKT_S5_PKT0_S8_PS3_S9_
; %bb.0:
	s_load_b256 s[4:11], s[0:1], 0x0
	s_bfe_u32 s3, ttmp6, 0x4000c
	s_bfe_u32 s12, ttmp6, 0x40010
	s_add_co_i32 s3, s3, 1
	s_add_co_i32 s12, s12, 1
	s_and_b32 s2, ttmp6, 15
	s_bfe_u32 s13, ttmp6, 0x40004
	s_mul_i32 s3, ttmp9, s3
	s_mul_i32 s12, ttmp7, s12
	s_getreg_b32 s14, hwreg(HW_REG_IB_STS2, 6, 4)
	s_add_co_i32 s2, s2, s3
	s_add_co_i32 s13, s13, s12
	s_cmp_eq_u32 s14, 0
	s_mov_b32 s17, 0
	s_cselect_b32 s12, ttmp9, s2
	s_cselect_b32 s30, ttmp7, s13
	s_lshl_b32 s13, s12, 5
	s_load_b64 s[14:15], s[0:1], 0x28
	s_or_b32 s16, s13, 31
	s_wait_kmcnt 0x0
	v_cmp_le_i64_e64 s2, s[6:7], s[16:17]
	s_lshl_b32 s16, s30, 3
	s_delay_alu instid0(SALU_CYCLE_1) | instskip(SKIP_2) | instid1(VALU_DEP_1)
	v_cmp_gt_i64_e64 s31, s[4:5], s[16:17]
	s_and_b32 vcc_lo, exec_lo, s2
	v_cndmask_b32_e64 v1, 0, 1, s31
	v_cmp_ne_u32_e64 s2, 1, v1
	s_cbranch_vccz .LBB155_49
; %bb.1:
	v_mov_b32_e32 v4, 0
	s_and_b32 vcc_lo, exec_lo, s2
	s_cbranch_vccnz .LBB155_50
; %bb.2:
	v_bfe_u32 v1, v0, 10, 10
	v_mov_b32_e32 v2, 0
	v_and_b32_e32 v64, 0x3ff, v0
	s_load_b32 s3, s[0:1], 0x44
	s_mov_b32 s19, 0
	s_delay_alu instid0(VALU_DEP_2) | instskip(NEXT) | instid1(VALU_DEP_2)
	v_dual_mov_b32 v27, v2 :: v_dual_lshlrev_b32 v26, 3, v1
	v_dual_mov_b32 v19, v2 :: v_dual_add_nc_u32 v18, s13, v64
	v_mov_b32_e32 v65, 0
	s_mov_b32 s23, s19
	s_delay_alu instid0(VALU_DEP_3)
	v_add_nc_u64_e32 v[4:5], s[16:17], v[26:27]
	s_add_nc_u64 s[20:21], s[0:1], 64
	v_cmp_gt_i64_e64 s2, s[6:7], v[18:19]
	v_lshlrev_b64_e32 v[28:29], 2, v[18:19]
	s_mov_b64 s[26:27], 7
	s_mov_b64 s[28:29], s[16:17]
	v_mul_u64_e32 v[6:7], s[6:7], v[4:5]
	v_add_nc_u64_e32 v[8:9], 7, v[4:5]
	v_add_nc_u64_e32 v[10:11], 6, v[4:5]
	;; [unrolled: 1-line block ×6, first 2 shown]
	s_wait_kmcnt 0x0
	s_lshl_b32 s22, s3, 3
	v_mul_u64_e32 v[8:9], s[6:7], v[8:9]
	v_mul_u64_e32 v[10:11], s[6:7], v[10:11]
	;; [unrolled: 1-line block ×6, first 2 shown]
	s_mul_u64 s[24:25], s[6:7], s[22:23]
	s_delay_alu instid0(SALU_CYCLE_1) | instskip(SKIP_2) | instid1(VALU_DEP_2)
	s_lshl_b64 s[24:25], s[24:25], 2
	v_lshlrev_b64_e32 v[20:21], 2, v[6:7]
	v_add_nc_u64_e32 v[6:7], s[6:7], v[6:7]
	v_add_nc_u64_e32 v[30:31], s[8:9], v[20:21]
	v_lshlrev_b64_e32 v[8:9], 2, v[8:9]
	v_lshlrev_b64_e32 v[10:11], 2, v[10:11]
	v_lshlrev_b64_e32 v[12:13], 2, v[12:13]
	v_lshlrev_b64_e32 v[14:15], 2, v[14:15]
	v_lshlrev_b64_e32 v[16:17], 2, v[16:17]
	v_lshlrev_b64_e32 v[4:5], 2, v[4:5]
	v_lshlrev_b64_e32 v[6:7], 2, v[6:7]
	v_add_nc_u64_e32 v[32:33], s[10:11], v[20:21]
	v_add_nc_u64_e32 v[34:35], s[8:9], v[8:9]
	;; [unrolled: 1-line block ×15, first 2 shown]
.LBB155_3:                              ; =>This Inner Loop Header: Depth=1
	s_add_nc_u64 s[34:35], s[16:17], s[26:27]
	v_add_nc_u64_e32 v[62:63], s[16:17], v[26:27]
	v_cmp_ge_i64_e64 s3, s[34:35], s[4:5]
                                        ; implicit-def: $vgpr4
                                        ; implicit-def: $vgpr10_vgpr11_vgpr12_vgpr13_vgpr14_vgpr15_vgpr16_vgpr17
                                        ; implicit-def: $vgpr18_vgpr19_vgpr20_vgpr21_vgpr22_vgpr23_vgpr24_vgpr25
                                        ; implicit-def: $vgpr3
	s_and_b32 vcc_lo, exec_lo, s3
	s_mov_b32 s3, -1
	s_cbranch_vccz .LBB155_25
; %bb.4:                                ;   in Loop: Header=BB155_3 Depth=1
	s_load_b32 s3, s[20:21], 0xc
	v_mov_b32_e32 v66, 0
	s_wait_kmcnt 0x0
	s_and_b32 s3, s3, 0xffff
	s_delay_alu instid0(SALU_CYCLE_1) | instskip(SKIP_1) | instid1(VALU_DEP_1)
	v_mad_u32_u24 v3, v1, s3, v64
	s_mov_b32 s3, exec_lo
	v_and_b32_e32 v4, 31, v3
	s_delay_alu instid0(VALU_DEP_1)
	v_cmpx_gt_u32_e32 8, v4
	s_cbranch_execz .LBB155_8
; %bb.5:                                ;   in Loop: Header=BB155_3 Depth=1
	v_dual_mov_b32 v5, v2 :: v_dual_mov_b32 v66, 0
	s_mov_b32 s18, exec_lo
	s_delay_alu instid0(VALU_DEP_1) | instskip(NEXT) | instid1(VALU_DEP_1)
	v_add_nc_u64_e32 v[4:5], v[62:63], v[4:5]
	v_cmpx_gt_i64_e64 s[4:5], v[4:5]
	s_cbranch_execz .LBB155_7
; %bb.6:                                ;   in Loop: Header=BB155_3 Depth=1
	v_lshl_add_u64 v[4:5], v[4:5], 2, s[14:15]
	global_load_b32 v66, v[4:5], off
.LBB155_7:                              ;   in Loop: Header=BB155_3 Depth=1
	s_wait_xcnt 0x0
	s_or_b32 exec_lo, exec_lo, s18
.LBB155_8:                              ;   in Loop: Header=BB155_3 Depth=1
	s_delay_alu instid0(SALU_CYCLE_1)
	s_or_b32 exec_lo, exec_lo, s3
	v_dual_mov_b32 v7, v2 :: v_dual_mov_b32 v8, v2
	v_dual_mov_b32 v9, v2 :: v_dual_mov_b32 v3, v2
	;; [unrolled: 1-line block ×3, first 2 shown]
	v_mov_b32_e32 v6, v2
	v_cmp_gt_i64_e32 vcc_lo, s[4:5], v[62:63]
	s_delay_alu instid0(VALU_DEP_4)
	v_mov_b64_e32 v[16:17], v[8:9]
	v_mov_b64_e32 v[24:25], v[8:9]
	;; [unrolled: 1-line block ×8, first 2 shown]
	s_and_b32 s18, s2, vcc_lo
	s_delay_alu instid0(SALU_CYCLE_1)
	s_and_saveexec_b32 s3, s18
	s_cbranch_execz .LBB155_10
; %bb.9:                                ;   in Loop: Header=BB155_3 Depth=1
	v_add_nc_u64_e32 v[4:5], v[30:31], v[28:29]
	v_add_nc_u64_e32 v[6:7], v[32:33], v[28:29]
	v_dual_mov_b32 v19, v2 :: v_dual_mov_b32 v20, v2
	v_dual_mov_b32 v21, v2 :: v_dual_mov_b32 v22, v2
	;; [unrolled: 1-line block ×3, first 2 shown]
	global_load_b32 v18, v[4:5], off
	global_load_b32 v10, v[6:7], off
	v_dual_mov_b32 v25, v2 :: v_dual_mov_b32 v11, v2
	v_dual_mov_b32 v12, v2 :: v_dual_mov_b32 v13, v2
	;; [unrolled: 1-line block ×4, first 2 shown]
.LBB155_10:                             ;   in Loop: Header=BB155_3 Depth=1
	s_wait_xcnt 0x0
	s_or_b32 exec_lo, exec_lo, s3
	v_add_nc_u64_e32 v[4:5], 1, v[62:63]
	s_delay_alu instid0(VALU_DEP_1) | instskip(SKIP_1) | instid1(SALU_CYCLE_1)
	v_cmp_gt_i64_e32 vcc_lo, s[4:5], v[4:5]
	s_and_b32 s18, s2, vcc_lo
	s_and_saveexec_b32 s3, s18
	s_cbranch_execz .LBB155_12
; %bb.11:                               ;   in Loop: Header=BB155_3 Depth=1
	v_add_nc_u64_e32 v[4:5], v[58:59], v[28:29]
	v_add_nc_u64_e32 v[6:7], v[60:61], v[28:29]
	global_load_b32 v19, v[4:5], off
	global_load_b32 v11, v[6:7], off
.LBB155_12:                             ;   in Loop: Header=BB155_3 Depth=1
	s_wait_xcnt 0x0
	s_or_b32 exec_lo, exec_lo, s3
	v_add_nc_u64_e32 v[4:5], 2, v[62:63]
	s_delay_alu instid0(VALU_DEP_1) | instskip(SKIP_1) | instid1(SALU_CYCLE_1)
	v_cmp_gt_i64_e32 vcc_lo, s[4:5], v[4:5]
	s_and_b32 s18, s2, vcc_lo
	s_and_saveexec_b32 s3, s18
	s_cbranch_execz .LBB155_14
; %bb.13:                               ;   in Loop: Header=BB155_3 Depth=1
	v_add_nc_u64_e32 v[4:5], v[54:55], v[28:29]
	v_add_nc_u64_e32 v[6:7], v[56:57], v[28:29]
	global_load_b32 v20, v[4:5], off
	global_load_b32 v12, v[6:7], off
.LBB155_14:                             ;   in Loop: Header=BB155_3 Depth=1
	;; [unrolled: 14-line block ×7, first 2 shown]
	s_wait_xcnt 0x0
	s_or_b32 exec_lo, exec_lo, s3
	s_wait_loadcnt 0x0
	ds_bpermute_b32 v3, v2, v66
	ds_bpermute_b32 v4, v2, v66 offset:4
	ds_bpermute_b32 v5, v2, v66 offset:8
	;; [unrolled: 1-line block ×4, first 2 shown]
	v_pk_mul_f32 v[8:9], v[12:13], v[20:21]
	v_dual_mul_f32 v18, v10, v18 :: v_dual_mul_f32 v10, v11, v19
	v_pk_mul_f32 v[12:13], v[14:15], v[22:23]
	ds_bpermute_b32 v14, v2, v66 offset:20
	v_mov_b32_e32 v11, v8
	ds_bpermute_b32 v15, v2, v66 offset:24
	v_dual_mov_b32 v8, v9 :: v_dual_mov_b32 v9, v12
	s_mov_b32 s3, 0
	s_wait_dscnt 0x6
	v_fma_f32 v3, v18, v3, v65
	s_wait_dscnt 0x4
	v_pk_mul_f32 v[4:5], v[10:11], v[4:5]
	s_wait_dscnt 0x2
	v_pk_mul_f32 v[6:7], v[8:9], v[6:7]
	s_delay_alu instid0(VALU_DEP_2) | instskip(NEXT) | instid1(VALU_DEP_1)
	v_add_f32_e32 v3, v3, v4
	v_dual_add_f32 v4, v3, v5 :: v_dual_mul_f32 v5, v16, v24
	ds_bpermute_b32 v3, v2, v66 offset:28
	v_dual_add_f32 v6, v4, v6 :: v_dual_mov_b32 v4, v13
	s_delay_alu instid0(VALU_DEP_1) | instskip(SKIP_1) | instid1(VALU_DEP_2)
	v_add_f32_e32 v6, v6, v7
	s_wait_dscnt 0x1
	v_pk_mul_f32 v[4:5], v[4:5], v[14:15]
	s_delay_alu instid0(VALU_DEP_1) | instskip(NEXT) | instid1(VALU_DEP_1)
	v_add_f32_e32 v4, v6, v4
	v_add_f32_e32 v4, v4, v5
.LBB155_25:                             ;   in Loop: Header=BB155_3 Depth=1
	s_and_b32 vcc_lo, exec_lo, s3
	s_cbranch_vccz .LBB155_40
; %bb.26:                               ;   in Loop: Header=BB155_3 Depth=1
	s_load_b32 s3, s[20:21], 0x0
	v_mov_b32_e32 v66, 0
	s_wait_kmcnt 0x0
	s_cmp_lt_u32 s12, s3
	s_cselect_b32 s18, 12, 18
	s_delay_alu instid0(SALU_CYCLE_1)
	s_add_nc_u64 s[34:35], s[20:21], s[18:19]
	s_load_u16 s3, s[34:35], 0x0
	s_wait_dscnt 0x0
	s_wait_kmcnt 0x0
	v_mad_u32_u24 v3, v1, s3, v64
	s_mov_b32 s3, exec_lo
	s_delay_alu instid0(VALU_DEP_1) | instskip(NEXT) | instid1(VALU_DEP_1)
	v_and_b32_e32 v4, 31, v3
	v_cmpx_gt_u32_e32 8, v4
	s_cbranch_execz .LBB155_30
; %bb.27:                               ;   in Loop: Header=BB155_3 Depth=1
	v_dual_mov_b32 v5, v2 :: v_dual_mov_b32 v66, 0
	s_mov_b32 s18, exec_lo
	s_delay_alu instid0(VALU_DEP_1) | instskip(NEXT) | instid1(VALU_DEP_1)
	v_add_nc_u64_e32 v[4:5], v[62:63], v[4:5]
	v_cmpx_gt_i64_e64 s[4:5], v[4:5]
	s_cbranch_execz .LBB155_29
; %bb.28:                               ;   in Loop: Header=BB155_3 Depth=1
	v_lshl_add_u64 v[4:5], v[4:5], 2, s[14:15]
	global_load_b32 v66, v[4:5], off
.LBB155_29:                             ;   in Loop: Header=BB155_3 Depth=1
	s_wait_xcnt 0x0
	s_or_b32 exec_lo, exec_lo, s18
.LBB155_30:                             ;   in Loop: Header=BB155_3 Depth=1
	s_delay_alu instid0(SALU_CYCLE_1) | instskip(SKIP_4) | instid1(VALU_DEP_3)
	s_or_b32 exec_lo, exec_lo, s3
	v_dual_mov_b32 v7, v2 :: v_dual_mov_b32 v8, v2
	v_dual_mov_b32 v9, v2 :: v_dual_mov_b32 v3, v2
	;; [unrolled: 1-line block ×3, first 2 shown]
	v_mov_b32_e32 v6, v2
	v_mov_b64_e32 v[16:17], v[8:9]
	v_mov_b64_e32 v[24:25], v[8:9]
	;; [unrolled: 1-line block ×8, first 2 shown]
	s_and_saveexec_b32 s3, s2
	s_cbranch_execnz .LBB155_42
; %bb.31:                               ;   in Loop: Header=BB155_3 Depth=1
	s_or_b32 exec_lo, exec_lo, s3
	s_and_saveexec_b32 s3, s2
	s_cbranch_execnz .LBB155_43
.LBB155_32:                             ;   in Loop: Header=BB155_3 Depth=1
	s_or_b32 exec_lo, exec_lo, s3
	s_and_saveexec_b32 s3, s2
	s_cbranch_execnz .LBB155_44
.LBB155_33:                             ;   in Loop: Header=BB155_3 Depth=1
	s_or_b32 exec_lo, exec_lo, s3
	s_and_saveexec_b32 s3, s2
	s_cbranch_execnz .LBB155_45
.LBB155_34:                             ;   in Loop: Header=BB155_3 Depth=1
	s_or_b32 exec_lo, exec_lo, s3
	s_and_saveexec_b32 s3, s2
	s_cbranch_execnz .LBB155_46
.LBB155_35:                             ;   in Loop: Header=BB155_3 Depth=1
	s_or_b32 exec_lo, exec_lo, s3
	s_and_saveexec_b32 s3, s2
	s_cbranch_execnz .LBB155_47
.LBB155_36:                             ;   in Loop: Header=BB155_3 Depth=1
	s_or_b32 exec_lo, exec_lo, s3
	s_and_saveexec_b32 s3, s2
	s_cbranch_execnz .LBB155_48
.LBB155_37:                             ;   in Loop: Header=BB155_3 Depth=1
	s_or_b32 exec_lo, exec_lo, s3
	s_and_saveexec_b32 s3, s2
	s_cbranch_execz .LBB155_39
.LBB155_38:                             ;   in Loop: Header=BB155_3 Depth=1
	v_add_nc_u64_e32 v[4:5], v[34:35], v[28:29]
	v_add_nc_u64_e32 v[6:7], v[36:37], v[28:29]
	global_load_b32 v25, v[4:5], off
	global_load_b32 v17, v[6:7], off
.LBB155_39:                             ;   in Loop: Header=BB155_3 Depth=1
	s_wait_xcnt 0x0
	s_or_b32 exec_lo, exec_lo, s3
	s_wait_loadcnt 0x0
	ds_bpermute_b32 v3, v2, v66
	ds_bpermute_b32 v4, v2, v66 offset:4
	ds_bpermute_b32 v5, v2, v66 offset:8
	;; [unrolled: 1-line block ×4, first 2 shown]
	v_pk_mul_f32 v[8:9], v[12:13], v[20:21]
	v_dual_mul_f32 v18, v10, v18 :: v_dual_mul_f32 v10, v11, v19
	v_pk_mul_f32 v[12:13], v[14:15], v[22:23]
	ds_bpermute_b32 v14, v2, v66 offset:20
	v_mov_b32_e32 v11, v8
	ds_bpermute_b32 v15, v2, v66 offset:24
	v_dual_mov_b32 v8, v9 :: v_dual_mov_b32 v9, v12
	s_wait_dscnt 0x6
	v_fmac_f32_e32 v65, v18, v3
	s_wait_dscnt 0x4
	v_pk_mul_f32 v[4:5], v[10:11], v[4:5]
	s_wait_dscnt 0x2
	v_pk_mul_f32 v[6:7], v[8:9], v[6:7]
	s_delay_alu instid0(VALU_DEP_2) | instskip(NEXT) | instid1(VALU_DEP_1)
	v_add_f32_e32 v3, v65, v4
	v_dual_add_f32 v4, v3, v5 :: v_dual_mul_f32 v5, v16, v24
	ds_bpermute_b32 v3, v2, v66 offset:28
	v_dual_add_f32 v6, v4, v6 :: v_dual_mov_b32 v4, v13
	s_delay_alu instid0(VALU_DEP_1) | instskip(SKIP_1) | instid1(VALU_DEP_2)
	v_add_f32_e32 v6, v6, v7
	s_wait_dscnt 0x1
	v_pk_mul_f32 v[4:5], v[4:5], v[14:15]
	s_delay_alu instid0(VALU_DEP_1) | instskip(NEXT) | instid1(VALU_DEP_1)
	v_add_f32_e32 v4, v6, v4
	v_add_f32_e32 v4, v4, v5
.LBB155_40:                             ;   in Loop: Header=BB155_3 Depth=1
	s_add_nc_u64 s[28:29], s[28:29], s[22:23]
	v_mul_f32_e32 v5, v25, v17
	v_cmp_lt_i64_e64 s3, s[28:29], s[4:5]
	v_add_nc_u64_e32 v[30:31], s[24:25], v[30:31]
	v_add_nc_u64_e32 v[32:33], s[24:25], v[32:33]
	;; [unrolled: 1-line block ×17, first 2 shown]
	s_wait_dscnt 0x0
	v_fmac_f32_e32 v4, v5, v3
	s_and_b32 vcc_lo, exec_lo, s3
	s_add_nc_u64 s[26:27], s[26:27], s[22:23]
	s_cbranch_vccz .LBB155_50
; %bb.41:                               ;   in Loop: Header=BB155_3 Depth=1
	s_delay_alu instid0(VALU_DEP_1)
	v_mov_b32_e32 v65, v4
	s_branch .LBB155_3
.LBB155_42:                             ;   in Loop: Header=BB155_3 Depth=1
	v_add_nc_u64_e32 v[4:5], v[30:31], v[28:29]
	v_add_nc_u64_e32 v[6:7], v[32:33], v[28:29]
	v_dual_mov_b32 v19, v2 :: v_dual_mov_b32 v20, v2
	v_dual_mov_b32 v21, v2 :: v_dual_mov_b32 v22, v2
	v_dual_mov_b32 v23, v2 :: v_dual_mov_b32 v24, v2
	global_load_b32 v18, v[4:5], off
	global_load_b32 v10, v[6:7], off
	v_dual_mov_b32 v25, v2 :: v_dual_mov_b32 v11, v2
	v_dual_mov_b32 v12, v2 :: v_dual_mov_b32 v13, v2
	;; [unrolled: 1-line block ×4, first 2 shown]
	s_wait_xcnt 0x0
	s_or_b32 exec_lo, exec_lo, s3
	s_and_saveexec_b32 s3, s2
	s_cbranch_execz .LBB155_32
.LBB155_43:                             ;   in Loop: Header=BB155_3 Depth=1
	v_add_nc_u64_e32 v[4:5], v[58:59], v[28:29]
	v_add_nc_u64_e32 v[6:7], v[60:61], v[28:29]
	global_load_b32 v19, v[4:5], off
	global_load_b32 v11, v[6:7], off
	s_wait_xcnt 0x0
	s_or_b32 exec_lo, exec_lo, s3
	s_and_saveexec_b32 s3, s2
	s_cbranch_execz .LBB155_33
.LBB155_44:                             ;   in Loop: Header=BB155_3 Depth=1
	v_add_nc_u64_e32 v[4:5], v[54:55], v[28:29]
	v_add_nc_u64_e32 v[6:7], v[56:57], v[28:29]
	global_load_b32 v20, v[4:5], off
	global_load_b32 v12, v[6:7], off
	s_wait_xcnt 0x0
	s_or_b32 exec_lo, exec_lo, s3
	s_and_saveexec_b32 s3, s2
	s_cbranch_execz .LBB155_34
.LBB155_45:                             ;   in Loop: Header=BB155_3 Depth=1
	v_add_nc_u64_e32 v[4:5], v[50:51], v[28:29]
	v_add_nc_u64_e32 v[6:7], v[52:53], v[28:29]
	global_load_b32 v21, v[4:5], off
	global_load_b32 v13, v[6:7], off
	s_wait_xcnt 0x0
	s_or_b32 exec_lo, exec_lo, s3
	s_and_saveexec_b32 s3, s2
	s_cbranch_execz .LBB155_35
.LBB155_46:                             ;   in Loop: Header=BB155_3 Depth=1
	v_add_nc_u64_e32 v[4:5], v[46:47], v[28:29]
	v_add_nc_u64_e32 v[6:7], v[48:49], v[28:29]
	global_load_b32 v22, v[4:5], off
	global_load_b32 v14, v[6:7], off
	s_wait_xcnt 0x0
	s_or_b32 exec_lo, exec_lo, s3
	s_and_saveexec_b32 s3, s2
	s_cbranch_execz .LBB155_36
.LBB155_47:                             ;   in Loop: Header=BB155_3 Depth=1
	v_add_nc_u64_e32 v[4:5], v[42:43], v[28:29]
	v_add_nc_u64_e32 v[6:7], v[44:45], v[28:29]
	global_load_b32 v23, v[4:5], off
	global_load_b32 v15, v[6:7], off
	s_wait_xcnt 0x0
	s_or_b32 exec_lo, exec_lo, s3
	s_and_saveexec_b32 s3, s2
	s_cbranch_execz .LBB155_37
.LBB155_48:                             ;   in Loop: Header=BB155_3 Depth=1
	v_add_nc_u64_e32 v[4:5], v[38:39], v[28:29]
	v_add_nc_u64_e32 v[6:7], v[40:41], v[28:29]
	global_load_b32 v24, v[4:5], off
	global_load_b32 v16, v[6:7], off
	s_wait_xcnt 0x0
	s_or_b32 exec_lo, exec_lo, s3
	s_and_saveexec_b32 s3, s2
	s_cbranch_execnz .LBB155_38
	s_branch .LBB155_39
.LBB155_49:
                                        ; implicit-def: $vgpr4
	s_load_b64 s[2:3], s[0:1], 0x30
	s_branch .LBB155_51
.LBB155_50:
	s_load_b64 s[2:3], s[0:1], 0x30
	s_cbranch_execnz .LBB155_83
.LBB155_51:
	v_mov_b32_e32 v4, 0
	s_and_not1_b32 vcc_lo, exec_lo, s31
	s_cbranch_vccnz .LBB155_83
; %bb.52:
	v_bfe_u32 v1, v0, 10, 10
	v_mov_b32_e32 v2, 0
	v_and_b32_e32 v92, 0x3ff, v0
	s_load_b32 s18, s[0:1], 0x44
	s_mov_b32 s19, 0
	s_delay_alu instid0(VALU_DEP_2) | instskip(SKIP_3) | instid1(VALU_DEP_2)
	v_dual_mov_b32 v5, v2 :: v_dual_lshlrev_b32 v4, 5, v1
	v_dual_mov_b32 v27, v2 :: v_dual_lshlrev_b32 v26, 3, v1
	s_mov_b32 s21, s19
	s_add_nc_u64 s[22:23], s[0:1], 64
	v_lshl_add_u64 v[4:5], s[16:17], 2, v[4:5]
	s_mov_b64 s[24:25], s[16:17]
	v_add_nc_u64_e32 v[8:9], s[16:17], v[26:27]
	v_mov_b32_e32 v93, 0
	s_delay_alu instid0(VALU_DEP_3)
	v_add_nc_u64_e32 v[6:7], 4, v[4:5]
	v_add_nc_u64_e32 v[10:11], 8, v[4:5]
	;; [unrolled: 1-line block ×5, first 2 shown]
	v_mul_u64_e32 v[20:21], s[6:7], v[8:9]
	v_add_nc_u64_e32 v[18:19], 24, v[4:5]
	v_mad_nc_u64_u32 v[28:29], s6, v6, s[8:9]
	v_mul_lo_u32 v3, s6, v7
	v_mul_lo_u32 v22, s7, v6
	v_mad_nc_u64_u32 v[38:39], s6, v6, s[10:11]
	v_add_nc_u64_e32 v[6:7], 7, v[8:9]
	v_mad_nc_u64_u32 v[30:31], s6, v10, s[8:9]
	v_mul_lo_u32 v24, s6, v11
	v_mul_lo_u32 v25, s7, v10
	v_mad_nc_u64_u32 v[32:33], s6, v12, s[8:9]
	v_mul_lo_u32 v54, s6, v13
	v_mul_lo_u32 v55, s7, v12
	v_mad_nc_u64_u32 v[40:41], s6, v10, s[10:11]
	v_mad_nc_u64_u32 v[42:43], s6, v12, s[10:11]
	v_add_nc_u64_e32 v[10:11], 6, v[8:9]
	v_mul_u64_e32 v[6:7], s[6:7], v[6:7]
	v_add_nc_u64_e32 v[12:13], 5, v[8:9]
	v_mad_nc_u64_u32 v[34:35], s6, v14, s[8:9]
	v_mul_lo_u32 v56, s6, v15
	v_mul_lo_u32 v57, s7, v14
	v_add3_u32 v29, v22, v29, v3
	v_mad_nc_u64_u32 v[46:47], s6, v14, s[10:11]
	v_add_nc_u64_e32 v[14:15], 4, v[8:9]
	v_mul_u64_e32 v[10:11], s[6:7], v[10:11]
	v_add3_u32 v39, v22, v39, v3
	v_add_nc_u64_e32 v[22:23], 3, v[8:9]
	v_add_nc_u64_e32 v[8:9], 2, v[8:9]
	v_mul_u64_e32 v[12:13], s[6:7], v[12:13]
	v_mad_nc_u64_u32 v[36:37], s6, v16, s[8:9]
	v_mul_lo_u32 v58, s6, v17
	v_mul_lo_u32 v59, s7, v16
	v_mul_u64_e32 v[14:15], s[6:7], v[14:15]
	v_mad_nc_u64_u32 v[50:51], s6, v16, s[10:11]
	v_mul_u64_e32 v[16:17], s[6:7], v[22:23]
	v_mul_u64_e32 v[8:9], s[6:7], v[8:9]
	v_add_nc_u64_e32 v[4:5], 28, v[4:5]
	v_add3_u32 v33, v55, v33, v54
	v_add3_u32 v43, v55, v43, v54
	v_mad_nc_u64_u32 v[44:45], s6, v18, s[8:9]
	v_mul_lo_u32 v19, s6, v19
	v_mul_lo_u32 v60, s7, v18
	v_mad_nc_u64_u32 v[52:53], s6, v18, s[10:11]
	v_mad_nc_u64_u32 v[48:49], s6, v4, s[8:9]
	v_mul_lo_u32 v3, s6, v5
	v_mul_lo_u32 v22, s7, v4
	v_mad_nc_u64_u32 v[54:55], s6, v4, s[10:11]
	v_add_nc_u32_e32 v4, s13, v92
	v_lshlrev_b64_e32 v[6:7], 2, v[6:7]
	v_mov_b32_e32 v5, v2
	v_add3_u32 v35, v57, v35, v56
	v_add3_u32 v47, v57, v47, v56
	;; [unrolled: 1-line block ×4, first 2 shown]
	v_lshlrev_b64_e32 v[56:57], 2, v[4:5]
	v_add_nc_u64_e32 v[62:63], s[8:9], v[6:7]
	v_lshlrev_b64_e32 v[4:5], 2, v[10:11]
	v_add_nc_u64_e32 v[64:65], s[10:11], v[6:7]
	v_lshlrev_b64_e32 v[18:19], 2, v[20:21]
	v_add3_u32 v37, v59, v37, v58
	v_lshlrev_b64_e32 v[6:7], 2, v[12:13]
	v_add_nc_u64_e32 v[12:13], s[6:7], v[20:21]
	v_add3_u32 v51, v59, v51, v58
	v_add_nc_u64_e32 v[66:67], s[8:9], v[4:5]
	v_lshlrev_b64_e32 v[10:11], 2, v[14:15]
	v_add_nc_u64_e32 v[68:69], s[10:11], v[4:5]
	v_lshlrev_b64_e32 v[4:5], 2, v[16:17]
	v_lshlrev_b64_e32 v[8:9], 2, v[8:9]
	v_add_nc_u64_e32 v[70:71], s[8:9], v[6:7]
	v_add_nc_u64_e32 v[72:73], s[10:11], v[6:7]
	v_lshlrev_b64_e32 v[6:7], 2, v[12:13]
	v_add_nc_u64_e32 v[58:59], s[8:9], v[18:19]
	v_add_nc_u64_e32 v[60:61], s[10:11], v[18:19]
	;; [unrolled: 1-line block ×10, first 2 shown]
	s_wait_kmcnt 0x0
	s_lshl_b32 s20, s18, 3
	v_add3_u32 v31, v25, v31, v24
	v_add3_u32 v41, v25, v41, v24
	;; [unrolled: 1-line block ×4, first 2 shown]
	s_mul_u64 s[8:9], s[6:7], s[20:21]
	s_mov_b64 s[10:11], 7
	s_lshl_b64 s[8:9], s[8:9], 2
.LBB155_53:                             ; =>This Inner Loop Header: Depth=1
	s_add_nc_u64 s[26:27], s[16:17], s[10:11]
	v_add_nc_u64_e32 v[90:91], s[16:17], v[26:27]
	v_cmp_ge_i64_e64 s13, s[26:27], s[4:5]
                                        ; implicit-def: $vgpr4
	s_and_b32 vcc_lo, exec_lo, s13
	s_mov_b32 s13, -1
	s_cbranch_vccz .LBB155_75
; %bb.54:                               ;   in Loop: Header=BB155_53 Depth=1
	s_load_b32 s13, s[22:23], 0xc
	v_mov_b32_e32 v94, 0
	s_wait_kmcnt 0x0
	s_and_b32 s13, s13, 0xffff
	s_delay_alu instid0(SALU_CYCLE_1) | instskip(SKIP_1) | instid1(VALU_DEP_1)
	v_mad_u32_u24 v3, v1, s13, v92
	s_mov_b32 s13, exec_lo
	v_and_b32_e32 v4, 31, v3
	s_delay_alu instid0(VALU_DEP_1)
	v_cmpx_gt_u32_e32 8, v4
	s_cbranch_execz .LBB155_58
; %bb.55:                               ;   in Loop: Header=BB155_53 Depth=1
	v_dual_mov_b32 v5, v2 :: v_dual_mov_b32 v94, 0
	s_mov_b32 s18, exec_lo
	s_delay_alu instid0(VALU_DEP_1) | instskip(NEXT) | instid1(VALU_DEP_1)
	v_add_nc_u64_e32 v[4:5], v[90:91], v[4:5]
	v_cmpx_gt_i64_e64 s[4:5], v[4:5]
	s_cbranch_execz .LBB155_57
; %bb.56:                               ;   in Loop: Header=BB155_53 Depth=1
	v_lshl_add_u64 v[4:5], v[4:5], 2, s[14:15]
	global_load_b32 v94, v[4:5], off
.LBB155_57:                             ;   in Loop: Header=BB155_53 Depth=1
	s_wait_xcnt 0x0
	s_or_b32 exec_lo, exec_lo, s18
.LBB155_58:                             ;   in Loop: Header=BB155_53 Depth=1
	s_delay_alu instid0(SALU_CYCLE_1) | instskip(SKIP_4) | instid1(VALU_DEP_3)
	s_or_b32 exec_lo, exec_lo, s13
	v_dual_mov_b32 v7, v2 :: v_dual_mov_b32 v8, v2
	v_dual_mov_b32 v9, v2 :: v_dual_mov_b32 v3, v2
	;; [unrolled: 1-line block ×3, first 2 shown]
	v_mov_b32_e32 v6, v2
	v_mov_b64_e32 v[16:17], v[8:9]
	v_mov_b64_e32 v[24:25], v[8:9]
	;; [unrolled: 1-line block ×8, first 2 shown]
	s_mov_b32 s13, exec_lo
	v_cmpx_gt_i64_e64 s[4:5], v[90:91]
	s_cbranch_execz .LBB155_60
; %bb.59:                               ;   in Loop: Header=BB155_53 Depth=1
	v_add_nc_u64_e32 v[4:5], v[58:59], v[56:57]
	v_add_nc_u64_e32 v[6:7], v[60:61], v[56:57]
	v_dual_mov_b32 v19, v2 :: v_dual_mov_b32 v20, v2
	v_dual_mov_b32 v21, v2 :: v_dual_mov_b32 v22, v2
	;; [unrolled: 1-line block ×3, first 2 shown]
	global_load_b32 v18, v[4:5], off
	global_load_b32 v10, v[6:7], off
	v_dual_mov_b32 v25, v2 :: v_dual_mov_b32 v11, v2
	v_dual_mov_b32 v12, v2 :: v_dual_mov_b32 v13, v2
	;; [unrolled: 1-line block ×4, first 2 shown]
.LBB155_60:                             ;   in Loop: Header=BB155_53 Depth=1
	s_wait_xcnt 0x0
	s_or_b32 exec_lo, exec_lo, s13
	v_add_nc_u64_e32 v[4:5], 1, v[90:91]
	s_mov_b32 s13, exec_lo
	s_delay_alu instid0(VALU_DEP_1)
	v_cmpx_gt_i64_e64 s[4:5], v[4:5]
	s_cbranch_execz .LBB155_62
; %bb.61:                               ;   in Loop: Header=BB155_53 Depth=1
	v_add_nc_u64_e32 v[4:5], v[86:87], v[56:57]
	v_add_nc_u64_e32 v[6:7], v[88:89], v[56:57]
	global_load_b32 v19, v[4:5], off
	global_load_b32 v11, v[6:7], off
.LBB155_62:                             ;   in Loop: Header=BB155_53 Depth=1
	s_wait_xcnt 0x0
	s_or_b32 exec_lo, exec_lo, s13
	v_add_nc_u64_e32 v[4:5], 2, v[90:91]
	s_mov_b32 s13, exec_lo
	s_delay_alu instid0(VALU_DEP_1)
	v_cmpx_gt_i64_e64 s[4:5], v[4:5]
	s_cbranch_execz .LBB155_64
; %bb.63:                               ;   in Loop: Header=BB155_53 Depth=1
	v_add_nc_u64_e32 v[4:5], v[82:83], v[56:57]
	v_add_nc_u64_e32 v[6:7], v[84:85], v[56:57]
	global_load_b32 v20, v[4:5], off
	global_load_b32 v12, v[6:7], off
.LBB155_64:                             ;   in Loop: Header=BB155_53 Depth=1
	;; [unrolled: 13-line block ×7, first 2 shown]
	s_wait_xcnt 0x0
	s_or_b32 exec_lo, exec_lo, s13
	s_wait_loadcnt 0x0
	ds_bpermute_b32 v4, v2, v94
	ds_bpermute_b32 v5, v2, v94 offset:4
	ds_bpermute_b32 v6, v2, v94 offset:8
	;; [unrolled: 1-line block ×3, first 2 shown]
	v_pk_mul_f32 v[8:9], v[10:11], v[18:19]
	ds_bpermute_b32 v10, v2, v94 offset:16
	ds_bpermute_b32 v11, v2, v94 offset:20
	s_mov_b32 s13, 0
	s_wait_dscnt 0x4
	v_pk_mul_f32 v[4:5], v[8:9], v[4:5]
	v_pk_mul_f32 v[8:9], v[12:13], v[20:21]
	s_delay_alu instid0(VALU_DEP_2)
	v_add_f32_e32 v3, v93, v4
	ds_bpermute_b32 v4, v2, v94 offset:24
	s_wait_dscnt 0x3
	v_pk_mul_f32 v[6:7], v[8:9], v[6:7]
	v_pk_mul_f32 v[8:9], v[14:15], v[22:23]
	v_add_f32_e32 v3, v3, v5
	ds_bpermute_b32 v5, v2, v94 offset:28
	s_wait_dscnt 0x2
	v_pk_mul_f32 v[8:9], v[8:9], v[10:11]
	v_add_f32_e32 v3, v3, v6
	s_delay_alu instid0(VALU_DEP_1) | instskip(SKIP_1) | instid1(VALU_DEP_2)
	v_add_f32_e32 v3, v3, v7
	v_pk_mul_f32 v[6:7], v[16:17], v[24:25]
	v_add_f32_e32 v3, v3, v8
	s_delay_alu instid0(VALU_DEP_1) | instskip(SKIP_1) | instid1(VALU_DEP_3)
	v_add_f32_e32 v3, v3, v9
	s_wait_dscnt 0x0
	v_pk_mul_f32 v[4:5], v[6:7], v[4:5]
	s_delay_alu instid0(VALU_DEP_1) | instskip(NEXT) | instid1(VALU_DEP_1)
	v_add_f32_e32 v3, v3, v4
	v_add_f32_e32 v4, v3, v5
.LBB155_75:                             ;   in Loop: Header=BB155_53 Depth=1
	s_and_b32 vcc_lo, exec_lo, s13
	s_cbranch_vccz .LBB155_81
; %bb.76:                               ;   in Loop: Header=BB155_53 Depth=1
	s_load_b32 s13, s[22:23], 0x0
	s_wait_kmcnt 0x0
	s_cmp_lt_u32 s12, s13
	s_cselect_b32 s18, 12, 18
	s_delay_alu instid0(SALU_CYCLE_1) | instskip(SKIP_4) | instid1(VALU_DEP_1)
	s_add_nc_u64 s[26:27], s[22:23], s[18:19]
	s_load_u16 s13, s[26:27], 0x0
	s_wait_kmcnt 0x0
	v_mad_u32_u24 v3, v1, s13, v92
	s_mov_b32 s13, exec_lo
	v_dual_mov_b32 v3, 0 :: v_dual_bitop2_b32 v4, 31, v3 bitop3:0x40
	s_delay_alu instid0(VALU_DEP_1)
	v_cmpx_gt_u32_e32 8, v4
	s_cbranch_execz .LBB155_80
; %bb.77:                               ;   in Loop: Header=BB155_53 Depth=1
	v_dual_mov_b32 v5, v2 :: v_dual_mov_b32 v3, 0
	s_mov_b32 s18, exec_lo
	s_delay_alu instid0(VALU_DEP_1) | instskip(NEXT) | instid1(VALU_DEP_1)
	v_add_nc_u64_e32 v[4:5], v[90:91], v[4:5]
	v_cmpx_gt_i64_e64 s[4:5], v[4:5]
	s_cbranch_execz .LBB155_79
; %bb.78:                               ;   in Loop: Header=BB155_53 Depth=1
	v_lshl_add_u64 v[4:5], v[4:5], 2, s[14:15]
	global_load_b32 v3, v[4:5], off
.LBB155_79:                             ;   in Loop: Header=BB155_53 Depth=1
	s_wait_xcnt 0x0
	s_or_b32 exec_lo, exec_lo, s18
.LBB155_80:                             ;   in Loop: Header=BB155_53 Depth=1
	s_delay_alu instid0(SALU_CYCLE_1)
	s_or_b32 exec_lo, exec_lo, s13
	v_add_nc_u64_e32 v[4:5], v[58:59], v[56:57]
	v_add_nc_u64_e32 v[6:7], v[60:61], v[56:57]
	;; [unrolled: 1-line block ×5, first 2 shown]
	global_load_b32 v12, v[4:5], off
	global_load_b32 v14, v[6:7], off
	;; [unrolled: 1-line block ×4, first 2 shown]
	s_wait_xcnt 0x3
	v_add_nc_u64_e32 v[4:5], v[30:31], v[56:57]
	s_wait_xcnt 0x2
	v_add_nc_u64_e32 v[6:7], v[40:41], v[56:57]
	;; [unrolled: 2-line block ×4, first 2 shown]
	global_load_b32 v18, v[4:5], off
	global_load_b32 v20, v[6:7], off
	global_load_b32 v19, v[8:9], off
	global_load_b32 v21, v[10:11], off
	s_wait_xcnt 0x3
	v_add_nc_u64_e32 v[4:5], v[46:47], v[56:57]
	s_wait_xcnt 0x2
	v_add_nc_u64_e32 v[6:7], v[36:37], v[56:57]
	;; [unrolled: 2-line block ×3, first 2 shown]
	global_load_b32 v10, v[16:17], off
	global_load_b32 v22, v[4:5], off
	global_load_b32 v11, v[6:7], off
	global_load_b32 v23, v[8:9], off
	s_wait_xcnt 0x2
	v_add_nc_u64_e32 v[4:5], v[44:45], v[56:57]
	s_wait_xcnt 0x1
	v_add_nc_u64_e32 v[6:7], v[52:53], v[56:57]
	;; [unrolled: 2-line block ×3, first 2 shown]
	v_add_nc_u64_e32 v[16:17], v[54:55], v[56:57]
	global_load_b32 v24, v[4:5], off
	global_load_b32 v90, v[6:7], off
	;; [unrolled: 1-line block ×4, first 2 shown]
	s_wait_loadcnt 0x10
	s_wait_xcnt 0x3
	ds_bpermute_b32 v4, v2, v3
	ds_bpermute_b32 v5, v2, v3 offset:4
	s_wait_xcnt 0x2
	ds_bpermute_b32 v6, v2, v3 offset:8
	ds_bpermute_b32 v7, v2, v3 offset:12
	s_wait_loadcnt 0xc
	s_wait_xcnt 0x1
	v_pk_mul_f32 v[8:9], v[12:13], v[14:15]
	ds_bpermute_b32 v12, v2, v3 offset:16
	ds_bpermute_b32 v13, v2, v3 offset:20
	s_wait_dscnt 0x4
	v_pk_mul_f32 v[4:5], v[8:9], v[4:5]
	s_wait_loadcnt 0x8
	v_pk_mul_f32 v[8:9], v[18:19], v[20:21]
	s_wait_dscnt 0x2
	s_delay_alu instid0(VALU_DEP_1)
	v_pk_mul_f32 v[6:7], v[8:9], v[6:7]
	v_add_f32_e32 v14, v93, v4
	s_wait_loadcnt 0x4
	v_pk_mul_f32 v[8:9], v[10:11], v[22:23]
	ds_bpermute_b32 v4, v2, v3 offset:24
	s_wait_dscnt 0x1
	v_pk_mul_f32 v[8:9], v[8:9], v[12:13]
	v_add_f32_e32 v14, v14, v5
	ds_bpermute_b32 v5, v2, v3 offset:28
	v_add_f32_e32 v3, v14, v6
	s_delay_alu instid0(VALU_DEP_1) | instskip(SKIP_2) | instid1(VALU_DEP_2)
	v_add_f32_e32 v3, v3, v7
	s_wait_loadcnt 0x0
	v_pk_mul_f32 v[6:7], v[24:25], v[90:91]
	v_add_f32_e32 v3, v3, v8
	s_delay_alu instid0(VALU_DEP_1) | instskip(SKIP_1) | instid1(VALU_DEP_3)
	v_add_f32_e32 v3, v3, v9
	s_wait_dscnt 0x0
	v_pk_mul_f32 v[4:5], v[6:7], v[4:5]
	s_delay_alu instid0(VALU_DEP_1) | instskip(NEXT) | instid1(VALU_DEP_1)
	v_add_f32_e32 v3, v3, v4
	v_add_f32_e32 v4, v3, v5
.LBB155_81:                             ;   in Loop: Header=BB155_53 Depth=1
	s_add_nc_u64 s[24:25], s[24:25], s[20:21]
	v_add_nc_u64_e32 v[58:59], s[8:9], v[58:59]
	v_cmp_ge_i64_e64 s13, s[24:25], s[4:5]
	v_add_nc_u64_e32 v[60:61], s[8:9], v[60:61]
	v_add_nc_u64_e32 v[26:27], s[20:21], v[26:27]
	;; [unrolled: 1-line block ×30, first 2 shown]
	s_and_b32 vcc_lo, exec_lo, s13
	s_add_nc_u64 s[10:11], s[10:11], s[20:21]
	s_cbranch_vccnz .LBB155_83
; %bb.82:                               ;   in Loop: Header=BB155_53 Depth=1
	v_mov_b32_e32 v93, v4
	s_branch .LBB155_53
.LBB155_83:
	s_mov_b32 s13, 0
	s_delay_alu instid0(SALU_CYCLE_1)
	s_lshl_b64 s[4:5], s[12:13], 5
	s_wait_kmcnt 0x0
	s_cmp_lg_u64 s[2:3], 0
	v_and_or_b32 v2, 0x3ff, v0, s4
	v_mov_b32_e32 v3, s5
	s_cselect_b32 s4, -1, 0
	s_delay_alu instid0(VALU_DEP_1) | instskip(SKIP_1) | instid1(SALU_CYCLE_1)
	v_cmp_gt_i64_e32 vcc_lo, s[6:7], v[2:3]
	s_and_b32 s4, vcc_lo, s4
	s_and_saveexec_b32 s5, s4
	s_cbranch_execz .LBB155_85
; %bb.84:
	s_load_u16 s0, s[0:1], 0x4e
	v_bfe_u32 v0, v0, 10, 10
	v_mov_b32_e32 v1, 0
	s_wait_kmcnt 0x0
	s_delay_alu instid0(VALU_DEP_1) | instskip(NEXT) | instid1(VALU_DEP_1)
	v_mad_nc_u64_u32 v[0:1], s0, s30, v[0:1]
	v_mul_u64_e32 v[0:1], s[6:7], v[0:1]
	s_delay_alu instid0(VALU_DEP_1) | instskip(NEXT) | instid1(VALU_DEP_1)
	v_lshl_add_u64 v[0:1], v[0:1], 2, s[2:3]
	v_lshl_add_u64 v[0:1], v[2:3], 2, v[0:1]
	global_store_b32 v[0:1], v4, off
.LBB155_85:
	s_sendmsg sendmsg(MSG_DEALLOC_VGPRS)
	s_endpgm
	.section	.rodata,"a",@progbits
	.p2align	6, 0x0
	.amdhsa_kernel _ZN2at6native12_GLOBAL__N_135GammaBetaBackwardCUDAKernelTemplateIffLj32ELj1ELj8ELb1ELb0ELb1EEEvllPKT_S5_PKT0_S8_PS3_S9_
		.amdhsa_group_segment_fixed_size 0
		.amdhsa_private_segment_fixed_size 0
		.amdhsa_kernarg_size 320
		.amdhsa_user_sgpr_count 2
		.amdhsa_user_sgpr_dispatch_ptr 0
		.amdhsa_user_sgpr_queue_ptr 0
		.amdhsa_user_sgpr_kernarg_segment_ptr 1
		.amdhsa_user_sgpr_dispatch_id 0
		.amdhsa_user_sgpr_kernarg_preload_length 0
		.amdhsa_user_sgpr_kernarg_preload_offset 0
		.amdhsa_user_sgpr_private_segment_size 0
		.amdhsa_wavefront_size32 1
		.amdhsa_uses_dynamic_stack 0
		.amdhsa_enable_private_segment 0
		.amdhsa_system_sgpr_workgroup_id_x 1
		.amdhsa_system_sgpr_workgroup_id_y 1
		.amdhsa_system_sgpr_workgroup_id_z 0
		.amdhsa_system_sgpr_workgroup_info 0
		.amdhsa_system_vgpr_workitem_id 1
		.amdhsa_next_free_vgpr 95
		.amdhsa_next_free_sgpr 36
		.amdhsa_named_barrier_count 0
		.amdhsa_reserve_vcc 1
		.amdhsa_float_round_mode_32 0
		.amdhsa_float_round_mode_16_64 0
		.amdhsa_float_denorm_mode_32 3
		.amdhsa_float_denorm_mode_16_64 3
		.amdhsa_fp16_overflow 0
		.amdhsa_memory_ordered 1
		.amdhsa_forward_progress 1
		.amdhsa_inst_pref_size 40
		.amdhsa_round_robin_scheduling 0
		.amdhsa_exception_fp_ieee_invalid_op 0
		.amdhsa_exception_fp_denorm_src 0
		.amdhsa_exception_fp_ieee_div_zero 0
		.amdhsa_exception_fp_ieee_overflow 0
		.amdhsa_exception_fp_ieee_underflow 0
		.amdhsa_exception_fp_ieee_inexact 0
		.amdhsa_exception_int_div_zero 0
	.end_amdhsa_kernel
	.section	.text._ZN2at6native12_GLOBAL__N_135GammaBetaBackwardCUDAKernelTemplateIffLj32ELj1ELj8ELb1ELb0ELb1EEEvllPKT_S5_PKT0_S8_PS3_S9_,"axG",@progbits,_ZN2at6native12_GLOBAL__N_135GammaBetaBackwardCUDAKernelTemplateIffLj32ELj1ELj8ELb1ELb0ELb1EEEvllPKT_S5_PKT0_S8_PS3_S9_,comdat
.Lfunc_end155:
	.size	_ZN2at6native12_GLOBAL__N_135GammaBetaBackwardCUDAKernelTemplateIffLj32ELj1ELj8ELb1ELb0ELb1EEEvllPKT_S5_PKT0_S8_PS3_S9_, .Lfunc_end155-_ZN2at6native12_GLOBAL__N_135GammaBetaBackwardCUDAKernelTemplateIffLj32ELj1ELj8ELb1ELb0ELb1EEEvllPKT_S5_PKT0_S8_PS3_S9_
                                        ; -- End function
	.set _ZN2at6native12_GLOBAL__N_135GammaBetaBackwardCUDAKernelTemplateIffLj32ELj1ELj8ELb1ELb0ELb1EEEvllPKT_S5_PKT0_S8_PS3_S9_.num_vgpr, 95
	.set _ZN2at6native12_GLOBAL__N_135GammaBetaBackwardCUDAKernelTemplateIffLj32ELj1ELj8ELb1ELb0ELb1EEEvllPKT_S5_PKT0_S8_PS3_S9_.num_agpr, 0
	.set _ZN2at6native12_GLOBAL__N_135GammaBetaBackwardCUDAKernelTemplateIffLj32ELj1ELj8ELb1ELb0ELb1EEEvllPKT_S5_PKT0_S8_PS3_S9_.numbered_sgpr, 36
	.set _ZN2at6native12_GLOBAL__N_135GammaBetaBackwardCUDAKernelTemplateIffLj32ELj1ELj8ELb1ELb0ELb1EEEvllPKT_S5_PKT0_S8_PS3_S9_.num_named_barrier, 0
	.set _ZN2at6native12_GLOBAL__N_135GammaBetaBackwardCUDAKernelTemplateIffLj32ELj1ELj8ELb1ELb0ELb1EEEvllPKT_S5_PKT0_S8_PS3_S9_.private_seg_size, 0
	.set _ZN2at6native12_GLOBAL__N_135GammaBetaBackwardCUDAKernelTemplateIffLj32ELj1ELj8ELb1ELb0ELb1EEEvllPKT_S5_PKT0_S8_PS3_S9_.uses_vcc, 1
	.set _ZN2at6native12_GLOBAL__N_135GammaBetaBackwardCUDAKernelTemplateIffLj32ELj1ELj8ELb1ELb0ELb1EEEvllPKT_S5_PKT0_S8_PS3_S9_.uses_flat_scratch, 0
	.set _ZN2at6native12_GLOBAL__N_135GammaBetaBackwardCUDAKernelTemplateIffLj32ELj1ELj8ELb1ELb0ELb1EEEvllPKT_S5_PKT0_S8_PS3_S9_.has_dyn_sized_stack, 0
	.set _ZN2at6native12_GLOBAL__N_135GammaBetaBackwardCUDAKernelTemplateIffLj32ELj1ELj8ELb1ELb0ELb1EEEvllPKT_S5_PKT0_S8_PS3_S9_.has_recursion, 0
	.set _ZN2at6native12_GLOBAL__N_135GammaBetaBackwardCUDAKernelTemplateIffLj32ELj1ELj8ELb1ELb0ELb1EEEvllPKT_S5_PKT0_S8_PS3_S9_.has_indirect_call, 0
	.section	.AMDGPU.csdata,"",@progbits
; Kernel info:
; codeLenInByte = 5104
; TotalNumSgprs: 38
; NumVgprs: 95
; ScratchSize: 0
; MemoryBound: 0
; FloatMode: 240
; IeeeMode: 1
; LDSByteSize: 0 bytes/workgroup (compile time only)
; SGPRBlocks: 0
; VGPRBlocks: 5
; NumSGPRsForWavesPerEU: 38
; NumVGPRsForWavesPerEU: 95
; NamedBarCnt: 0
; Occupancy: 10
; WaveLimiterHint : 0
; COMPUTE_PGM_RSRC2:SCRATCH_EN: 0
; COMPUTE_PGM_RSRC2:USER_SGPR: 2
; COMPUTE_PGM_RSRC2:TRAP_HANDLER: 0
; COMPUTE_PGM_RSRC2:TGID_X_EN: 1
; COMPUTE_PGM_RSRC2:TGID_Y_EN: 1
; COMPUTE_PGM_RSRC2:TGID_Z_EN: 0
; COMPUTE_PGM_RSRC2:TIDIG_COMP_CNT: 1
	.section	.text._ZN2at6native12_GLOBAL__N_135GammaBetaBackwardCUDAKernelTemplateIffLj32ELj8ELj64ELb0ELb1ELb1EEEvllPKT_S5_PKT0_S8_PS3_S9_,"axG",@progbits,_ZN2at6native12_GLOBAL__N_135GammaBetaBackwardCUDAKernelTemplateIffLj32ELj8ELj64ELb0ELb1ELb1EEEvllPKT_S5_PKT0_S8_PS3_S9_,comdat
	.globl	_ZN2at6native12_GLOBAL__N_135GammaBetaBackwardCUDAKernelTemplateIffLj32ELj8ELj64ELb0ELb1ELb1EEEvllPKT_S5_PKT0_S8_PS3_S9_ ; -- Begin function _ZN2at6native12_GLOBAL__N_135GammaBetaBackwardCUDAKernelTemplateIffLj32ELj8ELj64ELb0ELb1ELb1EEEvllPKT_S5_PKT0_S8_PS3_S9_
	.p2align	8
	.type	_ZN2at6native12_GLOBAL__N_135GammaBetaBackwardCUDAKernelTemplateIffLj32ELj8ELj64ELb0ELb1ELb1EEEvllPKT_S5_PKT0_S8_PS3_S9_,@function
_ZN2at6native12_GLOBAL__N_135GammaBetaBackwardCUDAKernelTemplateIffLj32ELj8ELj64ELb0ELb1ELb1EEEvllPKT_S5_PKT0_S8_PS3_S9_: ; @_ZN2at6native12_GLOBAL__N_135GammaBetaBackwardCUDAKernelTemplateIffLj32ELj8ELj64ELb0ELb1ELb1EEEvllPKT_S5_PKT0_S8_PS3_S9_
; %bb.0:
	s_load_b128 s[4:7], s[0:1], 0x0
	s_bfe_u32 s2, ttmp6, 0x40010
	s_bfe_u32 s3, ttmp6, 0x40004
	s_add_co_i32 s2, s2, 1
	s_getreg_b32 s20, hwreg(HW_REG_IB_STS2, 6, 4)
	s_mul_i32 s2, ttmp7, s2
	s_mov_b32 s13, 0
	s_add_co_i32 s3, s3, s2
	s_cmp_eq_u32 s20, 0
	v_bfe_u32 v9, v0, 10, 10
	s_cselect_b32 s2, ttmp7, s3
	s_delay_alu instid0(SALU_CYCLE_1)
	s_lshl_b32 s12, s2, 6
	s_wait_kmcnt 0x0
	v_cmp_gt_i64_e64 s2, s[4:5], s[12:13]
	s_and_b32 vcc_lo, exec_lo, s2
	s_cbranch_vccnz .LBB156_2
; %bb.1:
	v_bfe_u32 v1, v0, 10, 10
	s_mov_b32 s2, s13
	v_and_b32_e32 v8, 0x3ff, v0
	v_mov_b32_e32 v16, 0
	s_and_not1_b32 vcc_lo, exec_lo, s2
	s_cbranch_vccz .LBB156_3
	s_branch .LBB156_10
.LBB156_2:
                                        ; implicit-def: $vgpr1
	v_and_b32_e32 v8, 0x3ff, v0
	v_mov_b32_e32 v16, 0
.LBB156_3:
	v_dual_mov_b32 v1, 0 :: v_dual_lshlrev_b32 v0, 3, v9
	s_load_b32 s2, s[0:1], 0x4c
	s_bfe_u32 s14, ttmp6, 0x4000c
	s_clause 0x2
	s_load_b32 s3, s[0:1], 0x44
	s_load_b128 s[8:11], s[0:1], 0x10
	s_load_b64 s[16:17], s[0:1], 0x28
	s_add_co_i32 s14, s14, 1
	v_add_nc_u64_e32 v[2:3], s[12:13], v[0:1]
	s_and_b32 s18, ttmp6, 15
	s_mul_i32 s14, ttmp9, s14
	v_dual_mov_b32 v5, v1 :: v_dual_mov_b32 v15, v1
	s_add_co_i32 s18, s18, s14
	s_mov_b32 s15, 0
	s_delay_alu instid0(VALU_DEP_2)
	v_mul_u64_e32 v[6:7], s[6:7], v[2:3]
	v_dual_mov_b32 v0, 8 :: v_dual_mov_b32 v10, 4
	v_dual_mov_b32 v12, 16 :: v_dual_mov_b32 v13, 20
	v_mov_b32_e32 v11, 12
	s_wait_kmcnt 0x0
	s_and_b32 s2, s2, 0xffff
	s_cmp_eq_u32 s20, 0
	v_mad_u32_u24 v4, v9, s2, v8
	s_cselect_b32 s2, ttmp9, s18
	s_lshl_b32 s14, s3, 6
	v_lshl_add_u32 v14, s2, 5, v8
	s_mul_u64 s[18:19], s[6:7], s[14:15]
	v_and_b32_e32 v4, 31, v4
	s_lshl_b64 s[18:19], s[18:19], 2
	s_lshl_b64 s[6:7], s[6:7], 2
	v_lshlrev_b64_e32 v[16:17], 2, v[14:15]
	v_dual_mov_b32 v14, 24 :: v_dual_mov_b32 v15, 28
	v_add_nc_u64_e32 v[2:3], v[2:3], v[4:5]
	v_cmp_gt_u32_e64 s2, 8, v4
	s_delay_alu instid0(VALU_DEP_2)
	v_lshl_add_u64 v[4:5], v[2:3], 2, s[16:17]
	s_lshl_b64 s[16:17], s[14:15], 2
	v_lshl_add_u64 v[6:7], v[6:7], 2, v[16:17]
	v_mov_b32_e32 v16, 0
	s_branch .LBB156_6
.LBB156_4:                              ;   in Loop: Header=BB156_6 Depth=1
	s_wait_xcnt 0x0
	s_or_b32 exec_lo, exec_lo, s21
.LBB156_5:                              ;   in Loop: Header=BB156_6 Depth=1
	s_delay_alu instid0(SALU_CYCLE_1)
	s_or_b32 exec_lo, exec_lo, s3
	v_add_nc_u64_e32 v[18:19], s[8:9], v[6:7]
	v_add_nc_u64_e32 v[20:21], s[10:11], v[6:7]
	s_add_nc_u64 s[12:13], s[12:13], s[14:15]
	v_add_nc_u64_e32 v[4:5], s[16:17], v[4:5]
	v_cmp_lt_i64_e64 s3, s[12:13], s[4:5]
	v_add_nc_u64_e32 v[2:3], s[14:15], v[2:3]
	v_add_nc_u64_e32 v[6:7], s[18:19], v[6:7]
	;; [unrolled: 1-line block ×4, first 2 shown]
	global_load_b32 v30, v[18:19], off
	global_load_b32 v32, v[20:21], off
	;; [unrolled: 1-line block ×4, first 2 shown]
	v_add_nc_u64_e32 v[26:27], s[6:7], v[22:23]
	v_add_nc_u64_e32 v[28:29], s[6:7], v[24:25]
	s_and_b32 vcc_lo, exec_lo, s3
	s_wait_xcnt 0x3
	s_delay_alu instid0(VALU_DEP_2) | instskip(SKIP_1) | instid1(VALU_DEP_2)
	v_add_nc_u64_e32 v[18:19], s[6:7], v[26:27]
	s_wait_xcnt 0x2
	v_add_nc_u64_e32 v[20:21], s[6:7], v[28:29]
	global_load_b32 v34, v[26:27], off
	global_load_b32 v36, v[28:29], off
	;; [unrolled: 1-line block ×4, first 2 shown]
	s_wait_xcnt 0x5
	v_add_nc_u64_e32 v[22:23], s[6:7], v[18:19]
	s_wait_xcnt 0x4
	v_add_nc_u64_e32 v[24:25], s[6:7], v[20:21]
	s_wait_xcnt 0x1
	s_delay_alu instid0(VALU_DEP_2) | instskip(SKIP_1) | instid1(VALU_DEP_2)
	v_add_nc_u64_e32 v[18:19], s[6:7], v[22:23]
	s_wait_xcnt 0x0
	v_add_nc_u64_e32 v[20:21], s[6:7], v[24:25]
	global_load_b32 v22, v[22:23], off
	global_load_b32 v38, v[24:25], off
	;; [unrolled: 1-line block ×4, first 2 shown]
	v_add_nc_u64_e32 v[26:27], s[6:7], v[18:19]
	v_add_nc_u64_e32 v[28:29], s[6:7], v[20:21]
	s_wait_xcnt 0x1
	s_delay_alu instid0(VALU_DEP_2) | instskip(SKIP_1) | instid1(VALU_DEP_2)
	v_add_nc_u64_e32 v[18:19], s[6:7], v[26:27]
	s_wait_xcnt 0x0
	v_add_nc_u64_e32 v[20:21], s[6:7], v[28:29]
	global_load_b32 v24, v[26:27], off
	global_load_b32 v40, v[28:29], off
	;; [unrolled: 1-line block ×4, first 2 shown]
	s_wait_loadcnt 0x10
	s_wait_xcnt 0x1
	ds_bpermute_b32 v18, v1, v17
	ds_bpermute_b32 v19, v10, v17
	s_wait_xcnt 0x0
	ds_bpermute_b32 v20, v0, v17
	ds_bpermute_b32 v21, v11, v17
	s_wait_loadcnt 0xc
	v_pk_mul_f32 v[26:27], v[30:31], v[32:33]
	s_wait_dscnt 0x2
	s_delay_alu instid0(VALU_DEP_1)
	v_pk_mul_f32 v[18:19], v[26:27], v[18:19]
	ds_bpermute_b32 v26, v12, v17
	ds_bpermute_b32 v27, v13, v17
	v_add_f32_e32 v16, v16, v18
	s_wait_loadcnt 0x8
	v_pk_mul_f32 v[28:29], v[34:35], v[36:37]
	s_delay_alu instid0(VALU_DEP_2) | instskip(SKIP_4) | instid1(VALU_DEP_1)
	v_add_f32_e32 v30, v16, v19
	ds_bpermute_b32 v16, v14, v17
	ds_bpermute_b32 v17, v15, v17
	s_wait_dscnt 0x4
	v_pk_mul_f32 v[18:19], v[28:29], v[20:21]
	v_add_f32_e32 v18, v30, v18
	s_wait_loadcnt 0x4
	v_pk_mul_f32 v[20:21], v[22:23], v[38:39]
	s_delay_alu instid0(VALU_DEP_2) | instskip(SKIP_1) | instid1(VALU_DEP_2)
	v_add_f32_e32 v22, v18, v19
	s_wait_dscnt 0x2
	v_pk_mul_f32 v[18:19], v[20:21], v[26:27]
	s_wait_loadcnt 0x0
	v_pk_mul_f32 v[20:21], v[24:25], v[40:41]
	s_wait_dscnt 0x0
	s_delay_alu instid0(VALU_DEP_1) | instskip(SKIP_1) | instid1(VALU_DEP_1)
	v_pk_mul_f32 v[16:17], v[20:21], v[16:17]
	v_add_f32_e32 v18, v22, v18
	v_add_f32_e32 v18, v18, v19
	s_delay_alu instid0(VALU_DEP_1) | instskip(NEXT) | instid1(VALU_DEP_1)
	v_add_f32_e32 v16, v18, v16
	v_add_f32_e32 v16, v16, v17
	s_cbranch_vccz .LBB156_9
.LBB156_6:                              ; =>This Inner Loop Header: Depth=1
	v_mov_b32_e32 v17, 0
	s_and_saveexec_b32 s3, s2
	s_cbranch_execz .LBB156_5
; %bb.7:                                ;   in Loop: Header=BB156_6 Depth=1
	v_mov_b32_e32 v17, 0
	s_mov_b32 s21, exec_lo
	v_cmpx_gt_i64_e64 s[4:5], v[2:3]
	s_cbranch_execz .LBB156_4
; %bb.8:                                ;   in Loop: Header=BB156_6 Depth=1
	global_load_b32 v17, v[4:5], off
	s_branch .LBB156_4
.LBB156_9:
	v_mov_b32_e32 v1, v9
.LBB156_10:
	s_load_b64 s[2:3], s[0:1], 0x30
	s_delay_alu instid0(VALU_DEP_1) | instskip(SKIP_3) | instid1(VALU_DEP_2)
	v_mad_u32_u24 v0, v1, 33, v8
	v_dual_lshrrev_b32 v2, 5, v8 :: v_dual_mov_b32 v4, 0
	s_wait_xcnt 0x0
	s_mov_b32 s0, exec_lo
	v_lshl_add_u32 v3, v0, 2, 0
	s_delay_alu instid0(VALU_DEP_2)
	v_add_nc_u32_e32 v0, v2, v1
	ds_store_b32 v3, v16
	ds_store_b32 v3, v4 offset:1056
	s_wait_dscnt 0x0
	s_barrier_signal -1
	s_barrier_wait -1
	v_cmpx_gt_u32_e32 32, v0
	s_cbranch_execz .LBB156_30
; %bb.11:
	v_and_b32_e32 v1, 31, v8
                                        ; implicit-def: $vgpr4
	s_delay_alu instid0(VALU_DEP_1)
	v_cmp_gt_u32_e32 vcc_lo, 8, v1
	v_mul_u32_u24_e32 v1, 33, v1
	s_and_saveexec_b32 s0, vcc_lo
; %bb.12:
	s_delay_alu instid0(VALU_DEP_1) | instskip(NEXT) | instid1(VALU_DEP_1)
	v_dual_lshlrev_b32 v2, 2, v0 :: v_dual_lshlrev_b32 v3, 2, v1
	v_add3_u32 v2, 0, v2, v3
	ds_load_b32 v4, v2
; %bb.13:
	s_or_b32 exec_lo, exec_lo, s0
	v_mbcnt_lo_u32_b32 v5, -1, 0
	s_wait_kmcnt 0x0
	s_cmp_lg_u64 s[2:3], 0
	s_cselect_b32 s1, -1, 0
	s_bfe_u32 s4, ttmp6, 0x4000c
	v_xor_b32_e32 v3, 2, v5
	v_xor_b32_e32 v2, 4, v5
	s_add_co_i32 s4, s4, 1
	s_and_b32 s5, ttmp6, 15
	s_mul_i32 s4, ttmp9, s4
	v_xor_b32_e32 v7, 1, v5
	v_cmp_gt_i32_e64 s0, 32, v2
	s_delay_alu instid0(VALU_DEP_1) | instskip(SKIP_1) | instid1(VALU_DEP_1)
	v_cndmask_b32_e64 v2, v5, v2, s0
	v_cmp_gt_i32_e64 s0, 32, v3
	v_cndmask_b32_e64 v3, v5, v3, s0
	v_cmp_gt_i32_e64 s0, 32, v7
	s_delay_alu instid0(VALU_DEP_2)
	v_dual_lshlrev_b32 v3, 2, v3 :: v_dual_lshlrev_b32 v2, 2, v2
	s_wait_dscnt 0x0
	ds_bpermute_b32 v6, v2, v4
	s_wait_dscnt 0x0
	v_add_f32_e32 v4, v4, v6
	ds_bpermute_b32 v6, v3, v4
	v_cndmask_b32_e64 v5, v5, v7, s0
	v_cmp_eq_u32_e64 s0, 0, v8
	s_and_b32 s1, s0, s1
	s_add_co_i32 s0, s5, s4
	s_cmp_eq_u32 s20, 0
	s_mov_b32 s5, 0
	s_cselect_b32 s4, ttmp9, s0
	s_delay_alu instid0(SALU_CYCLE_1) | instskip(NEXT) | instid1(SALU_CYCLE_1)
	s_lshl_b64 s[4:5], s[4:5], 7
	s_add_nc_u64 s[2:3], s[2:3], s[4:5]
	s_wait_dscnt 0x0
	v_dual_add_f32 v6, v4, v6 :: v_dual_lshlrev_b32 v4, 2, v5
	ds_bpermute_b32 v5, v4, v6
	s_wait_dscnt 0x0
	v_add_f32_e32 v5, v6, v5
	s_and_saveexec_b32 s0, s1
	s_cbranch_execz .LBB156_15
; %bb.14:
	global_store_b32 v0, v5, s[2:3] scale_offset
.LBB156_15:
	s_wait_xcnt 0x0
	s_or_b32 exec_lo, exec_lo, s0
	v_cmp_gt_u32_e64 s0, 24, v0
	s_and_b32 exec_lo, exec_lo, s0
	s_cbranch_execz .LBB156_30
; %bb.16:
	s_and_saveexec_b32 s0, vcc_lo
; %bb.17:
	v_dual_lshlrev_b32 v5, 2, v0 :: v_dual_lshlrev_b32 v6, 2, v1
	s_delay_alu instid0(VALU_DEP_1)
	v_add3_u32 v5, 0, v5, v6
	ds_load_b32 v5, v5 offset:32
; %bb.18:
	s_or_b32 exec_lo, exec_lo, s0
	s_wait_dscnt 0x0
	ds_bpermute_b32 v6, v2, v5
	s_wait_dscnt 0x0
	v_add_f32_e32 v5, v5, v6
	ds_bpermute_b32 v6, v3, v5
	s_wait_dscnt 0x0
	v_add_f32_e32 v5, v5, v6
	;; [unrolled: 3-line block ×3, first 2 shown]
	s_and_saveexec_b32 s0, s1
	s_cbranch_execz .LBB156_20
; %bb.19:
	global_store_b32 v0, v5, s[2:3] offset:32 scale_offset
.LBB156_20:
	s_wait_xcnt 0x0
	s_or_b32 exec_lo, exec_lo, s0
	v_cmp_gt_u32_e64 s0, 16, v0
	s_and_b32 exec_lo, exec_lo, s0
	s_cbranch_execz .LBB156_30
; %bb.21:
	s_and_saveexec_b32 s0, vcc_lo
; %bb.22:
	v_dual_lshlrev_b32 v5, 2, v0 :: v_dual_lshlrev_b32 v6, 2, v1
	s_delay_alu instid0(VALU_DEP_1)
	v_add3_u32 v5, 0, v5, v6
	ds_load_b32 v5, v5 offset:64
; %bb.23:
	s_or_b32 exec_lo, exec_lo, s0
	s_wait_dscnt 0x0
	ds_bpermute_b32 v6, v2, v5
	s_wait_dscnt 0x0
	v_add_f32_e32 v5, v5, v6
	ds_bpermute_b32 v6, v3, v5
	s_wait_dscnt 0x0
	v_add_f32_e32 v5, v5, v6
	;; [unrolled: 3-line block ×3, first 2 shown]
	s_and_saveexec_b32 s0, s1
	s_cbranch_execz .LBB156_25
; %bb.24:
	global_store_b32 v0, v5, s[2:3] offset:64 scale_offset
.LBB156_25:
	s_wait_xcnt 0x0
	s_or_b32 exec_lo, exec_lo, s0
	v_cmp_gt_u32_e64 s0, 8, v0
	s_and_b32 exec_lo, exec_lo, s0
	s_cbranch_execz .LBB156_30
; %bb.26:
	s_and_saveexec_b32 s0, vcc_lo
; %bb.27:
	v_dual_lshlrev_b32 v5, 2, v0 :: v_dual_lshlrev_b32 v1, 2, v1
	s_delay_alu instid0(VALU_DEP_1)
	v_add3_u32 v1, 0, v5, v1
	ds_load_b32 v5, v1 offset:96
; %bb.28:
	s_or_b32 exec_lo, exec_lo, s0
	s_wait_dscnt 0x0
	ds_bpermute_b32 v1, v2, v5
	s_wait_dscnt 0x0
	v_add_f32_e32 v1, v5, v1
	ds_bpermute_b32 v2, v3, v1
	s_wait_dscnt 0x0
	v_add_f32_e32 v1, v1, v2
	ds_bpermute_b32 v2, v4, v1
	s_and_saveexec_b32 s0, s1
	s_delay_alu instid0(SALU_CYCLE_1)
	s_xor_b32 s0, exec_lo, s0
	s_cbranch_execz .LBB156_30
; %bb.29:
	s_wait_dscnt 0x0
	v_add_f32_e32 v1, v1, v2
	global_store_b32 v0, v1, s[2:3] offset:96 scale_offset
.LBB156_30:
	s_endpgm
	.section	.rodata,"a",@progbits
	.p2align	6, 0x0
	.amdhsa_kernel _ZN2at6native12_GLOBAL__N_135GammaBetaBackwardCUDAKernelTemplateIffLj32ELj8ELj64ELb0ELb1ELb1EEEvllPKT_S5_PKT0_S8_PS3_S9_
		.amdhsa_group_segment_fixed_size 0
		.amdhsa_private_segment_fixed_size 0
		.amdhsa_kernarg_size 320
		.amdhsa_user_sgpr_count 2
		.amdhsa_user_sgpr_dispatch_ptr 0
		.amdhsa_user_sgpr_queue_ptr 0
		.amdhsa_user_sgpr_kernarg_segment_ptr 1
		.amdhsa_user_sgpr_dispatch_id 0
		.amdhsa_user_sgpr_kernarg_preload_length 0
		.amdhsa_user_sgpr_kernarg_preload_offset 0
		.amdhsa_user_sgpr_private_segment_size 0
		.amdhsa_wavefront_size32 1
		.amdhsa_uses_dynamic_stack 0
		.amdhsa_enable_private_segment 0
		.amdhsa_system_sgpr_workgroup_id_x 1
		.amdhsa_system_sgpr_workgroup_id_y 1
		.amdhsa_system_sgpr_workgroup_id_z 0
		.amdhsa_system_sgpr_workgroup_info 0
		.amdhsa_system_vgpr_workitem_id 1
		.amdhsa_next_free_vgpr 42
		.amdhsa_next_free_sgpr 22
		.amdhsa_named_barrier_count 0
		.amdhsa_reserve_vcc 1
		.amdhsa_float_round_mode_32 0
		.amdhsa_float_round_mode_16_64 0
		.amdhsa_float_denorm_mode_32 3
		.amdhsa_float_denorm_mode_16_64 3
		.amdhsa_fp16_overflow 0
		.amdhsa_memory_ordered 1
		.amdhsa_forward_progress 1
		.amdhsa_inst_pref_size 15
		.amdhsa_round_robin_scheduling 0
		.amdhsa_exception_fp_ieee_invalid_op 0
		.amdhsa_exception_fp_denorm_src 0
		.amdhsa_exception_fp_ieee_div_zero 0
		.amdhsa_exception_fp_ieee_overflow 0
		.amdhsa_exception_fp_ieee_underflow 0
		.amdhsa_exception_fp_ieee_inexact 0
		.amdhsa_exception_int_div_zero 0
	.end_amdhsa_kernel
	.section	.text._ZN2at6native12_GLOBAL__N_135GammaBetaBackwardCUDAKernelTemplateIffLj32ELj8ELj64ELb0ELb1ELb1EEEvllPKT_S5_PKT0_S8_PS3_S9_,"axG",@progbits,_ZN2at6native12_GLOBAL__N_135GammaBetaBackwardCUDAKernelTemplateIffLj32ELj8ELj64ELb0ELb1ELb1EEEvllPKT_S5_PKT0_S8_PS3_S9_,comdat
.Lfunc_end156:
	.size	_ZN2at6native12_GLOBAL__N_135GammaBetaBackwardCUDAKernelTemplateIffLj32ELj8ELj64ELb0ELb1ELb1EEEvllPKT_S5_PKT0_S8_PS3_S9_, .Lfunc_end156-_ZN2at6native12_GLOBAL__N_135GammaBetaBackwardCUDAKernelTemplateIffLj32ELj8ELj64ELb0ELb1ELb1EEEvllPKT_S5_PKT0_S8_PS3_S9_
                                        ; -- End function
	.set _ZN2at6native12_GLOBAL__N_135GammaBetaBackwardCUDAKernelTemplateIffLj32ELj8ELj64ELb0ELb1ELb1EEEvllPKT_S5_PKT0_S8_PS3_S9_.num_vgpr, 42
	.set _ZN2at6native12_GLOBAL__N_135GammaBetaBackwardCUDAKernelTemplateIffLj32ELj8ELj64ELb0ELb1ELb1EEEvllPKT_S5_PKT0_S8_PS3_S9_.num_agpr, 0
	.set _ZN2at6native12_GLOBAL__N_135GammaBetaBackwardCUDAKernelTemplateIffLj32ELj8ELj64ELb0ELb1ELb1EEEvllPKT_S5_PKT0_S8_PS3_S9_.numbered_sgpr, 22
	.set _ZN2at6native12_GLOBAL__N_135GammaBetaBackwardCUDAKernelTemplateIffLj32ELj8ELj64ELb0ELb1ELb1EEEvllPKT_S5_PKT0_S8_PS3_S9_.num_named_barrier, 0
	.set _ZN2at6native12_GLOBAL__N_135GammaBetaBackwardCUDAKernelTemplateIffLj32ELj8ELj64ELb0ELb1ELb1EEEvllPKT_S5_PKT0_S8_PS3_S9_.private_seg_size, 0
	.set _ZN2at6native12_GLOBAL__N_135GammaBetaBackwardCUDAKernelTemplateIffLj32ELj8ELj64ELb0ELb1ELb1EEEvllPKT_S5_PKT0_S8_PS3_S9_.uses_vcc, 1
	.set _ZN2at6native12_GLOBAL__N_135GammaBetaBackwardCUDAKernelTemplateIffLj32ELj8ELj64ELb0ELb1ELb1EEEvllPKT_S5_PKT0_S8_PS3_S9_.uses_flat_scratch, 0
	.set _ZN2at6native12_GLOBAL__N_135GammaBetaBackwardCUDAKernelTemplateIffLj32ELj8ELj64ELb0ELb1ELb1EEEvllPKT_S5_PKT0_S8_PS3_S9_.has_dyn_sized_stack, 0
	.set _ZN2at6native12_GLOBAL__N_135GammaBetaBackwardCUDAKernelTemplateIffLj32ELj8ELj64ELb0ELb1ELb1EEEvllPKT_S5_PKT0_S8_PS3_S9_.has_recursion, 0
	.set _ZN2at6native12_GLOBAL__N_135GammaBetaBackwardCUDAKernelTemplateIffLj32ELj8ELj64ELb0ELb1ELb1EEEvllPKT_S5_PKT0_S8_PS3_S9_.has_indirect_call, 0
	.section	.AMDGPU.csdata,"",@progbits
; Kernel info:
; codeLenInByte = 1800
; TotalNumSgprs: 24
; NumVgprs: 42
; ScratchSize: 0
; MemoryBound: 0
; FloatMode: 240
; IeeeMode: 1
; LDSByteSize: 0 bytes/workgroup (compile time only)
; SGPRBlocks: 0
; VGPRBlocks: 2
; NumSGPRsForWavesPerEU: 24
; NumVGPRsForWavesPerEU: 42
; NamedBarCnt: 0
; Occupancy: 16
; WaveLimiterHint : 0
; COMPUTE_PGM_RSRC2:SCRATCH_EN: 0
; COMPUTE_PGM_RSRC2:USER_SGPR: 2
; COMPUTE_PGM_RSRC2:TRAP_HANDLER: 0
; COMPUTE_PGM_RSRC2:TGID_X_EN: 1
; COMPUTE_PGM_RSRC2:TGID_Y_EN: 1
; COMPUTE_PGM_RSRC2:TGID_Z_EN: 0
; COMPUTE_PGM_RSRC2:TIDIG_COMP_CNT: 1
	.section	.text._ZN2at6native12_GLOBAL__N_135GammaBetaBackwardCUDAKernelTemplateIffLj32ELj8ELj64ELb0ELb0ELb1EEEvllPKT_S5_PKT0_S8_PS3_S9_,"axG",@progbits,_ZN2at6native12_GLOBAL__N_135GammaBetaBackwardCUDAKernelTemplateIffLj32ELj8ELj64ELb0ELb0ELb1EEEvllPKT_S5_PKT0_S8_PS3_S9_,comdat
	.globl	_ZN2at6native12_GLOBAL__N_135GammaBetaBackwardCUDAKernelTemplateIffLj32ELj8ELj64ELb0ELb0ELb1EEEvllPKT_S5_PKT0_S8_PS3_S9_ ; -- Begin function _ZN2at6native12_GLOBAL__N_135GammaBetaBackwardCUDAKernelTemplateIffLj32ELj8ELj64ELb0ELb0ELb1EEEvllPKT_S5_PKT0_S8_PS3_S9_
	.p2align	8
	.type	_ZN2at6native12_GLOBAL__N_135GammaBetaBackwardCUDAKernelTemplateIffLj32ELj8ELj64ELb0ELb0ELb1EEEvllPKT_S5_PKT0_S8_PS3_S9_,@function
_ZN2at6native12_GLOBAL__N_135GammaBetaBackwardCUDAKernelTemplateIffLj32ELj8ELj64ELb0ELb0ELb1EEEvllPKT_S5_PKT0_S8_PS3_S9_: ; @_ZN2at6native12_GLOBAL__N_135GammaBetaBackwardCUDAKernelTemplateIffLj32ELj8ELj64ELb0ELb0ELb1EEEvllPKT_S5_PKT0_S8_PS3_S9_
; %bb.0:
	s_load_b256 s[4:11], s[0:1], 0x0
	s_bfe_u32 s3, ttmp6, 0x4000c
	s_bfe_u32 s12, ttmp6, 0x40010
	s_add_co_i32 s3, s3, 1
	s_add_co_i32 s12, s12, 1
	s_and_b32 s2, ttmp6, 15
	s_bfe_u32 s13, ttmp6, 0x40004
	s_mul_i32 s3, ttmp9, s3
	s_mul_i32 s12, ttmp7, s12
	s_getreg_b32 s14, hwreg(HW_REG_IB_STS2, 6, 4)
	s_add_co_i32 s2, s2, s3
	s_add_co_i32 s13, s13, s12
	s_cmp_eq_u32 s14, 0
	s_mov_b32 s17, 0
	s_cselect_b32 s12, ttmp9, s2
	s_cselect_b32 s2, ttmp7, s13
	s_lshl_b32 s3, s12, 5
	s_load_b64 s[14:15], s[0:1], 0x28
	s_or_b32 s16, s3, 31
	s_wait_kmcnt 0x0
	v_cmp_le_i64_e64 s18, s[6:7], s[16:17]
	s_lshl_b32 s16, s2, 6
	s_delay_alu instid0(SALU_CYCLE_1) | instskip(SKIP_2) | instid1(VALU_DEP_1)
	v_cmp_gt_i64_e64 s13, s[4:5], s[16:17]
	s_and_b32 vcc_lo, exec_lo, s18
	v_cndmask_b32_e64 v1, 0, 1, s13
	v_cmp_ne_u32_e64 s2, 1, v1
	s_cbranch_vccz .LBB157_49
; %bb.1:
	v_mov_b32_e32 v3, 0
	s_and_b32 vcc_lo, exec_lo, s2
	s_cbranch_vccnz .LBB157_50
; %bb.2:
	v_bfe_u32 v1, v0, 10, 10
	v_mov_b32_e32 v2, 0
	v_and_b32_e32 v64, 0x3ff, v0
	s_load_b32 s18, s[0:1], 0x44
	s_mov_b32 s19, 0
	s_delay_alu instid0(VALU_DEP_2) | instskip(NEXT) | instid1(VALU_DEP_2)
	v_dual_mov_b32 v27, v2 :: v_dual_lshlrev_b32 v26, 3, v1
	v_dual_mov_b32 v19, v2 :: v_dual_add_nc_u32 v18, s3, v64
	v_mov_b32_e32 v65, 0
	s_mov_b32 s35, s19
	s_delay_alu instid0(VALU_DEP_3)
	v_add_nc_u64_e32 v[4:5], s[16:17], v[26:27]
	s_add_nc_u64 s[20:21], s[0:1], 64
	v_cmp_gt_i64_e64 s2, s[6:7], v[18:19]
	v_lshlrev_b64_e32 v[28:29], 2, v[18:19]
	s_mov_b64 s[22:23], 0xffffffffffffffc1
	s_mov_b64 s[24:25], 0xffffffffffffffc2
	;; [unrolled: 1-line block ×3, first 2 shown]
	v_mul_u64_e32 v[6:7], s[6:7], v[4:5]
	v_add_nc_u64_e32 v[8:9], 7, v[4:5]
	v_add_nc_u64_e32 v[10:11], 6, v[4:5]
	;; [unrolled: 1-line block ×6, first 2 shown]
	s_wait_kmcnt 0x0
	s_lshl_b32 s34, s18, 6
	v_mul_u64_e32 v[8:9], s[6:7], v[8:9]
	v_mul_u64_e32 v[10:11], s[6:7], v[10:11]
	;; [unrolled: 1-line block ×6, first 2 shown]
	s_mul_u64 s[42:43], s[6:7], s[34:35]
	s_mov_b64 s[28:29], 0xffffffffffffffc4
	s_mov_b64 s[30:31], 0xffffffffffffffc5
	s_mov_b64 s[36:37], 0xffffffffffffffc6
	s_mov_b64 s[38:39], 0xffffffffffffffc7
	s_mov_b64 s[40:41], 0xffffffffffffffc8
	s_lshl_b64 s[42:43], s[42:43], 2
	s_add_nc_u64 s[44:45], s[16:17], 63
	s_mov_b64 s[46:47], s[16:17]
	v_lshlrev_b64_e32 v[20:21], 2, v[6:7]
	v_add_nc_u64_e32 v[6:7], s[6:7], v[6:7]
	s_delay_alu instid0(VALU_DEP_2)
	v_add_nc_u64_e32 v[30:31], s[8:9], v[20:21]
	v_lshlrev_b64_e32 v[8:9], 2, v[8:9]
	v_lshlrev_b64_e32 v[10:11], 2, v[10:11]
	v_lshlrev_b64_e32 v[12:13], 2, v[12:13]
	v_lshlrev_b64_e32 v[14:15], 2, v[14:15]
	v_lshlrev_b64_e32 v[16:17], 2, v[16:17]
	v_lshlrev_b64_e32 v[4:5], 2, v[4:5]
	v_lshlrev_b64_e32 v[6:7], 2, v[6:7]
	v_add_nc_u64_e32 v[32:33], s[10:11], v[20:21]
	v_add_nc_u64_e32 v[34:35], s[8:9], v[8:9]
	;; [unrolled: 1-line block ×15, first 2 shown]
.LBB157_3:                              ; =>This Inner Loop Header: Depth=1
	v_cmp_ge_i64_e64 s18, s[44:45], s[4:5]
	v_add_nc_u64_e32 v[62:63], s[44:45], v[26:27]
                                        ; implicit-def: $vgpr3
                                        ; implicit-def: $vgpr10_vgpr11_vgpr12_vgpr13_vgpr14_vgpr15_vgpr16_vgpr17
                                        ; implicit-def: $vgpr18_vgpr19_vgpr20_vgpr21_vgpr22_vgpr23_vgpr24_vgpr25
                                        ; implicit-def: $vgpr4
	s_and_b32 vcc_lo, exec_lo, s18
	s_mov_b32 s18, -1
	s_cbranch_vccz .LBB157_25
; %bb.4:                                ;   in Loop: Header=BB157_3 Depth=1
	s_load_b32 s18, s[20:21], 0xc
	v_mov_b32_e32 v66, 0
	s_wait_kmcnt 0x0
	s_and_b32 s18, s18, 0xffff
	s_delay_alu instid0(SALU_CYCLE_1) | instskip(SKIP_1) | instid1(VALU_DEP_1)
	v_mad_u32_u24 v3, v1, s18, v64
	s_mov_b32 s18, exec_lo
	v_and_b32_e32 v4, 31, v3
	s_delay_alu instid0(VALU_DEP_1)
	v_cmpx_gt_u32_e32 8, v4
	s_cbranch_execz .LBB157_8
; %bb.5:                                ;   in Loop: Header=BB157_3 Depth=1
	v_dual_mov_b32 v5, v2 :: v_dual_mov_b32 v66, 0
	s_mov_b32 s33, exec_lo
	s_delay_alu instid0(VALU_DEP_1) | instskip(NEXT) | instid1(VALU_DEP_1)
	v_add_nc_u64_e32 v[4:5], v[62:63], v[4:5]
	v_add_nc_u64_e32 v[4:5], s[22:23], v[4:5]
	s_delay_alu instid0(VALU_DEP_1)
	v_cmpx_gt_i64_e64 s[4:5], v[4:5]
	s_cbranch_execz .LBB157_7
; %bb.6:                                ;   in Loop: Header=BB157_3 Depth=1
	v_lshl_add_u64 v[4:5], v[4:5], 2, s[14:15]
	global_load_b32 v66, v[4:5], off
.LBB157_7:                              ;   in Loop: Header=BB157_3 Depth=1
	s_wait_xcnt 0x0
	s_or_b32 exec_lo, exec_lo, s33
.LBB157_8:                              ;   in Loop: Header=BB157_3 Depth=1
	s_delay_alu instid0(SALU_CYCLE_1)
	s_or_b32 exec_lo, exec_lo, s18
	v_add_nc_u64_e32 v[10:11], s[22:23], v[62:63]
	v_dual_mov_b32 v7, v2 :: v_dual_mov_b32 v8, v2
	v_dual_mov_b32 v9, v2 :: v_dual_mov_b32 v3, v2
	;; [unrolled: 1-line block ×3, first 2 shown]
	v_mov_b32_e32 v6, v2
	v_cmp_gt_i64_e32 vcc_lo, s[4:5], v[10:11]
	s_delay_alu instid0(VALU_DEP_4)
	v_mov_b64_e32 v[16:17], v[8:9]
	v_mov_b64_e32 v[24:25], v[8:9]
	;; [unrolled: 1-line block ×8, first 2 shown]
	s_and_b32 s33, s2, vcc_lo
	s_delay_alu instid0(SALU_CYCLE_1)
	s_and_saveexec_b32 s18, s33
	s_cbranch_execz .LBB157_10
; %bb.9:                                ;   in Loop: Header=BB157_3 Depth=1
	v_add_nc_u64_e32 v[4:5], v[30:31], v[28:29]
	v_add_nc_u64_e32 v[6:7], v[32:33], v[28:29]
	v_dual_mov_b32 v19, v2 :: v_dual_mov_b32 v20, v2
	v_dual_mov_b32 v21, v2 :: v_dual_mov_b32 v22, v2
	;; [unrolled: 1-line block ×3, first 2 shown]
	global_load_b32 v18, v[4:5], off
	global_load_b32 v10, v[6:7], off
	v_dual_mov_b32 v25, v2 :: v_dual_mov_b32 v11, v2
	v_dual_mov_b32 v12, v2 :: v_dual_mov_b32 v13, v2
	;; [unrolled: 1-line block ×4, first 2 shown]
.LBB157_10:                             ;   in Loop: Header=BB157_3 Depth=1
	s_wait_xcnt 0x0
	s_or_b32 exec_lo, exec_lo, s18
	v_add_nc_u64_e32 v[4:5], s[24:25], v[62:63]
	s_delay_alu instid0(VALU_DEP_1) | instskip(SKIP_1) | instid1(SALU_CYCLE_1)
	v_cmp_gt_i64_e32 vcc_lo, s[4:5], v[4:5]
	s_and_b32 s33, s2, vcc_lo
	s_and_saveexec_b32 s18, s33
	s_cbranch_execz .LBB157_12
; %bb.11:                               ;   in Loop: Header=BB157_3 Depth=1
	v_add_nc_u64_e32 v[4:5], v[58:59], v[28:29]
	v_add_nc_u64_e32 v[6:7], v[60:61], v[28:29]
	global_load_b32 v19, v[4:5], off
	global_load_b32 v11, v[6:7], off
.LBB157_12:                             ;   in Loop: Header=BB157_3 Depth=1
	s_wait_xcnt 0x0
	s_or_b32 exec_lo, exec_lo, s18
	v_add_nc_u64_e32 v[4:5], s[26:27], v[62:63]
	s_delay_alu instid0(VALU_DEP_1) | instskip(SKIP_1) | instid1(SALU_CYCLE_1)
	v_cmp_gt_i64_e32 vcc_lo, s[4:5], v[4:5]
	s_and_b32 s33, s2, vcc_lo
	s_and_saveexec_b32 s18, s33
	s_cbranch_execz .LBB157_14
; %bb.13:                               ;   in Loop: Header=BB157_3 Depth=1
	v_add_nc_u64_e32 v[4:5], v[54:55], v[28:29]
	v_add_nc_u64_e32 v[6:7], v[56:57], v[28:29]
	global_load_b32 v20, v[4:5], off
	global_load_b32 v12, v[6:7], off
.LBB157_14:                             ;   in Loop: Header=BB157_3 Depth=1
	;; [unrolled: 14-line block ×7, first 2 shown]
	s_wait_xcnt 0x0
	s_or_b32 exec_lo, exec_lo, s18
	s_wait_loadcnt 0x0
	ds_bpermute_b32 v3, v2, v66
	ds_bpermute_b32 v4, v2, v66 offset:4
	ds_bpermute_b32 v5, v2, v66 offset:8
	;; [unrolled: 1-line block ×4, first 2 shown]
	v_pk_mul_f32 v[8:9], v[12:13], v[20:21]
	v_dual_mul_f32 v18, v10, v18 :: v_dual_mul_f32 v10, v11, v19
	v_pk_mul_f32 v[12:13], v[14:15], v[22:23]
	ds_bpermute_b32 v14, v2, v66 offset:20
	v_mov_b32_e32 v11, v8
	ds_bpermute_b32 v15, v2, v66 offset:24
	v_dual_mov_b32 v8, v9 :: v_dual_mov_b32 v9, v12
	s_mov_b32 s18, 0
	s_wait_dscnt 0x6
	v_fma_f32 v3, v18, v3, v65
	s_wait_dscnt 0x4
	v_pk_mul_f32 v[4:5], v[10:11], v[4:5]
	s_wait_dscnt 0x2
	v_pk_mul_f32 v[6:7], v[8:9], v[6:7]
	v_dual_mov_b32 v8, v13 :: v_dual_mul_f32 v9, v16, v24
	s_delay_alu instid0(VALU_DEP_3) | instskip(SKIP_2) | instid1(VALU_DEP_1)
	v_add_f32_e32 v3, v3, v4
	ds_bpermute_b32 v4, v2, v66 offset:28
	v_add_f32_e32 v3, v3, v5
	v_add_f32_e32 v3, v3, v6
	s_delay_alu instid0(VALU_DEP_1) | instskip(SKIP_2) | instid1(VALU_DEP_1)
	v_add_f32_e32 v3, v3, v7
	s_wait_dscnt 0x1
	v_pk_mul_f32 v[6:7], v[8:9], v[14:15]
	v_add_f32_e32 v3, v3, v6
	s_delay_alu instid0(VALU_DEP_1)
	v_add_f32_e32 v3, v3, v7
.LBB157_25:                             ;   in Loop: Header=BB157_3 Depth=1
	s_and_b32 vcc_lo, exec_lo, s18
	s_cbranch_vccz .LBB157_40
; %bb.26:                               ;   in Loop: Header=BB157_3 Depth=1
	s_load_b32 s18, s[20:21], 0x0
	v_mov_b32_e32 v66, 0
	s_wait_kmcnt 0x0
	s_cmp_lt_u32 s12, s18
	s_cselect_b32 s18, 12, 18
	s_delay_alu instid0(SALU_CYCLE_1)
	s_add_nc_u64 s[48:49], s[20:21], s[18:19]
	s_load_u16 s18, s[48:49], 0x0
	s_wait_kmcnt 0x0
	v_mad_u32_u24 v3, v1, s18, v64
	s_mov_b32 s18, exec_lo
	s_wait_dscnt 0x0
	s_delay_alu instid0(VALU_DEP_1) | instskip(NEXT) | instid1(VALU_DEP_1)
	v_and_b32_e32 v4, 31, v3
	v_cmpx_gt_u32_e32 8, v4
	s_cbranch_execz .LBB157_30
; %bb.27:                               ;   in Loop: Header=BB157_3 Depth=1
	v_dual_mov_b32 v5, v2 :: v_dual_mov_b32 v66, 0
	s_mov_b32 s33, exec_lo
	s_delay_alu instid0(VALU_DEP_1) | instskip(NEXT) | instid1(VALU_DEP_1)
	v_add_nc_u64_e32 v[4:5], v[62:63], v[4:5]
	v_add_nc_u64_e32 v[4:5], s[22:23], v[4:5]
	s_delay_alu instid0(VALU_DEP_1)
	v_cmpx_gt_i64_e64 s[4:5], v[4:5]
	s_cbranch_execz .LBB157_29
; %bb.28:                               ;   in Loop: Header=BB157_3 Depth=1
	v_lshl_add_u64 v[4:5], v[4:5], 2, s[14:15]
	global_load_b32 v66, v[4:5], off
.LBB157_29:                             ;   in Loop: Header=BB157_3 Depth=1
	s_wait_xcnt 0x0
	s_or_b32 exec_lo, exec_lo, s33
.LBB157_30:                             ;   in Loop: Header=BB157_3 Depth=1
	s_delay_alu instid0(SALU_CYCLE_1) | instskip(SKIP_4) | instid1(VALU_DEP_3)
	s_or_b32 exec_lo, exec_lo, s18
	v_dual_mov_b32 v7, v2 :: v_dual_mov_b32 v8, v2
	v_dual_mov_b32 v9, v2 :: v_dual_mov_b32 v3, v2
	;; [unrolled: 1-line block ×3, first 2 shown]
	v_mov_b32_e32 v6, v2
	v_mov_b64_e32 v[16:17], v[8:9]
	v_mov_b64_e32 v[24:25], v[8:9]
	;; [unrolled: 1-line block ×8, first 2 shown]
	s_and_saveexec_b32 s18, s2
	s_cbranch_execnz .LBB157_42
; %bb.31:                               ;   in Loop: Header=BB157_3 Depth=1
	s_or_b32 exec_lo, exec_lo, s18
	s_and_saveexec_b32 s18, s2
	s_cbranch_execnz .LBB157_43
.LBB157_32:                             ;   in Loop: Header=BB157_3 Depth=1
	s_or_b32 exec_lo, exec_lo, s18
	s_and_saveexec_b32 s18, s2
	s_cbranch_execnz .LBB157_44
.LBB157_33:                             ;   in Loop: Header=BB157_3 Depth=1
	s_or_b32 exec_lo, exec_lo, s18
	s_and_saveexec_b32 s18, s2
	s_cbranch_execnz .LBB157_45
.LBB157_34:                             ;   in Loop: Header=BB157_3 Depth=1
	s_or_b32 exec_lo, exec_lo, s18
	s_and_saveexec_b32 s18, s2
	s_cbranch_execnz .LBB157_46
.LBB157_35:                             ;   in Loop: Header=BB157_3 Depth=1
	s_or_b32 exec_lo, exec_lo, s18
	s_and_saveexec_b32 s18, s2
	s_cbranch_execnz .LBB157_47
.LBB157_36:                             ;   in Loop: Header=BB157_3 Depth=1
	s_or_b32 exec_lo, exec_lo, s18
	s_and_saveexec_b32 s18, s2
	s_cbranch_execnz .LBB157_48
.LBB157_37:                             ;   in Loop: Header=BB157_3 Depth=1
	s_or_b32 exec_lo, exec_lo, s18
	s_and_saveexec_b32 s18, s2
	s_cbranch_execz .LBB157_39
.LBB157_38:                             ;   in Loop: Header=BB157_3 Depth=1
	v_add_nc_u64_e32 v[4:5], v[34:35], v[28:29]
	v_add_nc_u64_e32 v[6:7], v[36:37], v[28:29]
	global_load_b32 v25, v[4:5], off
	global_load_b32 v17, v[6:7], off
.LBB157_39:                             ;   in Loop: Header=BB157_3 Depth=1
	s_wait_xcnt 0x0
	s_or_b32 exec_lo, exec_lo, s18
	s_wait_loadcnt 0x0
	ds_bpermute_b32 v3, v2, v66
	ds_bpermute_b32 v4, v2, v66 offset:4
	ds_bpermute_b32 v5, v2, v66 offset:8
	;; [unrolled: 1-line block ×4, first 2 shown]
	v_pk_mul_f32 v[8:9], v[12:13], v[20:21]
	v_dual_mul_f32 v18, v10, v18 :: v_dual_mul_f32 v10, v11, v19
	v_pk_mul_f32 v[12:13], v[14:15], v[22:23]
	ds_bpermute_b32 v14, v2, v66 offset:20
	v_mov_b32_e32 v11, v8
	ds_bpermute_b32 v15, v2, v66 offset:24
	v_dual_mov_b32 v8, v9 :: v_dual_mov_b32 v9, v12
	s_wait_dscnt 0x6
	v_fmac_f32_e32 v65, v18, v3
	s_wait_dscnt 0x4
	v_pk_mul_f32 v[4:5], v[10:11], v[4:5]
	s_wait_dscnt 0x2
	v_pk_mul_f32 v[6:7], v[8:9], v[6:7]
	v_dual_mul_f32 v9, v16, v24 :: v_dual_mov_b32 v8, v13
	s_delay_alu instid0(VALU_DEP_3) | instskip(SKIP_2) | instid1(VALU_DEP_1)
	v_add_f32_e32 v3, v65, v4
	ds_bpermute_b32 v4, v2, v66 offset:28
	v_add_f32_e32 v3, v3, v5
	v_add_f32_e32 v3, v3, v6
	s_delay_alu instid0(VALU_DEP_1) | instskip(SKIP_2) | instid1(VALU_DEP_1)
	v_add_f32_e32 v3, v3, v7
	s_wait_dscnt 0x1
	v_pk_mul_f32 v[6:7], v[8:9], v[14:15]
	v_add_f32_e32 v3, v3, v6
	s_delay_alu instid0(VALU_DEP_1)
	v_add_f32_e32 v3, v3, v7
.LBB157_40:                             ;   in Loop: Header=BB157_3 Depth=1
	s_add_nc_u64 s[46:47], s[46:47], s[34:35]
	v_mul_f32_e32 v5, v25, v17
	v_cmp_lt_i64_e64 s18, s[46:47], s[4:5]
	v_add_nc_u64_e32 v[30:31], s[42:43], v[30:31]
	v_add_nc_u64_e32 v[32:33], s[42:43], v[32:33]
	;; [unrolled: 1-line block ×16, first 2 shown]
	s_wait_dscnt 0x0
	v_fmac_f32_e32 v3, v5, v4
	s_and_b32 vcc_lo, exec_lo, s18
	s_add_nc_u64 s[44:45], s[44:45], s[34:35]
	s_cbranch_vccz .LBB157_50
; %bb.41:                               ;   in Loop: Header=BB157_3 Depth=1
	s_delay_alu instid0(VALU_DEP_1)
	v_mov_b32_e32 v65, v3
	s_branch .LBB157_3
.LBB157_42:                             ;   in Loop: Header=BB157_3 Depth=1
	v_add_nc_u64_e32 v[4:5], v[30:31], v[28:29]
	v_add_nc_u64_e32 v[6:7], v[32:33], v[28:29]
	v_dual_mov_b32 v19, v2 :: v_dual_mov_b32 v20, v2
	v_dual_mov_b32 v21, v2 :: v_dual_mov_b32 v22, v2
	;; [unrolled: 1-line block ×3, first 2 shown]
	global_load_b32 v18, v[4:5], off
	global_load_b32 v10, v[6:7], off
	v_dual_mov_b32 v25, v2 :: v_dual_mov_b32 v11, v2
	v_dual_mov_b32 v12, v2 :: v_dual_mov_b32 v13, v2
	;; [unrolled: 1-line block ×4, first 2 shown]
	s_wait_xcnt 0x0
	s_or_b32 exec_lo, exec_lo, s18
	s_and_saveexec_b32 s18, s2
	s_cbranch_execz .LBB157_32
.LBB157_43:                             ;   in Loop: Header=BB157_3 Depth=1
	v_add_nc_u64_e32 v[4:5], v[58:59], v[28:29]
	v_add_nc_u64_e32 v[6:7], v[60:61], v[28:29]
	global_load_b32 v19, v[4:5], off
	global_load_b32 v11, v[6:7], off
	s_wait_xcnt 0x0
	s_or_b32 exec_lo, exec_lo, s18
	s_and_saveexec_b32 s18, s2
	s_cbranch_execz .LBB157_33
.LBB157_44:                             ;   in Loop: Header=BB157_3 Depth=1
	v_add_nc_u64_e32 v[4:5], v[54:55], v[28:29]
	v_add_nc_u64_e32 v[6:7], v[56:57], v[28:29]
	global_load_b32 v20, v[4:5], off
	global_load_b32 v12, v[6:7], off
	s_wait_xcnt 0x0
	s_or_b32 exec_lo, exec_lo, s18
	s_and_saveexec_b32 s18, s2
	s_cbranch_execz .LBB157_34
.LBB157_45:                             ;   in Loop: Header=BB157_3 Depth=1
	v_add_nc_u64_e32 v[4:5], v[50:51], v[28:29]
	v_add_nc_u64_e32 v[6:7], v[52:53], v[28:29]
	global_load_b32 v21, v[4:5], off
	global_load_b32 v13, v[6:7], off
	s_wait_xcnt 0x0
	s_or_b32 exec_lo, exec_lo, s18
	s_and_saveexec_b32 s18, s2
	s_cbranch_execz .LBB157_35
.LBB157_46:                             ;   in Loop: Header=BB157_3 Depth=1
	v_add_nc_u64_e32 v[4:5], v[46:47], v[28:29]
	v_add_nc_u64_e32 v[6:7], v[48:49], v[28:29]
	global_load_b32 v22, v[4:5], off
	global_load_b32 v14, v[6:7], off
	s_wait_xcnt 0x0
	s_or_b32 exec_lo, exec_lo, s18
	s_and_saveexec_b32 s18, s2
	s_cbranch_execz .LBB157_36
.LBB157_47:                             ;   in Loop: Header=BB157_3 Depth=1
	v_add_nc_u64_e32 v[4:5], v[42:43], v[28:29]
	v_add_nc_u64_e32 v[6:7], v[44:45], v[28:29]
	global_load_b32 v23, v[4:5], off
	global_load_b32 v15, v[6:7], off
	s_wait_xcnt 0x0
	s_or_b32 exec_lo, exec_lo, s18
	s_and_saveexec_b32 s18, s2
	s_cbranch_execz .LBB157_37
.LBB157_48:                             ;   in Loop: Header=BB157_3 Depth=1
	v_add_nc_u64_e32 v[4:5], v[38:39], v[28:29]
	v_add_nc_u64_e32 v[6:7], v[40:41], v[28:29]
	global_load_b32 v24, v[4:5], off
	global_load_b32 v16, v[6:7], off
	s_wait_xcnt 0x0
	s_or_b32 exec_lo, exec_lo, s18
	s_and_saveexec_b32 s18, s2
	s_cbranch_execnz .LBB157_38
	s_branch .LBB157_39
.LBB157_49:
                                        ; implicit-def: $vgpr3
	s_branch .LBB157_51
.LBB157_50:
	s_cbranch_execnz .LBB157_83
.LBB157_51:
	v_mov_b32_e32 v3, 0
	s_and_not1_b32 vcc_lo, exec_lo, s13
	s_cbranch_vccnz .LBB157_83
; %bb.52:
	v_bfe_u32 v1, v0, 10, 10
	v_mov_b32_e32 v2, 0
	v_and_b32_e32 v92, 0x3ff, v0
	s_load_b32 s2, s[0:1], 0x44
	s_mov_b64 s[20:21], 0xffffffffffffffc3
	s_delay_alu instid0(VALU_DEP_2) | instskip(SKIP_3) | instid1(VALU_DEP_2)
	v_dual_mov_b32 v5, v2 :: v_dual_lshlrev_b32 v4, 5, v1
	v_dual_mov_b32 v27, v2 :: v_dual_lshlrev_b32 v26, 3, v1
	s_mov_b64 s[22:23], 0xffffffffffffffc4
	s_mov_b64 s[24:25], 0xffffffffffffffc5
	v_lshl_add_u64 v[4:5], s[16:17], 2, v[4:5]
	s_mov_b64 s[26:27], 0xffffffffffffffc6
	s_mov_b64 s[28:29], 0xffffffffffffffc7
	;; [unrolled: 1-line block ×3, first 2 shown]
	s_add_nc_u64 s[34:35], s[0:1], 64
	v_add_nc_u64_e32 v[10:11], 8, v[4:5]
	v_add_nc_u64_e32 v[12:13], 12, v[4:5]
	;; [unrolled: 1-line block ×7, first 2 shown]
	v_mad_nc_u64_u32 v[30:31], s6, v10, s[8:9]
	v_mul_lo_u32 v25, s6, v11
	v_mul_lo_u32 v52, s7, v10
	v_mad_nc_u64_u32 v[32:33], s6, v12, s[8:9]
	v_mul_lo_u32 v53, s6, v13
	v_mul_lo_u32 v54, s7, v12
	;; [unrolled: 3-line block ×3, first 2 shown]
	v_mad_nc_u64_u32 v[40:41], s6, v10, s[10:11]
	v_mad_nc_u64_u32 v[42:43], s6, v12, s[10:11]
	v_mad_nc_u64_u32 v[46:47], s6, v14, s[10:11]
	v_mad_nc_u64_u32 v[44:45], s6, v18, s[8:9]
	v_add3_u32 v31, v52, v31, v25
	v_mul_lo_u32 v58, s7, v18
	v_mad_nc_u64_u32 v[50:51], s6, v18, s[10:11]
	v_add3_u32 v33, v54, v33, v53
	v_mul_lo_u32 v18, s7, v4
	v_mad_nc_u64_u32 v[28:29], s6, v6, s[8:9]
	v_add3_u32 v35, v56, v35, v55
	v_add3_u32 v41, v52, v41, v25
	;; [unrolled: 1-line block ×3, first 2 shown]
	v_mad_nc_u64_u32 v[52:53], s6, v4, s[8:9]
	v_add3_u32 v47, v56, v47, v55
	v_mad_nc_u64_u32 v[54:55], s6, v4, s[10:11]
	v_add_nc_u32_e32 v4, s3, v92
	v_add_nc_u64_e32 v[8:9], s[16:17], v[26:27]
	v_mul_lo_u32 v3, s6, v7
	v_mul_lo_u32 v24, s7, v6
	v_mad_nc_u64_u32 v[38:39], s6, v6, s[10:11]
	v_mad_nc_u64_u32 v[36:37], s6, v16, s[8:9]
	v_mul_lo_u32 v17, s6, v17
	v_mul_lo_u32 v57, s7, v16
	v_add_nc_u64_e32 v[6:7], 7, v[8:9]
	v_add_nc_u64_e32 v[10:11], 6, v[8:9]
	;; [unrolled: 1-line block ×3, first 2 shown]
	v_mul_u64_e32 v[20:21], s[6:7], v[8:9]
	v_add_nc_u64_e32 v[22:23], 4, v[8:9]
	v_add_nc_u64_e32 v[14:15], 3, v[8:9]
	;; [unrolled: 1-line block ×3, first 2 shown]
	v_mul_u64_e32 v[6:7], s[6:7], v[6:7]
	v_mul_u64_e32 v[10:11], s[6:7], v[10:11]
	v_mul_u64_e32 v[12:13], s[6:7], v[12:13]
	v_mad_nc_u64_u32 v[48:49], s6, v16, s[10:11]
	v_mul_u64_e32 v[22:23], s[6:7], v[22:23]
	v_mul_u64_e32 v[14:15], s[6:7], v[14:15]
	;; [unrolled: 1-line block ×3, first 2 shown]
	v_add3_u32 v29, v24, v29, v3
	v_add3_u32 v39, v24, v39, v3
	v_mul_lo_u32 v3, s6, v5
	v_dual_mov_b32 v5, v2 :: v_dual_mov_b32 v93, 0
	v_add3_u32 v37, v57, v37, v17
	v_mul_lo_u32 v19, s6, v19
	v_add3_u32 v49, v57, v49, v17
	s_delay_alu instid0(VALU_DEP_4)
	v_lshlrev_b64_e32 v[56:57], 2, v[4:5]
	s_mov_b32 s3, 0
	s_wait_kmcnt 0x0
	s_lshl_b32 s18, s2, 6
	s_mov_b32 s19, s3
	s_add_nc_u64 s[38:39], s[16:17], 63
	v_add3_u32 v53, v18, v53, v3
	v_add3_u32 v55, v18, v55, v3
	s_mul_u64 s[36:37], s[6:7], s[18:19]
	v_add3_u32 v45, v58, v45, v19
	v_add3_u32 v51, v58, v51, v19
	s_lshl_b64 s[36:37], s[36:37], 2
	v_lshlrev_b64_e32 v[16:17], 2, v[20:21]
	v_lshlrev_b64_e32 v[6:7], 2, v[6:7]
	;; [unrolled: 1-line block ×3, first 2 shown]
	s_delay_alu instid0(VALU_DEP_3)
	v_add_nc_u64_e32 v[58:59], s[8:9], v[16:17]
	v_lshlrev_b64_e32 v[10:11], 2, v[22:23]
	v_add_nc_u64_e32 v[60:61], s[10:11], v[16:17]
	v_lshlrev_b64_e32 v[8:9], 2, v[8:9]
	v_add_nc_u64_e32 v[62:63], s[8:9], v[6:7]
	v_add_nc_u64_e32 v[64:65], s[10:11], v[6:7]
	v_lshlrev_b64_e32 v[6:7], 2, v[12:13]
	v_add_nc_u64_e32 v[12:13], s[6:7], v[20:21]
	v_add_nc_u64_e32 v[66:67], s[8:9], v[4:5]
	;; [unrolled: 1-line block ×3, first 2 shown]
	v_lshlrev_b64_e32 v[4:5], 2, v[14:15]
	v_add_nc_u64_e32 v[74:75], s[8:9], v[10:11]
	v_add_nc_u64_e32 v[76:77], s[10:11], v[10:11]
	;; [unrolled: 1-line block ×4, first 2 shown]
	v_lshlrev_b64_e32 v[6:7], 2, v[12:13]
	v_add_nc_u64_e32 v[82:83], s[8:9], v[8:9]
	v_add_nc_u64_e32 v[78:79], s[8:9], v[4:5]
	;; [unrolled: 1-line block ×6, first 2 shown]
	s_mov_b64 s[8:9], 0xffffffffffffffc1
	s_mov_b64 s[10:11], 0xffffffffffffffc2
.LBB157_53:                             ; =>This Inner Loop Header: Depth=1
	v_cmp_ge_i64_e64 s2, s[38:39], s[4:5]
	v_add_nc_u64_e32 v[90:91], s[38:39], v[26:27]
                                        ; implicit-def: $vgpr3
	s_and_b32 vcc_lo, exec_lo, s2
	s_mov_b32 s2, -1
	s_cbranch_vccz .LBB157_75
; %bb.54:                               ;   in Loop: Header=BB157_53 Depth=1
	s_load_b32 s2, s[34:35], 0xc
	v_mov_b32_e32 v94, 0
	s_wait_kmcnt 0x0
	s_and_b32 s2, s2, 0xffff
	s_delay_alu instid0(SALU_CYCLE_1) | instskip(SKIP_1) | instid1(VALU_DEP_1)
	v_mad_u32_u24 v3, v1, s2, v92
	s_mov_b32 s2, exec_lo
	v_and_b32_e32 v4, 31, v3
	s_delay_alu instid0(VALU_DEP_1)
	v_cmpx_gt_u32_e32 8, v4
	s_cbranch_execz .LBB157_58
; %bb.55:                               ;   in Loop: Header=BB157_53 Depth=1
	v_dual_mov_b32 v5, v2 :: v_dual_mov_b32 v94, 0
	s_mov_b32 s13, exec_lo
	s_delay_alu instid0(VALU_DEP_1) | instskip(NEXT) | instid1(VALU_DEP_1)
	v_add_nc_u64_e32 v[4:5], v[90:91], v[4:5]
	v_add_nc_u64_e32 v[4:5], s[8:9], v[4:5]
	s_delay_alu instid0(VALU_DEP_1)
	v_cmpx_gt_i64_e64 s[4:5], v[4:5]
	s_cbranch_execz .LBB157_57
; %bb.56:                               ;   in Loop: Header=BB157_53 Depth=1
	v_lshl_add_u64 v[4:5], v[4:5], 2, s[14:15]
	global_load_b32 v94, v[4:5], off
.LBB157_57:                             ;   in Loop: Header=BB157_53 Depth=1
	s_wait_xcnt 0x0
	s_or_b32 exec_lo, exec_lo, s13
.LBB157_58:                             ;   in Loop: Header=BB157_53 Depth=1
	s_delay_alu instid0(SALU_CYCLE_1)
	s_or_b32 exec_lo, exec_lo, s2
	v_add_nc_u64_e32 v[10:11], s[8:9], v[90:91]
	v_dual_mov_b32 v7, v2 :: v_dual_mov_b32 v8, v2
	v_dual_mov_b32 v9, v2 :: v_dual_mov_b32 v3, v2
	;; [unrolled: 1-line block ×3, first 2 shown]
	v_mov_b32_e32 v6, v2
	v_cmp_gt_i64_e32 vcc_lo, s[4:5], v[10:11]
	s_delay_alu instid0(VALU_DEP_4)
	v_mov_b64_e32 v[16:17], v[8:9]
	v_mov_b64_e32 v[24:25], v[8:9]
	;; [unrolled: 1-line block ×8, first 2 shown]
	s_and_saveexec_b32 s2, vcc_lo
	s_cbranch_execz .LBB157_60
; %bb.59:                               ;   in Loop: Header=BB157_53 Depth=1
	v_add_nc_u64_e32 v[4:5], v[58:59], v[56:57]
	v_add_nc_u64_e32 v[6:7], v[60:61], v[56:57]
	v_dual_mov_b32 v19, v2 :: v_dual_mov_b32 v20, v2
	v_dual_mov_b32 v21, v2 :: v_dual_mov_b32 v22, v2
	v_dual_mov_b32 v23, v2 :: v_dual_mov_b32 v24, v2
	global_load_b32 v18, v[4:5], off
	global_load_b32 v10, v[6:7], off
	v_dual_mov_b32 v25, v2 :: v_dual_mov_b32 v11, v2
	v_dual_mov_b32 v12, v2 :: v_dual_mov_b32 v13, v2
	v_dual_mov_b32 v14, v2 :: v_dual_mov_b32 v15, v2
	v_dual_mov_b32 v16, v2 :: v_dual_mov_b32 v17, v2
.LBB157_60:                             ;   in Loop: Header=BB157_53 Depth=1
	s_wait_xcnt 0x0
	s_or_b32 exec_lo, exec_lo, s2
	v_add_nc_u64_e32 v[4:5], s[10:11], v[90:91]
	s_mov_b32 s2, exec_lo
	s_delay_alu instid0(VALU_DEP_1)
	v_cmpx_gt_i64_e64 s[4:5], v[4:5]
	s_cbranch_execz .LBB157_62
; %bb.61:                               ;   in Loop: Header=BB157_53 Depth=1
	v_add_nc_u64_e32 v[4:5], v[86:87], v[56:57]
	v_add_nc_u64_e32 v[6:7], v[88:89], v[56:57]
	global_load_b32 v19, v[4:5], off
	global_load_b32 v11, v[6:7], off
.LBB157_62:                             ;   in Loop: Header=BB157_53 Depth=1
	s_wait_xcnt 0x0
	s_or_b32 exec_lo, exec_lo, s2
	v_add_nc_u64_e32 v[4:5], s[20:21], v[90:91]
	s_mov_b32 s2, exec_lo
	s_delay_alu instid0(VALU_DEP_1)
	v_cmpx_gt_i64_e64 s[4:5], v[4:5]
	s_cbranch_execz .LBB157_64
; %bb.63:                               ;   in Loop: Header=BB157_53 Depth=1
	v_add_nc_u64_e32 v[4:5], v[82:83], v[56:57]
	v_add_nc_u64_e32 v[6:7], v[84:85], v[56:57]
	global_load_b32 v20, v[4:5], off
	global_load_b32 v12, v[6:7], off
.LBB157_64:                             ;   in Loop: Header=BB157_53 Depth=1
	;; [unrolled: 13-line block ×7, first 2 shown]
	s_wait_xcnt 0x0
	s_or_b32 exec_lo, exec_lo, s2
	s_wait_loadcnt 0x0
	ds_bpermute_b32 v4, v2, v94
	ds_bpermute_b32 v5, v2, v94 offset:4
	ds_bpermute_b32 v6, v2, v94 offset:8
	ds_bpermute_b32 v7, v2, v94 offset:12
	v_pk_mul_f32 v[8:9], v[10:11], v[18:19]
	ds_bpermute_b32 v10, v2, v94 offset:16
	ds_bpermute_b32 v11, v2, v94 offset:20
	s_mov_b32 s2, 0
	s_wait_dscnt 0x4
	v_pk_mul_f32 v[4:5], v[8:9], v[4:5]
	v_pk_mul_f32 v[8:9], v[12:13], v[20:21]
	s_delay_alu instid0(VALU_DEP_2)
	v_add_f32_e32 v3, v93, v4
	ds_bpermute_b32 v4, v2, v94 offset:24
	s_wait_dscnt 0x3
	v_pk_mul_f32 v[6:7], v[8:9], v[6:7]
	v_pk_mul_f32 v[8:9], v[14:15], v[22:23]
	v_add_f32_e32 v3, v3, v5
	ds_bpermute_b32 v5, v2, v94 offset:28
	s_wait_dscnt 0x2
	v_pk_mul_f32 v[8:9], v[8:9], v[10:11]
	v_add_f32_e32 v3, v3, v6
	s_delay_alu instid0(VALU_DEP_1) | instskip(SKIP_1) | instid1(VALU_DEP_2)
	v_add_f32_e32 v3, v3, v7
	v_pk_mul_f32 v[6:7], v[16:17], v[24:25]
	v_add_f32_e32 v3, v3, v8
	s_delay_alu instid0(VALU_DEP_1) | instskip(SKIP_1) | instid1(VALU_DEP_3)
	v_add_f32_e32 v3, v3, v9
	s_wait_dscnt 0x0
	v_pk_mul_f32 v[4:5], v[6:7], v[4:5]
	s_delay_alu instid0(VALU_DEP_1) | instskip(NEXT) | instid1(VALU_DEP_1)
	v_add_f32_e32 v3, v3, v4
	v_add_f32_e32 v3, v3, v5
.LBB157_75:                             ;   in Loop: Header=BB157_53 Depth=1
	s_and_b32 vcc_lo, exec_lo, s2
	s_cbranch_vccz .LBB157_81
; %bb.76:                               ;   in Loop: Header=BB157_53 Depth=1
	s_load_b32 s2, s[34:35], 0x0
	s_wait_kmcnt 0x0
	s_cmp_lt_u32 s12, s2
	s_cselect_b32 s2, 12, 18
	s_delay_alu instid0(SALU_CYCLE_1) | instskip(SKIP_4) | instid1(VALU_DEP_1)
	s_add_nc_u64 s[40:41], s[34:35], s[2:3]
	s_load_u16 s2, s[40:41], 0x0
	s_wait_kmcnt 0x0
	v_mad_u32_u24 v3, v1, s2, v92
	s_mov_b32 s2, exec_lo
	v_dual_mov_b32 v3, 0 :: v_dual_bitop2_b32 v4, 31, v3 bitop3:0x40
	s_delay_alu instid0(VALU_DEP_1)
	v_cmpx_gt_u32_e32 8, v4
	s_cbranch_execz .LBB157_80
; %bb.77:                               ;   in Loop: Header=BB157_53 Depth=1
	v_dual_mov_b32 v5, v2 :: v_dual_mov_b32 v3, 0
	s_mov_b32 s13, exec_lo
	s_delay_alu instid0(VALU_DEP_1) | instskip(NEXT) | instid1(VALU_DEP_1)
	v_add_nc_u64_e32 v[4:5], v[90:91], v[4:5]
	v_add_nc_u64_e32 v[4:5], s[8:9], v[4:5]
	s_delay_alu instid0(VALU_DEP_1)
	v_cmpx_gt_i64_e64 s[4:5], v[4:5]
	s_cbranch_execz .LBB157_79
; %bb.78:                               ;   in Loop: Header=BB157_53 Depth=1
	v_lshl_add_u64 v[4:5], v[4:5], 2, s[14:15]
	global_load_b32 v3, v[4:5], off
.LBB157_79:                             ;   in Loop: Header=BB157_53 Depth=1
	s_wait_xcnt 0x0
	s_or_b32 exec_lo, exec_lo, s13
.LBB157_80:                             ;   in Loop: Header=BB157_53 Depth=1
	s_delay_alu instid0(SALU_CYCLE_1)
	s_or_b32 exec_lo, exec_lo, s2
	v_add_nc_u64_e32 v[4:5], v[58:59], v[56:57]
	v_add_nc_u64_e32 v[6:7], v[60:61], v[56:57]
	;; [unrolled: 1-line block ×5, first 2 shown]
	global_load_b32 v12, v[4:5], off
	global_load_b32 v14, v[6:7], off
	;; [unrolled: 1-line block ×4, first 2 shown]
	s_wait_xcnt 0x3
	v_add_nc_u64_e32 v[4:5], v[30:31], v[56:57]
	s_wait_xcnt 0x2
	v_add_nc_u64_e32 v[6:7], v[40:41], v[56:57]
	;; [unrolled: 2-line block ×4, first 2 shown]
	global_load_b32 v18, v[4:5], off
	global_load_b32 v20, v[6:7], off
	;; [unrolled: 1-line block ×4, first 2 shown]
	s_wait_xcnt 0x3
	v_add_nc_u64_e32 v[4:5], v[46:47], v[56:57]
	s_wait_xcnt 0x2
	v_add_nc_u64_e32 v[6:7], v[36:37], v[56:57]
	;; [unrolled: 2-line block ×3, first 2 shown]
	global_load_b32 v10, v[16:17], off
	global_load_b32 v22, v[4:5], off
	;; [unrolled: 1-line block ×4, first 2 shown]
	s_wait_xcnt 0x2
	v_add_nc_u64_e32 v[4:5], v[44:45], v[56:57]
	s_wait_xcnt 0x1
	v_add_nc_u64_e32 v[6:7], v[50:51], v[56:57]
	;; [unrolled: 2-line block ×3, first 2 shown]
	v_add_nc_u64_e32 v[16:17], v[54:55], v[56:57]
	global_load_b32 v24, v[4:5], off
	global_load_b32 v90, v[6:7], off
	;; [unrolled: 1-line block ×4, first 2 shown]
	s_wait_loadcnt 0x10
	s_wait_xcnt 0x3
	ds_bpermute_b32 v4, v2, v3
	ds_bpermute_b32 v5, v2, v3 offset:4
	s_wait_xcnt 0x2
	ds_bpermute_b32 v6, v2, v3 offset:8
	ds_bpermute_b32 v7, v2, v3 offset:12
	s_wait_loadcnt 0xc
	s_wait_xcnt 0x1
	v_pk_mul_f32 v[8:9], v[12:13], v[14:15]
	ds_bpermute_b32 v12, v2, v3 offset:16
	ds_bpermute_b32 v13, v2, v3 offset:20
	s_wait_dscnt 0x4
	v_pk_mul_f32 v[4:5], v[8:9], v[4:5]
	s_wait_loadcnt 0x8
	v_pk_mul_f32 v[8:9], v[18:19], v[20:21]
	s_wait_dscnt 0x2
	s_delay_alu instid0(VALU_DEP_1)
	v_pk_mul_f32 v[6:7], v[8:9], v[6:7]
	v_add_f32_e32 v14, v93, v4
	s_wait_loadcnt 0x4
	v_pk_mul_f32 v[8:9], v[10:11], v[22:23]
	ds_bpermute_b32 v4, v2, v3 offset:24
	s_wait_dscnt 0x1
	v_pk_mul_f32 v[8:9], v[8:9], v[12:13]
	v_add_f32_e32 v14, v14, v5
	ds_bpermute_b32 v5, v2, v3 offset:28
	v_add_f32_e32 v3, v14, v6
	s_delay_alu instid0(VALU_DEP_1) | instskip(SKIP_2) | instid1(VALU_DEP_2)
	v_add_f32_e32 v3, v3, v7
	s_wait_loadcnt 0x0
	v_pk_mul_f32 v[6:7], v[24:25], v[90:91]
	v_add_f32_e32 v3, v3, v8
	s_delay_alu instid0(VALU_DEP_1) | instskip(SKIP_1) | instid1(VALU_DEP_3)
	v_add_f32_e32 v3, v3, v9
	s_wait_dscnt 0x0
	v_pk_mul_f32 v[4:5], v[6:7], v[4:5]
	s_delay_alu instid0(VALU_DEP_1) | instskip(NEXT) | instid1(VALU_DEP_1)
	v_add_f32_e32 v3, v3, v4
	v_add_f32_e32 v3, v3, v5
.LBB157_81:                             ;   in Loop: Header=BB157_53 Depth=1
	s_add_nc_u64 s[16:17], s[16:17], s[18:19]
	v_add_nc_u64_e32 v[58:59], s[36:37], v[58:59]
	v_cmp_ge_i64_e64 s2, s[16:17], s[4:5]
	v_add_nc_u64_e32 v[60:61], s[36:37], v[60:61]
	v_add_nc_u64_e32 v[28:29], s[36:37], v[28:29]
	;; [unrolled: 1-line block ×29, first 2 shown]
	s_and_b32 vcc_lo, exec_lo, s2
	s_add_nc_u64 s[38:39], s[38:39], s[18:19]
	s_cbranch_vccnz .LBB157_83
; %bb.82:                               ;   in Loop: Header=BB157_53 Depth=1
	v_mov_b32_e32 v93, v3
	s_branch .LBB157_53
.LBB157_83:
	v_and_b32_e32 v1, 0x3ff, v0
	v_bfe_u32 v2, v0, 10, 10
	v_bfe_u32 v0, v0, 5, 5
	s_mov_b32 s2, exec_lo
	s_delay_alu instid0(VALU_DEP_2) | instskip(NEXT) | instid1(VALU_DEP_2)
	v_mad_u32_u24 v4, v2, 33, v1
	v_add_nc_u32_e32 v0, v0, v2
	s_delay_alu instid0(VALU_DEP_2)
	v_lshl_add_u32 v2, v4, 2, 0
	v_mov_b32_e32 v4, 0
	ds_store_b32 v2, v3
	ds_store_b32 v2, v4 offset:1056
	s_wait_dscnt 0x0
	s_barrier_signal -1
	s_barrier_wait -1
	v_cmpx_gt_u32_e32 32, v0
	s_cbranch_execz .LBB157_103
; %bb.84:
	s_load_b64 s[2:3], s[0:1], 0x30
	v_and_b32_e32 v2, 31, v1
	s_delay_alu instid0(VALU_DEP_1)
	v_cmp_gt_u32_e32 vcc_lo, 8, v2
	v_mul_u32_u24_e32 v4, 33, v2
                                        ; implicit-def: $vgpr2
	s_wait_xcnt 0x0
	s_and_saveexec_b32 s0, vcc_lo
	s_cbranch_execz .LBB157_86
; %bb.85:
	v_lshlrev_b32_e32 v2, 2, v0
	v_lshlrev_b32_e32 v3, 2, v4
	s_delay_alu instid0(VALU_DEP_1)
	v_add3_u32 v2, 0, v2, v3
	ds_load_b32 v2, v2
.LBB157_86:
	s_or_b32 exec_lo, exec_lo, s0
	v_mbcnt_lo_u32_b32 v3, -1, 0
	s_mov_b32 s13, 0
	s_delay_alu instid0(SALU_CYCLE_1)
	s_lshl_b64 s[4:5], s[12:13], 5
	s_wait_kmcnt 0x0
	s_cmp_eq_u64 s[2:3], 0
	v_xor_b32_e32 v8, 1, v3
	v_xor_b32_e32 v6, 2, v3
	;; [unrolled: 1-line block ×3, first 2 shown]
	s_cselect_b32 s8, -1, 0
	s_delay_alu instid0(VALU_DEP_1) | instskip(NEXT) | instid1(VALU_DEP_1)
	v_cmp_gt_i32_e64 s0, 32, v5
	v_cndmask_b32_e64 v5, v3, v5, s0
	v_cmp_gt_i32_e64 s0, 32, v6
	s_delay_alu instid0(VALU_DEP_1) | instskip(SKIP_1) | instid1(VALU_DEP_2)
	v_cndmask_b32_e64 v6, v3, v6, s0
	v_cmp_gt_i32_e64 s0, 32, v8
	v_dual_lshlrev_b32 v6, 2, v6 :: v_dual_lshlrev_b32 v5, 2, v5
	s_delay_alu instid0(VALU_DEP_2)
	v_cndmask_b32_e64 v3, v3, v8, s0
	v_cmp_ne_u32_e64 s0, 0, v1
	s_wait_dscnt 0x0
	ds_bpermute_b32 v7, v5, v2
	s_wait_dscnt 0x0
	v_add_f32_e32 v2, v2, v7
	ds_bpermute_b32 v7, v6, v2
	s_wait_dscnt 0x0
	v_dual_add_f32 v8, v2, v7 :: v_dual_bitop2_b32 v2, s4, v0 bitop3:0x54
	v_lshlrev_b32_e32 v7, 2, v3
	ds_bpermute_b32 v9, v7, v8
	s_wait_dscnt 0x0
	v_dual_mov_b32 v3, s5 :: v_dual_add_f32 v8, v8, v9
	s_delay_alu instid0(VALU_DEP_1) | instskip(SKIP_1) | instid1(SALU_CYCLE_1)
	v_cmp_le_i64_e64 s1, s[6:7], v[2:3]
	s_or_b32 s1, s0, s1
	s_nor_b32 s9, s8, s1
	s_delay_alu instid0(SALU_CYCLE_1)
	s_and_saveexec_b32 s1, s9
	s_cbranch_execz .LBB157_88
; %bb.87:
	v_lshl_add_u64 v[2:3], v[2:3], 2, s[2:3]
	global_store_b32 v[2:3], v8, off
.LBB157_88:
	s_wait_xcnt 0x0
	s_or_b32 exec_lo, exec_lo, s1
	v_cmp_gt_u32_e64 s1, 24, v0
	s_and_b32 exec_lo, exec_lo, s1
	s_cbranch_execz .LBB157_103
; %bb.89:
	v_mov_b32_e32 v1, 0
	s_and_saveexec_b32 s1, vcc_lo
	s_cbranch_execz .LBB157_91
; %bb.90:
	v_lshlrev_b32_e32 v2, 2, v0
	v_lshlrev_b32_e32 v3, 2, v4
	s_delay_alu instid0(VALU_DEP_1)
	v_add3_u32 v2, 0, v2, v3
	ds_load_b32 v8, v2 offset:32
.LBB157_91:
	s_or_b32 exec_lo, exec_lo, s1
	s_wait_dscnt 0x0
	ds_bpermute_b32 v2, v5, v8
	s_wait_dscnt 0x0
	v_add_f32_e32 v2, v8, v2
	ds_bpermute_b32 v3, v6, v2
	s_wait_dscnt 0x0
	v_dual_add_f32 v8, v2, v3 :: v_dual_add_nc_u32 v2, 8, v0
	v_mov_b32_e32 v3, v1
	ds_bpermute_b32 v9, v7, v8
	v_add_nc_u64_e32 v[2:3], s[4:5], v[2:3]
	s_delay_alu instid0(VALU_DEP_1) | instskip(SKIP_1) | instid1(SALU_CYCLE_1)
	v_cmp_le_i64_e64 s1, s[6:7], v[2:3]
	s_or_b32 s1, s0, s1
	s_nor_b32 s9, s8, s1
	s_wait_dscnt 0x0
	v_add_f32_e32 v2, v8, v9
	s_and_saveexec_b32 s1, s9
	s_cbranch_execz .LBB157_93
; %bb.92:
	v_add_nc_u64_e32 v[8:9], s[4:5], v[0:1]
	s_delay_alu instid0(VALU_DEP_1)
	v_lshl_add_u64 v[8:9], v[8:9], 2, s[2:3]
	global_store_b32 v[8:9], v2, off offset:32
.LBB157_93:
	s_wait_xcnt 0x0
	s_or_b32 exec_lo, exec_lo, s1
	v_cmp_gt_u32_e64 s1, 16, v0
	s_and_b32 exec_lo, exec_lo, s1
	s_cbranch_execz .LBB157_103
; %bb.94:
	s_and_saveexec_b32 s1, vcc_lo
	s_cbranch_execz .LBB157_96
; %bb.95:
	v_lshlrev_b32_e32 v2, 2, v0
	v_lshlrev_b32_e32 v3, 2, v4
	s_delay_alu instid0(VALU_DEP_1)
	v_add3_u32 v2, 0, v2, v3
	ds_load_b32 v2, v2 offset:64
.LBB157_96:
	s_or_b32 exec_lo, exec_lo, s1
	s_wait_dscnt 0x0
	ds_bpermute_b32 v3, v5, v2
	s_wait_dscnt 0x0
	v_add_f32_e32 v2, v2, v3
	ds_bpermute_b32 v3, v6, v2
	s_wait_dscnt 0x0
	v_dual_add_f32 v8, v2, v3 :: v_dual_add_nc_u32 v2, 16, v0
	v_mov_b32_e32 v3, s5
	ds_bpermute_b32 v9, v7, v8
	v_or_b32_e32 v2, s4, v2
	s_delay_alu instid0(VALU_DEP_1) | instskip(SKIP_1) | instid1(SALU_CYCLE_1)
	v_cmp_le_i64_e64 s1, s[6:7], v[2:3]
	s_or_b32 s1, s0, s1
	s_nor_b32 s9, s8, s1
	s_wait_dscnt 0x0
	v_add_f32_e32 v2, v8, v9
	s_and_saveexec_b32 s1, s9
	s_cbranch_execz .LBB157_98
; %bb.97:
	v_add_nc_u64_e32 v[8:9], s[4:5], v[0:1]
	s_delay_alu instid0(VALU_DEP_1)
	v_lshl_add_u64 v[8:9], v[8:9], 2, s[2:3]
	global_store_b32 v[8:9], v2, off offset:64
.LBB157_98:
	s_wait_xcnt 0x0
	s_or_b32 exec_lo, exec_lo, s1
	v_cmp_gt_u32_e64 s1, 8, v0
	s_and_b32 exec_lo, exec_lo, s1
	s_cbranch_execz .LBB157_103
; %bb.99:
	s_and_saveexec_b32 s1, vcc_lo
	s_cbranch_execz .LBB157_101
; %bb.100:
	v_lshlrev_b32_e32 v2, 2, v0
	v_lshlrev_b32_e32 v3, 2, v4
	s_delay_alu instid0(VALU_DEP_1)
	v_add3_u32 v2, 0, v2, v3
	ds_load_b32 v2, v2 offset:96
.LBB157_101:
	s_or_b32 exec_lo, exec_lo, s1
	s_wait_dscnt 0x0
	ds_bpermute_b32 v3, v5, v2
	v_dual_mov_b32 v5, s5 :: v_dual_add_nc_u32 v4, 24, v0
	s_delay_alu instid0(VALU_DEP_1) | instskip(NEXT) | instid1(VALU_DEP_1)
	v_or_b32_e32 v4, s4, v4
	v_cmp_le_i64_e32 vcc_lo, s[6:7], v[4:5]
	s_or_b32 s0, s0, vcc_lo
	s_wait_dscnt 0x0
	v_add_f32_e32 v2, v2, v3
	s_nor_b32 s0, s8, s0
	ds_bpermute_b32 v3, v6, v2
	s_wait_dscnt 0x0
	v_add_f32_e32 v2, v2, v3
	ds_bpermute_b32 v3, v7, v2
	s_and_saveexec_b32 s1, s0
	s_delay_alu instid0(SALU_CYCLE_1)
	s_xor_b32 s1, exec_lo, s1
	s_cbranch_execz .LBB157_103
; %bb.102:
	v_add_nc_u64_e32 v[0:1], s[4:5], v[0:1]
	s_wait_dscnt 0x0
	v_add_f32_e32 v2, v2, v3
	s_delay_alu instid0(VALU_DEP_2)
	v_lshl_add_u64 v[0:1], v[0:1], 2, s[2:3]
	global_store_b32 v[0:1], v2, off offset:96
.LBB157_103:
	s_sendmsg sendmsg(MSG_DEALLOC_VGPRS)
	s_endpgm
	.section	.rodata,"a",@progbits
	.p2align	6, 0x0
	.amdhsa_kernel _ZN2at6native12_GLOBAL__N_135GammaBetaBackwardCUDAKernelTemplateIffLj32ELj8ELj64ELb0ELb0ELb1EEEvllPKT_S5_PKT0_S8_PS3_S9_
		.amdhsa_group_segment_fixed_size 0
		.amdhsa_private_segment_fixed_size 0
		.amdhsa_kernarg_size 320
		.amdhsa_user_sgpr_count 2
		.amdhsa_user_sgpr_dispatch_ptr 0
		.amdhsa_user_sgpr_queue_ptr 0
		.amdhsa_user_sgpr_kernarg_segment_ptr 1
		.amdhsa_user_sgpr_dispatch_id 0
		.amdhsa_user_sgpr_kernarg_preload_length 0
		.amdhsa_user_sgpr_kernarg_preload_offset 0
		.amdhsa_user_sgpr_private_segment_size 0
		.amdhsa_wavefront_size32 1
		.amdhsa_uses_dynamic_stack 0
		.amdhsa_enable_private_segment 0
		.amdhsa_system_sgpr_workgroup_id_x 1
		.amdhsa_system_sgpr_workgroup_id_y 1
		.amdhsa_system_sgpr_workgroup_id_z 0
		.amdhsa_system_sgpr_workgroup_info 0
		.amdhsa_system_vgpr_workitem_id 1
		.amdhsa_next_free_vgpr 95
		.amdhsa_next_free_sgpr 50
		.amdhsa_named_barrier_count 0
		.amdhsa_reserve_vcc 1
		.amdhsa_float_round_mode_32 0
		.amdhsa_float_round_mode_16_64 0
		.amdhsa_float_denorm_mode_32 3
		.amdhsa_float_denorm_mode_16_64 3
		.amdhsa_fp16_overflow 0
		.amdhsa_memory_ordered 1
		.amdhsa_forward_progress 1
		.amdhsa_inst_pref_size 48
		.amdhsa_round_robin_scheduling 0
		.amdhsa_exception_fp_ieee_invalid_op 0
		.amdhsa_exception_fp_denorm_src 0
		.amdhsa_exception_fp_ieee_div_zero 0
		.amdhsa_exception_fp_ieee_overflow 0
		.amdhsa_exception_fp_ieee_underflow 0
		.amdhsa_exception_fp_ieee_inexact 0
		.amdhsa_exception_int_div_zero 0
	.end_amdhsa_kernel
	.section	.text._ZN2at6native12_GLOBAL__N_135GammaBetaBackwardCUDAKernelTemplateIffLj32ELj8ELj64ELb0ELb0ELb1EEEvllPKT_S5_PKT0_S8_PS3_S9_,"axG",@progbits,_ZN2at6native12_GLOBAL__N_135GammaBetaBackwardCUDAKernelTemplateIffLj32ELj8ELj64ELb0ELb0ELb1EEEvllPKT_S5_PKT0_S8_PS3_S9_,comdat
.Lfunc_end157:
	.size	_ZN2at6native12_GLOBAL__N_135GammaBetaBackwardCUDAKernelTemplateIffLj32ELj8ELj64ELb0ELb0ELb1EEEvllPKT_S5_PKT0_S8_PS3_S9_, .Lfunc_end157-_ZN2at6native12_GLOBAL__N_135GammaBetaBackwardCUDAKernelTemplateIffLj32ELj8ELj64ELb0ELb0ELb1EEEvllPKT_S5_PKT0_S8_PS3_S9_
                                        ; -- End function
	.set _ZN2at6native12_GLOBAL__N_135GammaBetaBackwardCUDAKernelTemplateIffLj32ELj8ELj64ELb0ELb0ELb1EEEvllPKT_S5_PKT0_S8_PS3_S9_.num_vgpr, 95
	.set _ZN2at6native12_GLOBAL__N_135GammaBetaBackwardCUDAKernelTemplateIffLj32ELj8ELj64ELb0ELb0ELb1EEEvllPKT_S5_PKT0_S8_PS3_S9_.num_agpr, 0
	.set _ZN2at6native12_GLOBAL__N_135GammaBetaBackwardCUDAKernelTemplateIffLj32ELj8ELj64ELb0ELb0ELb1EEEvllPKT_S5_PKT0_S8_PS3_S9_.numbered_sgpr, 50
	.set _ZN2at6native12_GLOBAL__N_135GammaBetaBackwardCUDAKernelTemplateIffLj32ELj8ELj64ELb0ELb0ELb1EEEvllPKT_S5_PKT0_S8_PS3_S9_.num_named_barrier, 0
	.set _ZN2at6native12_GLOBAL__N_135GammaBetaBackwardCUDAKernelTemplateIffLj32ELj8ELj64ELb0ELb0ELb1EEEvllPKT_S5_PKT0_S8_PS3_S9_.private_seg_size, 0
	.set _ZN2at6native12_GLOBAL__N_135GammaBetaBackwardCUDAKernelTemplateIffLj32ELj8ELj64ELb0ELb0ELb1EEEvllPKT_S5_PKT0_S8_PS3_S9_.uses_vcc, 1
	.set _ZN2at6native12_GLOBAL__N_135GammaBetaBackwardCUDAKernelTemplateIffLj32ELj8ELj64ELb0ELb0ELb1EEEvllPKT_S5_PKT0_S8_PS3_S9_.uses_flat_scratch, 0
	.set _ZN2at6native12_GLOBAL__N_135GammaBetaBackwardCUDAKernelTemplateIffLj32ELj8ELj64ELb0ELb0ELb1EEEvllPKT_S5_PKT0_S8_PS3_S9_.has_dyn_sized_stack, 0
	.set _ZN2at6native12_GLOBAL__N_135GammaBetaBackwardCUDAKernelTemplateIffLj32ELj8ELj64ELb0ELb0ELb1EEEvllPKT_S5_PKT0_S8_PS3_S9_.has_recursion, 0
	.set _ZN2at6native12_GLOBAL__N_135GammaBetaBackwardCUDAKernelTemplateIffLj32ELj8ELj64ELb0ELb0ELb1EEEvllPKT_S5_PKT0_S8_PS3_S9_.has_indirect_call, 0
	.section	.AMDGPU.csdata,"",@progbits
; Kernel info:
; codeLenInByte = 6080
; TotalNumSgprs: 52
; NumVgprs: 95
; ScratchSize: 0
; MemoryBound: 0
; FloatMode: 240
; IeeeMode: 1
; LDSByteSize: 0 bytes/workgroup (compile time only)
; SGPRBlocks: 0
; VGPRBlocks: 5
; NumSGPRsForWavesPerEU: 52
; NumVGPRsForWavesPerEU: 95
; NamedBarCnt: 0
; Occupancy: 10
; WaveLimiterHint : 0
; COMPUTE_PGM_RSRC2:SCRATCH_EN: 0
; COMPUTE_PGM_RSRC2:USER_SGPR: 2
; COMPUTE_PGM_RSRC2:TRAP_HANDLER: 0
; COMPUTE_PGM_RSRC2:TGID_X_EN: 1
; COMPUTE_PGM_RSRC2:TGID_Y_EN: 1
; COMPUTE_PGM_RSRC2:TGID_Z_EN: 0
; COMPUTE_PGM_RSRC2:TIDIG_COMP_CNT: 1
	.section	.text._ZN2at6native12_GLOBAL__N_135GammaBetaBackwardCUDAKernelTemplateIffLj32ELj16ELj128ELb0ELb1ELb1EEEvllPKT_S5_PKT0_S8_PS3_S9_,"axG",@progbits,_ZN2at6native12_GLOBAL__N_135GammaBetaBackwardCUDAKernelTemplateIffLj32ELj16ELj128ELb0ELb1ELb1EEEvllPKT_S5_PKT0_S8_PS3_S9_,comdat
	.globl	_ZN2at6native12_GLOBAL__N_135GammaBetaBackwardCUDAKernelTemplateIffLj32ELj16ELj128ELb0ELb1ELb1EEEvllPKT_S5_PKT0_S8_PS3_S9_ ; -- Begin function _ZN2at6native12_GLOBAL__N_135GammaBetaBackwardCUDAKernelTemplateIffLj32ELj16ELj128ELb0ELb1ELb1EEEvllPKT_S5_PKT0_S8_PS3_S9_
	.p2align	8
	.type	_ZN2at6native12_GLOBAL__N_135GammaBetaBackwardCUDAKernelTemplateIffLj32ELj16ELj128ELb0ELb1ELb1EEEvllPKT_S5_PKT0_S8_PS3_S9_,@function
_ZN2at6native12_GLOBAL__N_135GammaBetaBackwardCUDAKernelTemplateIffLj32ELj16ELj128ELb0ELb1ELb1EEEvllPKT_S5_PKT0_S8_PS3_S9_: ; @_ZN2at6native12_GLOBAL__N_135GammaBetaBackwardCUDAKernelTemplateIffLj32ELj16ELj128ELb0ELb1ELb1EEEvllPKT_S5_PKT0_S8_PS3_S9_
; %bb.0:
	s_load_b128 s[4:7], s[0:1], 0x0
	s_bfe_u32 s2, ttmp6, 0x40010
	s_bfe_u32 s3, ttmp6, 0x40004
	s_add_co_i32 s2, s2, 1
	s_getreg_b32 s20, hwreg(HW_REG_IB_STS2, 6, 4)
	s_mul_i32 s2, ttmp7, s2
	s_mov_b32 s13, 0
	s_add_co_i32 s3, s3, s2
	s_cmp_eq_u32 s20, 0
	v_bfe_u32 v9, v0, 10, 10
	s_cselect_b32 s2, ttmp7, s3
	s_delay_alu instid0(SALU_CYCLE_1)
	s_lshl_b32 s12, s2, 7
	s_wait_kmcnt 0x0
	v_cmp_gt_i64_e64 s2, s[4:5], s[12:13]
	s_and_b32 vcc_lo, exec_lo, s2
	s_cbranch_vccnz .LBB158_2
; %bb.1:
	v_bfe_u32 v1, v0, 10, 10
	s_mov_b32 s2, s13
	v_and_b32_e32 v8, 0x3ff, v0
	v_mov_b32_e32 v16, 0
	s_and_not1_b32 vcc_lo, exec_lo, s2
	s_cbranch_vccz .LBB158_3
	s_branch .LBB158_10
.LBB158_2:
                                        ; implicit-def: $vgpr1
	v_and_b32_e32 v8, 0x3ff, v0
	v_mov_b32_e32 v16, 0
.LBB158_3:
	v_dual_mov_b32 v1, 0 :: v_dual_lshlrev_b32 v0, 3, v9
	s_load_b32 s2, s[0:1], 0x4c
	s_bfe_u32 s14, ttmp6, 0x4000c
	s_clause 0x2
	s_load_b32 s3, s[0:1], 0x44
	s_load_b128 s[8:11], s[0:1], 0x10
	s_load_b64 s[16:17], s[0:1], 0x28
	s_add_co_i32 s14, s14, 1
	v_add_nc_u64_e32 v[2:3], s[12:13], v[0:1]
	s_and_b32 s18, ttmp6, 15
	s_mul_i32 s14, ttmp9, s14
	v_dual_mov_b32 v5, v1 :: v_dual_mov_b32 v15, v1
	s_add_co_i32 s18, s18, s14
	s_mov_b32 s15, 0
	s_delay_alu instid0(VALU_DEP_2)
	v_mul_u64_e32 v[6:7], s[6:7], v[2:3]
	v_dual_mov_b32 v0, 8 :: v_dual_mov_b32 v10, 4
	v_dual_mov_b32 v12, 16 :: v_dual_mov_b32 v13, 20
	v_mov_b32_e32 v11, 12
	s_wait_kmcnt 0x0
	s_and_b32 s2, s2, 0xffff
	s_cmp_eq_u32 s20, 0
	v_mad_u32_u24 v4, v9, s2, v8
	s_cselect_b32 s2, ttmp9, s18
	s_lshl_b32 s14, s3, 7
	v_lshl_add_u32 v14, s2, 5, v8
	s_mul_u64 s[18:19], s[6:7], s[14:15]
	v_and_b32_e32 v4, 31, v4
	s_lshl_b64 s[18:19], s[18:19], 2
	s_lshl_b64 s[6:7], s[6:7], 2
	v_lshlrev_b64_e32 v[16:17], 2, v[14:15]
	v_dual_mov_b32 v14, 24 :: v_dual_mov_b32 v15, 28
	v_add_nc_u64_e32 v[2:3], v[2:3], v[4:5]
	v_cmp_gt_u32_e64 s2, 8, v4
	s_delay_alu instid0(VALU_DEP_2)
	v_lshl_add_u64 v[4:5], v[2:3], 2, s[16:17]
	s_lshl_b64 s[16:17], s[14:15], 2
	v_lshl_add_u64 v[6:7], v[6:7], 2, v[16:17]
	v_mov_b32_e32 v16, 0
	s_branch .LBB158_6
.LBB158_4:                              ;   in Loop: Header=BB158_6 Depth=1
	s_wait_xcnt 0x0
	s_or_b32 exec_lo, exec_lo, s21
.LBB158_5:                              ;   in Loop: Header=BB158_6 Depth=1
	s_delay_alu instid0(SALU_CYCLE_1)
	s_or_b32 exec_lo, exec_lo, s3
	v_add_nc_u64_e32 v[18:19], s[8:9], v[6:7]
	v_add_nc_u64_e32 v[20:21], s[10:11], v[6:7]
	s_add_nc_u64 s[12:13], s[12:13], s[14:15]
	v_add_nc_u64_e32 v[4:5], s[16:17], v[4:5]
	v_cmp_lt_i64_e64 s3, s[12:13], s[4:5]
	v_add_nc_u64_e32 v[2:3], s[14:15], v[2:3]
	v_add_nc_u64_e32 v[6:7], s[18:19], v[6:7]
	;; [unrolled: 1-line block ×4, first 2 shown]
	global_load_b32 v30, v[18:19], off
	global_load_b32 v32, v[20:21], off
	;; [unrolled: 1-line block ×4, first 2 shown]
	v_add_nc_u64_e32 v[26:27], s[6:7], v[22:23]
	v_add_nc_u64_e32 v[28:29], s[6:7], v[24:25]
	s_and_b32 vcc_lo, exec_lo, s3
	s_wait_xcnt 0x3
	s_delay_alu instid0(VALU_DEP_2) | instskip(SKIP_1) | instid1(VALU_DEP_2)
	v_add_nc_u64_e32 v[18:19], s[6:7], v[26:27]
	s_wait_xcnt 0x2
	v_add_nc_u64_e32 v[20:21], s[6:7], v[28:29]
	global_load_b32 v34, v[26:27], off
	global_load_b32 v36, v[28:29], off
	;; [unrolled: 1-line block ×4, first 2 shown]
	s_wait_xcnt 0x5
	v_add_nc_u64_e32 v[22:23], s[6:7], v[18:19]
	s_wait_xcnt 0x4
	v_add_nc_u64_e32 v[24:25], s[6:7], v[20:21]
	s_wait_xcnt 0x1
	s_delay_alu instid0(VALU_DEP_2) | instskip(SKIP_1) | instid1(VALU_DEP_2)
	v_add_nc_u64_e32 v[18:19], s[6:7], v[22:23]
	s_wait_xcnt 0x0
	v_add_nc_u64_e32 v[20:21], s[6:7], v[24:25]
	global_load_b32 v22, v[22:23], off
	global_load_b32 v38, v[24:25], off
	;; [unrolled: 1-line block ×4, first 2 shown]
	v_add_nc_u64_e32 v[26:27], s[6:7], v[18:19]
	v_add_nc_u64_e32 v[28:29], s[6:7], v[20:21]
	s_wait_xcnt 0x1
	s_delay_alu instid0(VALU_DEP_2) | instskip(SKIP_1) | instid1(VALU_DEP_2)
	v_add_nc_u64_e32 v[18:19], s[6:7], v[26:27]
	s_wait_xcnt 0x0
	v_add_nc_u64_e32 v[20:21], s[6:7], v[28:29]
	global_load_b32 v24, v[26:27], off
	global_load_b32 v40, v[28:29], off
	;; [unrolled: 1-line block ×4, first 2 shown]
	s_wait_loadcnt 0x10
	s_wait_xcnt 0x1
	ds_bpermute_b32 v18, v1, v17
	ds_bpermute_b32 v19, v10, v17
	s_wait_xcnt 0x0
	ds_bpermute_b32 v20, v0, v17
	ds_bpermute_b32 v21, v11, v17
	s_wait_loadcnt 0xc
	v_pk_mul_f32 v[26:27], v[30:31], v[32:33]
	s_wait_dscnt 0x2
	s_delay_alu instid0(VALU_DEP_1)
	v_pk_mul_f32 v[18:19], v[26:27], v[18:19]
	ds_bpermute_b32 v26, v12, v17
	ds_bpermute_b32 v27, v13, v17
	v_add_f32_e32 v16, v16, v18
	s_wait_loadcnt 0x8
	v_pk_mul_f32 v[28:29], v[34:35], v[36:37]
	s_delay_alu instid0(VALU_DEP_2) | instskip(SKIP_4) | instid1(VALU_DEP_1)
	v_add_f32_e32 v30, v16, v19
	ds_bpermute_b32 v16, v14, v17
	ds_bpermute_b32 v17, v15, v17
	s_wait_dscnt 0x4
	v_pk_mul_f32 v[18:19], v[28:29], v[20:21]
	v_add_f32_e32 v18, v30, v18
	s_wait_loadcnt 0x4
	v_pk_mul_f32 v[20:21], v[22:23], v[38:39]
	s_delay_alu instid0(VALU_DEP_2) | instskip(SKIP_1) | instid1(VALU_DEP_2)
	v_add_f32_e32 v22, v18, v19
	s_wait_dscnt 0x2
	v_pk_mul_f32 v[18:19], v[20:21], v[26:27]
	s_wait_loadcnt 0x0
	v_pk_mul_f32 v[20:21], v[24:25], v[40:41]
	s_wait_dscnt 0x0
	s_delay_alu instid0(VALU_DEP_1) | instskip(SKIP_1) | instid1(VALU_DEP_1)
	v_pk_mul_f32 v[16:17], v[20:21], v[16:17]
	v_add_f32_e32 v18, v22, v18
	v_add_f32_e32 v18, v18, v19
	s_delay_alu instid0(VALU_DEP_1) | instskip(NEXT) | instid1(VALU_DEP_1)
	v_add_f32_e32 v16, v18, v16
	v_add_f32_e32 v16, v16, v17
	s_cbranch_vccz .LBB158_9
.LBB158_6:                              ; =>This Inner Loop Header: Depth=1
	v_mov_b32_e32 v17, 0
	s_and_saveexec_b32 s3, s2
	s_cbranch_execz .LBB158_5
; %bb.7:                                ;   in Loop: Header=BB158_6 Depth=1
	v_mov_b32_e32 v17, 0
	s_mov_b32 s21, exec_lo
	v_cmpx_gt_i64_e64 s[4:5], v[2:3]
	s_cbranch_execz .LBB158_4
; %bb.8:                                ;   in Loop: Header=BB158_6 Depth=1
	global_load_b32 v17, v[4:5], off
	s_branch .LBB158_4
.LBB158_9:
	v_mov_b32_e32 v1, v9
.LBB158_10:
	s_load_b64 s[2:3], s[0:1], 0x30
	s_delay_alu instid0(VALU_DEP_1) | instskip(SKIP_3) | instid1(VALU_DEP_2)
	v_mad_u32_u24 v0, v1, 33, v8
	v_dual_lshrrev_b32 v2, 5, v8 :: v_dual_mov_b32 v4, 0
	s_wait_xcnt 0x0
	s_mov_b32 s0, exec_lo
	v_lshl_add_u32 v3, v0, 2, 0
	s_delay_alu instid0(VALU_DEP_2)
	v_add_nc_u32_e32 v0, v2, v1
	ds_store_b32 v3, v16
	ds_store_b32 v3, v4 offset:2112
	s_wait_dscnt 0x0
	s_barrier_signal -1
	s_barrier_wait -1
	v_cmpx_gt_u32_e32 32, v0
	s_cbranch_execz .LBB158_20
; %bb.11:
	v_and_b32_e32 v1, 31, v8
                                        ; implicit-def: $vgpr4
	s_delay_alu instid0(VALU_DEP_1)
	v_cmp_gt_u32_e32 vcc_lo, 16, v1
	v_mul_u32_u24_e32 v1, 33, v1
	s_and_saveexec_b32 s0, vcc_lo
; %bb.12:
	s_delay_alu instid0(VALU_DEP_1) | instskip(NEXT) | instid1(VALU_DEP_1)
	v_dual_lshlrev_b32 v2, 2, v0 :: v_dual_lshlrev_b32 v3, 2, v1
	v_add3_u32 v2, 0, v2, v3
	ds_load_b32 v4, v2
; %bb.13:
	s_or_b32 exec_lo, exec_lo, s0
	v_mbcnt_lo_u32_b32 v5, -1, 0
	s_wait_kmcnt 0x0
	s_cmp_lg_u64 s[2:3], 0
	s_cselect_b32 s1, -1, 0
	s_bfe_u32 s4, ttmp6, 0x4000c
	v_xor_b32_e32 v3, 4, v5
	v_xor_b32_e32 v2, 8, v5
	s_add_co_i32 s4, s4, 1
	s_and_b32 s5, ttmp6, 15
	s_mul_i32 s4, ttmp9, s4
	v_xor_b32_e32 v9, 1, v5
	v_cmp_gt_i32_e64 s0, 32, v2
	s_delay_alu instid0(VALU_DEP_1) | instskip(SKIP_1) | instid1(VALU_DEP_1)
	v_cndmask_b32_e64 v2, v5, v2, s0
	v_cmp_gt_i32_e64 s0, 32, v3
	v_cndmask_b32_e64 v3, v5, v3, s0
	s_delay_alu instid0(VALU_DEP_1)
	v_dual_lshlrev_b32 v3, 2, v3 :: v_dual_lshlrev_b32 v2, 2, v2
	s_wait_dscnt 0x0
	ds_bpermute_b32 v6, v2, v4
	s_wait_dscnt 0x0
	v_dual_add_f32 v6, v4, v6 :: v_dual_bitop2_b32 v4, 2, v5 bitop3:0x14
	ds_bpermute_b32 v7, v3, v6
	v_cmp_gt_i32_e64 s0, 32, v4
	s_delay_alu instid0(VALU_DEP_1) | instskip(SKIP_2) | instid1(VALU_DEP_2)
	v_cndmask_b32_e64 v4, v5, v4, s0
	v_cmp_gt_i32_e64 s0, 32, v9
	s_wait_dscnt 0x0
	v_dual_add_f32 v6, v6, v7 :: v_dual_lshlrev_b32 v4, 2, v4
	ds_bpermute_b32 v7, v4, v6
	v_cndmask_b32_e64 v5, v5, v9, s0
	v_cmp_eq_u32_e64 s0, 0, v8
	s_and_b32 s1, s0, s1
	s_add_co_i32 s0, s5, s4
	s_cmp_eq_u32 s20, 0
	s_mov_b32 s5, 0
	s_cselect_b32 s4, ttmp9, s0
	s_delay_alu instid0(SALU_CYCLE_1) | instskip(NEXT) | instid1(SALU_CYCLE_1)
	s_lshl_b64 s[4:5], s[4:5], 7
	s_add_nc_u64 s[2:3], s[2:3], s[4:5]
	s_wait_dscnt 0x0
	v_dual_add_f32 v6, v6, v7 :: v_dual_lshlrev_b32 v5, 2, v5
	ds_bpermute_b32 v7, v5, v6
	s_wait_dscnt 0x0
	v_add_f32_e32 v6, v6, v7
	s_and_saveexec_b32 s0, s1
	s_cbranch_execz .LBB158_15
; %bb.14:
	global_store_b32 v0, v6, s[2:3] scale_offset
.LBB158_15:
	s_wait_xcnt 0x0
	s_or_b32 exec_lo, exec_lo, s0
	v_cmp_gt_u32_e64 s0, 16, v0
	s_and_b32 exec_lo, exec_lo, s0
	s_cbranch_execz .LBB158_20
; %bb.16:
	s_and_saveexec_b32 s0, vcc_lo
; %bb.17:
	v_dual_lshlrev_b32 v6, 2, v0 :: v_dual_lshlrev_b32 v1, 2, v1
	s_delay_alu instid0(VALU_DEP_1)
	v_add3_u32 v1, 0, v6, v1
	ds_load_b32 v6, v1 offset:64
; %bb.18:
	s_or_b32 exec_lo, exec_lo, s0
	s_wait_dscnt 0x0
	ds_bpermute_b32 v1, v2, v6
	s_wait_dscnt 0x0
	v_add_f32_e32 v1, v6, v1
	ds_bpermute_b32 v2, v3, v1
	s_wait_dscnt 0x0
	v_add_f32_e32 v1, v1, v2
	;; [unrolled: 3-line block ×3, first 2 shown]
	ds_bpermute_b32 v2, v5, v1
	s_and_saveexec_b32 s0, s1
	s_delay_alu instid0(SALU_CYCLE_1)
	s_xor_b32 s0, exec_lo, s0
	s_cbranch_execz .LBB158_20
; %bb.19:
	s_wait_dscnt 0x0
	v_add_f32_e32 v1, v1, v2
	global_store_b32 v0, v1, s[2:3] offset:64 scale_offset
.LBB158_20:
	s_endpgm
	.section	.rodata,"a",@progbits
	.p2align	6, 0x0
	.amdhsa_kernel _ZN2at6native12_GLOBAL__N_135GammaBetaBackwardCUDAKernelTemplateIffLj32ELj16ELj128ELb0ELb1ELb1EEEvllPKT_S5_PKT0_S8_PS3_S9_
		.amdhsa_group_segment_fixed_size 0
		.amdhsa_private_segment_fixed_size 0
		.amdhsa_kernarg_size 320
		.amdhsa_user_sgpr_count 2
		.amdhsa_user_sgpr_dispatch_ptr 0
		.amdhsa_user_sgpr_queue_ptr 0
		.amdhsa_user_sgpr_kernarg_segment_ptr 1
		.amdhsa_user_sgpr_dispatch_id 0
		.amdhsa_user_sgpr_kernarg_preload_length 0
		.amdhsa_user_sgpr_kernarg_preload_offset 0
		.amdhsa_user_sgpr_private_segment_size 0
		.amdhsa_wavefront_size32 1
		.amdhsa_uses_dynamic_stack 0
		.amdhsa_enable_private_segment 0
		.amdhsa_system_sgpr_workgroup_id_x 1
		.amdhsa_system_sgpr_workgroup_id_y 1
		.amdhsa_system_sgpr_workgroup_id_z 0
		.amdhsa_system_sgpr_workgroup_info 0
		.amdhsa_system_vgpr_workitem_id 1
		.amdhsa_next_free_vgpr 42
		.amdhsa_next_free_sgpr 22
		.amdhsa_named_barrier_count 0
		.amdhsa_reserve_vcc 1
		.amdhsa_float_round_mode_32 0
		.amdhsa_float_round_mode_16_64 0
		.amdhsa_float_denorm_mode_32 3
		.amdhsa_float_denorm_mode_16_64 3
		.amdhsa_fp16_overflow 0
		.amdhsa_memory_ordered 1
		.amdhsa_forward_progress 1
		.amdhsa_inst_pref_size 13
		.amdhsa_round_robin_scheduling 0
		.amdhsa_exception_fp_ieee_invalid_op 0
		.amdhsa_exception_fp_denorm_src 0
		.amdhsa_exception_fp_ieee_div_zero 0
		.amdhsa_exception_fp_ieee_overflow 0
		.amdhsa_exception_fp_ieee_underflow 0
		.amdhsa_exception_fp_ieee_inexact 0
		.amdhsa_exception_int_div_zero 0
	.end_amdhsa_kernel
	.section	.text._ZN2at6native12_GLOBAL__N_135GammaBetaBackwardCUDAKernelTemplateIffLj32ELj16ELj128ELb0ELb1ELb1EEEvllPKT_S5_PKT0_S8_PS3_S9_,"axG",@progbits,_ZN2at6native12_GLOBAL__N_135GammaBetaBackwardCUDAKernelTemplateIffLj32ELj16ELj128ELb0ELb1ELb1EEEvllPKT_S5_PKT0_S8_PS3_S9_,comdat
.Lfunc_end158:
	.size	_ZN2at6native12_GLOBAL__N_135GammaBetaBackwardCUDAKernelTemplateIffLj32ELj16ELj128ELb0ELb1ELb1EEEvllPKT_S5_PKT0_S8_PS3_S9_, .Lfunc_end158-_ZN2at6native12_GLOBAL__N_135GammaBetaBackwardCUDAKernelTemplateIffLj32ELj16ELj128ELb0ELb1ELb1EEEvllPKT_S5_PKT0_S8_PS3_S9_
                                        ; -- End function
	.set _ZN2at6native12_GLOBAL__N_135GammaBetaBackwardCUDAKernelTemplateIffLj32ELj16ELj128ELb0ELb1ELb1EEEvllPKT_S5_PKT0_S8_PS3_S9_.num_vgpr, 42
	.set _ZN2at6native12_GLOBAL__N_135GammaBetaBackwardCUDAKernelTemplateIffLj32ELj16ELj128ELb0ELb1ELb1EEEvllPKT_S5_PKT0_S8_PS3_S9_.num_agpr, 0
	.set _ZN2at6native12_GLOBAL__N_135GammaBetaBackwardCUDAKernelTemplateIffLj32ELj16ELj128ELb0ELb1ELb1EEEvllPKT_S5_PKT0_S8_PS3_S9_.numbered_sgpr, 22
	.set _ZN2at6native12_GLOBAL__N_135GammaBetaBackwardCUDAKernelTemplateIffLj32ELj16ELj128ELb0ELb1ELb1EEEvllPKT_S5_PKT0_S8_PS3_S9_.num_named_barrier, 0
	.set _ZN2at6native12_GLOBAL__N_135GammaBetaBackwardCUDAKernelTemplateIffLj32ELj16ELj128ELb0ELb1ELb1EEEvllPKT_S5_PKT0_S8_PS3_S9_.private_seg_size, 0
	.set _ZN2at6native12_GLOBAL__N_135GammaBetaBackwardCUDAKernelTemplateIffLj32ELj16ELj128ELb0ELb1ELb1EEEvllPKT_S5_PKT0_S8_PS3_S9_.uses_vcc, 1
	.set _ZN2at6native12_GLOBAL__N_135GammaBetaBackwardCUDAKernelTemplateIffLj32ELj16ELj128ELb0ELb1ELb1EEEvllPKT_S5_PKT0_S8_PS3_S9_.uses_flat_scratch, 0
	.set _ZN2at6native12_GLOBAL__N_135GammaBetaBackwardCUDAKernelTemplateIffLj32ELj16ELj128ELb0ELb1ELb1EEEvllPKT_S5_PKT0_S8_PS3_S9_.has_dyn_sized_stack, 0
	.set _ZN2at6native12_GLOBAL__N_135GammaBetaBackwardCUDAKernelTemplateIffLj32ELj16ELj128ELb0ELb1ELb1EEEvllPKT_S5_PKT0_S8_PS3_S9_.has_recursion, 0
	.set _ZN2at6native12_GLOBAL__N_135GammaBetaBackwardCUDAKernelTemplateIffLj32ELj16ELj128ELb0ELb1ELb1EEEvllPKT_S5_PKT0_S8_PS3_S9_.has_indirect_call, 0
	.section	.AMDGPU.csdata,"",@progbits
; Kernel info:
; codeLenInByte = 1592
; TotalNumSgprs: 24
; NumVgprs: 42
; ScratchSize: 0
; MemoryBound: 0
; FloatMode: 240
; IeeeMode: 1
; LDSByteSize: 0 bytes/workgroup (compile time only)
; SGPRBlocks: 0
; VGPRBlocks: 2
; NumSGPRsForWavesPerEU: 24
; NumVGPRsForWavesPerEU: 42
; NamedBarCnt: 0
; Occupancy: 16
; WaveLimiterHint : 0
; COMPUTE_PGM_RSRC2:SCRATCH_EN: 0
; COMPUTE_PGM_RSRC2:USER_SGPR: 2
; COMPUTE_PGM_RSRC2:TRAP_HANDLER: 0
; COMPUTE_PGM_RSRC2:TGID_X_EN: 1
; COMPUTE_PGM_RSRC2:TGID_Y_EN: 1
; COMPUTE_PGM_RSRC2:TGID_Z_EN: 0
; COMPUTE_PGM_RSRC2:TIDIG_COMP_CNT: 1
	.section	.text._ZN2at6native12_GLOBAL__N_135GammaBetaBackwardCUDAKernelTemplateIffLj32ELj16ELj128ELb0ELb0ELb1EEEvllPKT_S5_PKT0_S8_PS3_S9_,"axG",@progbits,_ZN2at6native12_GLOBAL__N_135GammaBetaBackwardCUDAKernelTemplateIffLj32ELj16ELj128ELb0ELb0ELb1EEEvllPKT_S5_PKT0_S8_PS3_S9_,comdat
	.globl	_ZN2at6native12_GLOBAL__N_135GammaBetaBackwardCUDAKernelTemplateIffLj32ELj16ELj128ELb0ELb0ELb1EEEvllPKT_S5_PKT0_S8_PS3_S9_ ; -- Begin function _ZN2at6native12_GLOBAL__N_135GammaBetaBackwardCUDAKernelTemplateIffLj32ELj16ELj128ELb0ELb0ELb1EEEvllPKT_S5_PKT0_S8_PS3_S9_
	.p2align	8
	.type	_ZN2at6native12_GLOBAL__N_135GammaBetaBackwardCUDAKernelTemplateIffLj32ELj16ELj128ELb0ELb0ELb1EEEvllPKT_S5_PKT0_S8_PS3_S9_,@function
_ZN2at6native12_GLOBAL__N_135GammaBetaBackwardCUDAKernelTemplateIffLj32ELj16ELj128ELb0ELb0ELb1EEEvllPKT_S5_PKT0_S8_PS3_S9_: ; @_ZN2at6native12_GLOBAL__N_135GammaBetaBackwardCUDAKernelTemplateIffLj32ELj16ELj128ELb0ELb0ELb1EEEvllPKT_S5_PKT0_S8_PS3_S9_
; %bb.0:
	s_load_b256 s[4:11], s[0:1], 0x0
	s_bfe_u32 s3, ttmp6, 0x4000c
	s_bfe_u32 s12, ttmp6, 0x40010
	s_add_co_i32 s3, s3, 1
	s_add_co_i32 s12, s12, 1
	s_and_b32 s2, ttmp6, 15
	s_bfe_u32 s13, ttmp6, 0x40004
	s_mul_i32 s3, ttmp9, s3
	s_mul_i32 s12, ttmp7, s12
	s_getreg_b32 s14, hwreg(HW_REG_IB_STS2, 6, 4)
	s_add_co_i32 s2, s2, s3
	s_add_co_i32 s13, s13, s12
	s_cmp_eq_u32 s14, 0
	s_mov_b32 s17, 0
	s_cselect_b32 s12, ttmp9, s2
	s_cselect_b32 s2, ttmp7, s13
	s_lshl_b32 s3, s12, 5
	s_load_b64 s[14:15], s[0:1], 0x28
	s_or_b32 s16, s3, 31
	s_wait_kmcnt 0x0
	v_cmp_le_i64_e64 s18, s[6:7], s[16:17]
	s_lshl_b32 s16, s2, 7
	s_delay_alu instid0(SALU_CYCLE_1) | instskip(SKIP_2) | instid1(VALU_DEP_1)
	v_cmp_gt_i64_e64 s13, s[4:5], s[16:17]
	s_and_b32 vcc_lo, exec_lo, s18
	v_cndmask_b32_e64 v1, 0, 1, s13
	v_cmp_ne_u32_e64 s2, 1, v1
	s_cbranch_vccz .LBB159_49
; %bb.1:
	v_mov_b32_e32 v3, 0
	s_and_b32 vcc_lo, exec_lo, s2
	s_cbranch_vccnz .LBB159_50
; %bb.2:
	v_bfe_u32 v1, v0, 10, 10
	v_mov_b32_e32 v2, 0
	v_and_b32_e32 v64, 0x3ff, v0
	s_load_b32 s18, s[0:1], 0x44
	s_mov_b32 s19, 0
	s_delay_alu instid0(VALU_DEP_2) | instskip(NEXT) | instid1(VALU_DEP_2)
	v_dual_mov_b32 v27, v2 :: v_dual_lshlrev_b32 v26, 3, v1
	v_dual_mov_b32 v19, v2 :: v_dual_add_nc_u32 v18, s3, v64
	v_mov_b32_e32 v65, 0
	s_mov_b32 s35, s19
	s_delay_alu instid0(VALU_DEP_3)
	v_add_nc_u64_e32 v[4:5], s[16:17], v[26:27]
	s_add_nc_u64 s[20:21], s[0:1], 64
	v_cmp_gt_i64_e64 s2, s[6:7], v[18:19]
	v_lshlrev_b64_e32 v[28:29], 2, v[18:19]
	s_mov_b64 s[22:23], 0xffffffffffffff81
	s_mov_b64 s[24:25], 0xffffffffffffff82
	;; [unrolled: 1-line block ×3, first 2 shown]
	v_mul_u64_e32 v[6:7], s[6:7], v[4:5]
	v_add_nc_u64_e32 v[8:9], 7, v[4:5]
	v_add_nc_u64_e32 v[10:11], 6, v[4:5]
	;; [unrolled: 1-line block ×6, first 2 shown]
	s_wait_kmcnt 0x0
	s_lshl_b32 s34, s18, 7
	v_mul_u64_e32 v[8:9], s[6:7], v[8:9]
	v_mul_u64_e32 v[10:11], s[6:7], v[10:11]
	;; [unrolled: 1-line block ×6, first 2 shown]
	s_mul_u64 s[42:43], s[6:7], s[34:35]
	s_mov_b64 s[28:29], 0xffffffffffffff84
	s_mov_b64 s[30:31], 0xffffffffffffff85
	;; [unrolled: 1-line block ×5, first 2 shown]
	s_lshl_b64 s[42:43], s[42:43], 2
	s_add_nc_u64 s[44:45], s[16:17], 0x7f
	s_mov_b64 s[46:47], s[16:17]
	v_lshlrev_b64_e32 v[20:21], 2, v[6:7]
	v_add_nc_u64_e32 v[6:7], s[6:7], v[6:7]
	s_delay_alu instid0(VALU_DEP_2)
	v_add_nc_u64_e32 v[30:31], s[8:9], v[20:21]
	v_lshlrev_b64_e32 v[8:9], 2, v[8:9]
	v_lshlrev_b64_e32 v[10:11], 2, v[10:11]
	;; [unrolled: 1-line block ×7, first 2 shown]
	v_add_nc_u64_e32 v[32:33], s[10:11], v[20:21]
	v_add_nc_u64_e32 v[34:35], s[8:9], v[8:9]
	;; [unrolled: 1-line block ×15, first 2 shown]
.LBB159_3:                              ; =>This Inner Loop Header: Depth=1
	v_cmp_ge_i64_e64 s18, s[44:45], s[4:5]
	v_add_nc_u64_e32 v[62:63], s[44:45], v[26:27]
                                        ; implicit-def: $vgpr3
                                        ; implicit-def: $vgpr10_vgpr11_vgpr12_vgpr13_vgpr14_vgpr15_vgpr16_vgpr17
                                        ; implicit-def: $vgpr18_vgpr19_vgpr20_vgpr21_vgpr22_vgpr23_vgpr24_vgpr25
                                        ; implicit-def: $vgpr4
	s_and_b32 vcc_lo, exec_lo, s18
	s_mov_b32 s18, -1
	s_cbranch_vccz .LBB159_25
; %bb.4:                                ;   in Loop: Header=BB159_3 Depth=1
	s_load_b32 s18, s[20:21], 0xc
	v_mov_b32_e32 v66, 0
	s_wait_kmcnt 0x0
	s_and_b32 s18, s18, 0xffff
	s_delay_alu instid0(SALU_CYCLE_1) | instskip(SKIP_1) | instid1(VALU_DEP_1)
	v_mad_u32_u24 v3, v1, s18, v64
	s_mov_b32 s18, exec_lo
	v_and_b32_e32 v4, 31, v3
	s_delay_alu instid0(VALU_DEP_1)
	v_cmpx_gt_u32_e32 8, v4
	s_cbranch_execz .LBB159_8
; %bb.5:                                ;   in Loop: Header=BB159_3 Depth=1
	v_dual_mov_b32 v5, v2 :: v_dual_mov_b32 v66, 0
	s_mov_b32 s33, exec_lo
	s_delay_alu instid0(VALU_DEP_1) | instskip(NEXT) | instid1(VALU_DEP_1)
	v_add_nc_u64_e32 v[4:5], v[62:63], v[4:5]
	v_add_nc_u64_e32 v[4:5], s[22:23], v[4:5]
	s_delay_alu instid0(VALU_DEP_1)
	v_cmpx_gt_i64_e64 s[4:5], v[4:5]
	s_cbranch_execz .LBB159_7
; %bb.6:                                ;   in Loop: Header=BB159_3 Depth=1
	v_lshl_add_u64 v[4:5], v[4:5], 2, s[14:15]
	global_load_b32 v66, v[4:5], off
.LBB159_7:                              ;   in Loop: Header=BB159_3 Depth=1
	s_wait_xcnt 0x0
	s_or_b32 exec_lo, exec_lo, s33
.LBB159_8:                              ;   in Loop: Header=BB159_3 Depth=1
	s_delay_alu instid0(SALU_CYCLE_1)
	s_or_b32 exec_lo, exec_lo, s18
	v_add_nc_u64_e32 v[10:11], s[22:23], v[62:63]
	v_dual_mov_b32 v7, v2 :: v_dual_mov_b32 v8, v2
	v_dual_mov_b32 v9, v2 :: v_dual_mov_b32 v3, v2
	;; [unrolled: 1-line block ×3, first 2 shown]
	v_mov_b32_e32 v6, v2
	v_cmp_gt_i64_e32 vcc_lo, s[4:5], v[10:11]
	s_delay_alu instid0(VALU_DEP_4)
	v_mov_b64_e32 v[16:17], v[8:9]
	v_mov_b64_e32 v[24:25], v[8:9]
	;; [unrolled: 1-line block ×8, first 2 shown]
	s_and_b32 s33, s2, vcc_lo
	s_delay_alu instid0(SALU_CYCLE_1)
	s_and_saveexec_b32 s18, s33
	s_cbranch_execz .LBB159_10
; %bb.9:                                ;   in Loop: Header=BB159_3 Depth=1
	v_add_nc_u64_e32 v[4:5], v[30:31], v[28:29]
	v_add_nc_u64_e32 v[6:7], v[32:33], v[28:29]
	v_dual_mov_b32 v19, v2 :: v_dual_mov_b32 v20, v2
	v_dual_mov_b32 v21, v2 :: v_dual_mov_b32 v22, v2
	;; [unrolled: 1-line block ×3, first 2 shown]
	global_load_b32 v18, v[4:5], off
	global_load_b32 v10, v[6:7], off
	v_dual_mov_b32 v25, v2 :: v_dual_mov_b32 v11, v2
	v_dual_mov_b32 v12, v2 :: v_dual_mov_b32 v13, v2
	;; [unrolled: 1-line block ×4, first 2 shown]
.LBB159_10:                             ;   in Loop: Header=BB159_3 Depth=1
	s_wait_xcnt 0x0
	s_or_b32 exec_lo, exec_lo, s18
	v_add_nc_u64_e32 v[4:5], s[24:25], v[62:63]
	s_delay_alu instid0(VALU_DEP_1) | instskip(SKIP_1) | instid1(SALU_CYCLE_1)
	v_cmp_gt_i64_e32 vcc_lo, s[4:5], v[4:5]
	s_and_b32 s33, s2, vcc_lo
	s_and_saveexec_b32 s18, s33
	s_cbranch_execz .LBB159_12
; %bb.11:                               ;   in Loop: Header=BB159_3 Depth=1
	v_add_nc_u64_e32 v[4:5], v[58:59], v[28:29]
	v_add_nc_u64_e32 v[6:7], v[60:61], v[28:29]
	global_load_b32 v19, v[4:5], off
	global_load_b32 v11, v[6:7], off
.LBB159_12:                             ;   in Loop: Header=BB159_3 Depth=1
	s_wait_xcnt 0x0
	s_or_b32 exec_lo, exec_lo, s18
	v_add_nc_u64_e32 v[4:5], s[26:27], v[62:63]
	s_delay_alu instid0(VALU_DEP_1) | instskip(SKIP_1) | instid1(SALU_CYCLE_1)
	v_cmp_gt_i64_e32 vcc_lo, s[4:5], v[4:5]
	s_and_b32 s33, s2, vcc_lo
	s_and_saveexec_b32 s18, s33
	s_cbranch_execz .LBB159_14
; %bb.13:                               ;   in Loop: Header=BB159_3 Depth=1
	v_add_nc_u64_e32 v[4:5], v[54:55], v[28:29]
	v_add_nc_u64_e32 v[6:7], v[56:57], v[28:29]
	global_load_b32 v20, v[4:5], off
	global_load_b32 v12, v[6:7], off
.LBB159_14:                             ;   in Loop: Header=BB159_3 Depth=1
	;; [unrolled: 14-line block ×7, first 2 shown]
	s_wait_xcnt 0x0
	s_or_b32 exec_lo, exec_lo, s18
	s_wait_loadcnt 0x0
	ds_bpermute_b32 v3, v2, v66
	ds_bpermute_b32 v4, v2, v66 offset:4
	ds_bpermute_b32 v5, v2, v66 offset:8
	;; [unrolled: 1-line block ×4, first 2 shown]
	v_pk_mul_f32 v[8:9], v[12:13], v[20:21]
	v_dual_mul_f32 v18, v10, v18 :: v_dual_mul_f32 v10, v11, v19
	v_pk_mul_f32 v[12:13], v[14:15], v[22:23]
	ds_bpermute_b32 v14, v2, v66 offset:20
	v_mov_b32_e32 v11, v8
	ds_bpermute_b32 v15, v2, v66 offset:24
	v_dual_mov_b32 v8, v9 :: v_dual_mov_b32 v9, v12
	s_mov_b32 s18, 0
	s_wait_dscnt 0x6
	v_fma_f32 v3, v18, v3, v65
	s_wait_dscnt 0x4
	v_pk_mul_f32 v[4:5], v[10:11], v[4:5]
	s_wait_dscnt 0x2
	v_pk_mul_f32 v[6:7], v[8:9], v[6:7]
	v_dual_mov_b32 v8, v13 :: v_dual_mul_f32 v9, v16, v24
	s_delay_alu instid0(VALU_DEP_3) | instskip(SKIP_2) | instid1(VALU_DEP_1)
	v_add_f32_e32 v3, v3, v4
	ds_bpermute_b32 v4, v2, v66 offset:28
	v_add_f32_e32 v3, v3, v5
	v_add_f32_e32 v3, v3, v6
	s_delay_alu instid0(VALU_DEP_1) | instskip(SKIP_2) | instid1(VALU_DEP_1)
	v_add_f32_e32 v3, v3, v7
	s_wait_dscnt 0x1
	v_pk_mul_f32 v[6:7], v[8:9], v[14:15]
	v_add_f32_e32 v3, v3, v6
	s_delay_alu instid0(VALU_DEP_1)
	v_add_f32_e32 v3, v3, v7
.LBB159_25:                             ;   in Loop: Header=BB159_3 Depth=1
	s_and_b32 vcc_lo, exec_lo, s18
	s_cbranch_vccz .LBB159_40
; %bb.26:                               ;   in Loop: Header=BB159_3 Depth=1
	s_load_b32 s18, s[20:21], 0x0
	v_mov_b32_e32 v66, 0
	s_wait_kmcnt 0x0
	s_cmp_lt_u32 s12, s18
	s_cselect_b32 s18, 12, 18
	s_delay_alu instid0(SALU_CYCLE_1)
	s_add_nc_u64 s[48:49], s[20:21], s[18:19]
	s_load_u16 s18, s[48:49], 0x0
	s_wait_kmcnt 0x0
	v_mad_u32_u24 v3, v1, s18, v64
	s_mov_b32 s18, exec_lo
	s_wait_dscnt 0x0
	s_delay_alu instid0(VALU_DEP_1) | instskip(NEXT) | instid1(VALU_DEP_1)
	v_and_b32_e32 v4, 31, v3
	v_cmpx_gt_u32_e32 8, v4
	s_cbranch_execz .LBB159_30
; %bb.27:                               ;   in Loop: Header=BB159_3 Depth=1
	v_dual_mov_b32 v5, v2 :: v_dual_mov_b32 v66, 0
	s_mov_b32 s33, exec_lo
	s_delay_alu instid0(VALU_DEP_1) | instskip(NEXT) | instid1(VALU_DEP_1)
	v_add_nc_u64_e32 v[4:5], v[62:63], v[4:5]
	v_add_nc_u64_e32 v[4:5], s[22:23], v[4:5]
	s_delay_alu instid0(VALU_DEP_1)
	v_cmpx_gt_i64_e64 s[4:5], v[4:5]
	s_cbranch_execz .LBB159_29
; %bb.28:                               ;   in Loop: Header=BB159_3 Depth=1
	v_lshl_add_u64 v[4:5], v[4:5], 2, s[14:15]
	global_load_b32 v66, v[4:5], off
.LBB159_29:                             ;   in Loop: Header=BB159_3 Depth=1
	s_wait_xcnt 0x0
	s_or_b32 exec_lo, exec_lo, s33
.LBB159_30:                             ;   in Loop: Header=BB159_3 Depth=1
	s_delay_alu instid0(SALU_CYCLE_1) | instskip(SKIP_4) | instid1(VALU_DEP_3)
	s_or_b32 exec_lo, exec_lo, s18
	v_dual_mov_b32 v7, v2 :: v_dual_mov_b32 v8, v2
	v_dual_mov_b32 v9, v2 :: v_dual_mov_b32 v3, v2
	;; [unrolled: 1-line block ×3, first 2 shown]
	v_mov_b32_e32 v6, v2
	v_mov_b64_e32 v[16:17], v[8:9]
	v_mov_b64_e32 v[24:25], v[8:9]
	;; [unrolled: 1-line block ×8, first 2 shown]
	s_and_saveexec_b32 s18, s2
	s_cbranch_execnz .LBB159_42
; %bb.31:                               ;   in Loop: Header=BB159_3 Depth=1
	s_or_b32 exec_lo, exec_lo, s18
	s_and_saveexec_b32 s18, s2
	s_cbranch_execnz .LBB159_43
.LBB159_32:                             ;   in Loop: Header=BB159_3 Depth=1
	s_or_b32 exec_lo, exec_lo, s18
	s_and_saveexec_b32 s18, s2
	s_cbranch_execnz .LBB159_44
.LBB159_33:                             ;   in Loop: Header=BB159_3 Depth=1
	s_or_b32 exec_lo, exec_lo, s18
	s_and_saveexec_b32 s18, s2
	s_cbranch_execnz .LBB159_45
.LBB159_34:                             ;   in Loop: Header=BB159_3 Depth=1
	s_or_b32 exec_lo, exec_lo, s18
	s_and_saveexec_b32 s18, s2
	s_cbranch_execnz .LBB159_46
.LBB159_35:                             ;   in Loop: Header=BB159_3 Depth=1
	s_or_b32 exec_lo, exec_lo, s18
	s_and_saveexec_b32 s18, s2
	s_cbranch_execnz .LBB159_47
.LBB159_36:                             ;   in Loop: Header=BB159_3 Depth=1
	s_or_b32 exec_lo, exec_lo, s18
	s_and_saveexec_b32 s18, s2
	s_cbranch_execnz .LBB159_48
.LBB159_37:                             ;   in Loop: Header=BB159_3 Depth=1
	s_or_b32 exec_lo, exec_lo, s18
	s_and_saveexec_b32 s18, s2
	s_cbranch_execz .LBB159_39
.LBB159_38:                             ;   in Loop: Header=BB159_3 Depth=1
	v_add_nc_u64_e32 v[4:5], v[34:35], v[28:29]
	v_add_nc_u64_e32 v[6:7], v[36:37], v[28:29]
	global_load_b32 v25, v[4:5], off
	global_load_b32 v17, v[6:7], off
.LBB159_39:                             ;   in Loop: Header=BB159_3 Depth=1
	s_wait_xcnt 0x0
	s_or_b32 exec_lo, exec_lo, s18
	s_wait_loadcnt 0x0
	ds_bpermute_b32 v3, v2, v66
	ds_bpermute_b32 v4, v2, v66 offset:4
	ds_bpermute_b32 v5, v2, v66 offset:8
	;; [unrolled: 1-line block ×4, first 2 shown]
	v_pk_mul_f32 v[8:9], v[12:13], v[20:21]
	v_dual_mul_f32 v18, v10, v18 :: v_dual_mul_f32 v10, v11, v19
	v_pk_mul_f32 v[12:13], v[14:15], v[22:23]
	ds_bpermute_b32 v14, v2, v66 offset:20
	v_mov_b32_e32 v11, v8
	ds_bpermute_b32 v15, v2, v66 offset:24
	v_dual_mov_b32 v8, v9 :: v_dual_mov_b32 v9, v12
	s_wait_dscnt 0x6
	v_fmac_f32_e32 v65, v18, v3
	s_wait_dscnt 0x4
	v_pk_mul_f32 v[4:5], v[10:11], v[4:5]
	s_wait_dscnt 0x2
	v_pk_mul_f32 v[6:7], v[8:9], v[6:7]
	v_dual_mul_f32 v9, v16, v24 :: v_dual_mov_b32 v8, v13
	s_delay_alu instid0(VALU_DEP_3) | instskip(SKIP_2) | instid1(VALU_DEP_1)
	v_add_f32_e32 v3, v65, v4
	ds_bpermute_b32 v4, v2, v66 offset:28
	v_add_f32_e32 v3, v3, v5
	v_add_f32_e32 v3, v3, v6
	s_delay_alu instid0(VALU_DEP_1) | instskip(SKIP_2) | instid1(VALU_DEP_1)
	v_add_f32_e32 v3, v3, v7
	s_wait_dscnt 0x1
	v_pk_mul_f32 v[6:7], v[8:9], v[14:15]
	v_add_f32_e32 v3, v3, v6
	s_delay_alu instid0(VALU_DEP_1)
	v_add_f32_e32 v3, v3, v7
.LBB159_40:                             ;   in Loop: Header=BB159_3 Depth=1
	s_add_nc_u64 s[46:47], s[46:47], s[34:35]
	v_mul_f32_e32 v5, v25, v17
	v_cmp_lt_i64_e64 s18, s[46:47], s[4:5]
	v_add_nc_u64_e32 v[30:31], s[42:43], v[30:31]
	v_add_nc_u64_e32 v[32:33], s[42:43], v[32:33]
	;; [unrolled: 1-line block ×16, first 2 shown]
	s_wait_dscnt 0x0
	v_fmac_f32_e32 v3, v5, v4
	s_and_b32 vcc_lo, exec_lo, s18
	s_add_nc_u64 s[44:45], s[44:45], s[34:35]
	s_cbranch_vccz .LBB159_50
; %bb.41:                               ;   in Loop: Header=BB159_3 Depth=1
	s_delay_alu instid0(VALU_DEP_1)
	v_mov_b32_e32 v65, v3
	s_branch .LBB159_3
.LBB159_42:                             ;   in Loop: Header=BB159_3 Depth=1
	v_add_nc_u64_e32 v[4:5], v[30:31], v[28:29]
	v_add_nc_u64_e32 v[6:7], v[32:33], v[28:29]
	v_dual_mov_b32 v19, v2 :: v_dual_mov_b32 v20, v2
	v_dual_mov_b32 v21, v2 :: v_dual_mov_b32 v22, v2
	;; [unrolled: 1-line block ×3, first 2 shown]
	global_load_b32 v18, v[4:5], off
	global_load_b32 v10, v[6:7], off
	v_dual_mov_b32 v25, v2 :: v_dual_mov_b32 v11, v2
	v_dual_mov_b32 v12, v2 :: v_dual_mov_b32 v13, v2
	;; [unrolled: 1-line block ×4, first 2 shown]
	s_wait_xcnt 0x0
	s_or_b32 exec_lo, exec_lo, s18
	s_and_saveexec_b32 s18, s2
	s_cbranch_execz .LBB159_32
.LBB159_43:                             ;   in Loop: Header=BB159_3 Depth=1
	v_add_nc_u64_e32 v[4:5], v[58:59], v[28:29]
	v_add_nc_u64_e32 v[6:7], v[60:61], v[28:29]
	global_load_b32 v19, v[4:5], off
	global_load_b32 v11, v[6:7], off
	s_wait_xcnt 0x0
	s_or_b32 exec_lo, exec_lo, s18
	s_and_saveexec_b32 s18, s2
	s_cbranch_execz .LBB159_33
.LBB159_44:                             ;   in Loop: Header=BB159_3 Depth=1
	v_add_nc_u64_e32 v[4:5], v[54:55], v[28:29]
	v_add_nc_u64_e32 v[6:7], v[56:57], v[28:29]
	global_load_b32 v20, v[4:5], off
	global_load_b32 v12, v[6:7], off
	s_wait_xcnt 0x0
	s_or_b32 exec_lo, exec_lo, s18
	s_and_saveexec_b32 s18, s2
	s_cbranch_execz .LBB159_34
.LBB159_45:                             ;   in Loop: Header=BB159_3 Depth=1
	v_add_nc_u64_e32 v[4:5], v[50:51], v[28:29]
	v_add_nc_u64_e32 v[6:7], v[52:53], v[28:29]
	global_load_b32 v21, v[4:5], off
	global_load_b32 v13, v[6:7], off
	s_wait_xcnt 0x0
	s_or_b32 exec_lo, exec_lo, s18
	s_and_saveexec_b32 s18, s2
	s_cbranch_execz .LBB159_35
.LBB159_46:                             ;   in Loop: Header=BB159_3 Depth=1
	v_add_nc_u64_e32 v[4:5], v[46:47], v[28:29]
	v_add_nc_u64_e32 v[6:7], v[48:49], v[28:29]
	global_load_b32 v22, v[4:5], off
	global_load_b32 v14, v[6:7], off
	s_wait_xcnt 0x0
	s_or_b32 exec_lo, exec_lo, s18
	s_and_saveexec_b32 s18, s2
	s_cbranch_execz .LBB159_36
.LBB159_47:                             ;   in Loop: Header=BB159_3 Depth=1
	v_add_nc_u64_e32 v[4:5], v[42:43], v[28:29]
	v_add_nc_u64_e32 v[6:7], v[44:45], v[28:29]
	global_load_b32 v23, v[4:5], off
	global_load_b32 v15, v[6:7], off
	s_wait_xcnt 0x0
	s_or_b32 exec_lo, exec_lo, s18
	s_and_saveexec_b32 s18, s2
	s_cbranch_execz .LBB159_37
.LBB159_48:                             ;   in Loop: Header=BB159_3 Depth=1
	v_add_nc_u64_e32 v[4:5], v[38:39], v[28:29]
	v_add_nc_u64_e32 v[6:7], v[40:41], v[28:29]
	global_load_b32 v24, v[4:5], off
	global_load_b32 v16, v[6:7], off
	s_wait_xcnt 0x0
	s_or_b32 exec_lo, exec_lo, s18
	s_and_saveexec_b32 s18, s2
	s_cbranch_execnz .LBB159_38
	s_branch .LBB159_39
.LBB159_49:
                                        ; implicit-def: $vgpr3
	s_branch .LBB159_51
.LBB159_50:
	s_cbranch_execnz .LBB159_83
.LBB159_51:
	v_mov_b32_e32 v3, 0
	s_and_not1_b32 vcc_lo, exec_lo, s13
	s_cbranch_vccnz .LBB159_83
; %bb.52:
	v_bfe_u32 v1, v0, 10, 10
	v_mov_b32_e32 v2, 0
	v_and_b32_e32 v92, 0x3ff, v0
	s_load_b32 s2, s[0:1], 0x44
	s_mov_b64 s[20:21], 0xffffffffffffff83
	s_delay_alu instid0(VALU_DEP_2) | instskip(SKIP_3) | instid1(VALU_DEP_2)
	v_dual_mov_b32 v5, v2 :: v_dual_lshlrev_b32 v4, 5, v1
	v_dual_mov_b32 v27, v2 :: v_dual_lshlrev_b32 v26, 3, v1
	s_mov_b64 s[22:23], 0xffffffffffffff84
	s_mov_b64 s[24:25], 0xffffffffffffff85
	v_lshl_add_u64 v[4:5], s[16:17], 2, v[4:5]
	s_mov_b64 s[26:27], 0xffffffffffffff86
	s_mov_b64 s[28:29], 0xffffffffffffff87
	;; [unrolled: 1-line block ×3, first 2 shown]
	s_add_nc_u64 s[34:35], s[0:1], 64
	v_add_nc_u64_e32 v[10:11], 8, v[4:5]
	v_add_nc_u64_e32 v[12:13], 12, v[4:5]
	;; [unrolled: 1-line block ×7, first 2 shown]
	v_mad_nc_u64_u32 v[30:31], s6, v10, s[8:9]
	v_mul_lo_u32 v25, s6, v11
	v_mul_lo_u32 v52, s7, v10
	v_mad_nc_u64_u32 v[32:33], s6, v12, s[8:9]
	v_mul_lo_u32 v53, s6, v13
	v_mul_lo_u32 v54, s7, v12
	v_mad_nc_u64_u32 v[34:35], s6, v14, s[8:9]
	v_mul_lo_u32 v55, s6, v15
	v_mul_lo_u32 v56, s7, v14
	v_mad_nc_u64_u32 v[40:41], s6, v10, s[10:11]
	v_mad_nc_u64_u32 v[42:43], s6, v12, s[10:11]
	;; [unrolled: 1-line block ×4, first 2 shown]
	v_add3_u32 v31, v52, v31, v25
	v_mul_lo_u32 v58, s7, v18
	v_mad_nc_u64_u32 v[50:51], s6, v18, s[10:11]
	v_add3_u32 v33, v54, v33, v53
	v_mul_lo_u32 v18, s7, v4
	v_mad_nc_u64_u32 v[28:29], s6, v6, s[8:9]
	v_add3_u32 v35, v56, v35, v55
	v_add3_u32 v41, v52, v41, v25
	;; [unrolled: 1-line block ×3, first 2 shown]
	v_mad_nc_u64_u32 v[52:53], s6, v4, s[8:9]
	v_add3_u32 v47, v56, v47, v55
	v_mad_nc_u64_u32 v[54:55], s6, v4, s[10:11]
	v_add_nc_u32_e32 v4, s3, v92
	v_add_nc_u64_e32 v[8:9], s[16:17], v[26:27]
	v_mul_lo_u32 v3, s6, v7
	v_mul_lo_u32 v24, s7, v6
	v_mad_nc_u64_u32 v[38:39], s6, v6, s[10:11]
	v_mad_nc_u64_u32 v[36:37], s6, v16, s[8:9]
	v_mul_lo_u32 v17, s6, v17
	v_mul_lo_u32 v57, s7, v16
	v_add_nc_u64_e32 v[6:7], 7, v[8:9]
	v_add_nc_u64_e32 v[10:11], 6, v[8:9]
	;; [unrolled: 1-line block ×3, first 2 shown]
	v_mul_u64_e32 v[20:21], s[6:7], v[8:9]
	v_add_nc_u64_e32 v[22:23], 4, v[8:9]
	v_add_nc_u64_e32 v[14:15], 3, v[8:9]
	;; [unrolled: 1-line block ×3, first 2 shown]
	v_mul_u64_e32 v[6:7], s[6:7], v[6:7]
	v_mul_u64_e32 v[10:11], s[6:7], v[10:11]
	v_mul_u64_e32 v[12:13], s[6:7], v[12:13]
	v_mad_nc_u64_u32 v[48:49], s6, v16, s[10:11]
	v_mul_u64_e32 v[22:23], s[6:7], v[22:23]
	v_mul_u64_e32 v[14:15], s[6:7], v[14:15]
	;; [unrolled: 1-line block ×3, first 2 shown]
	v_add3_u32 v29, v24, v29, v3
	v_add3_u32 v39, v24, v39, v3
	v_mul_lo_u32 v3, s6, v5
	v_dual_mov_b32 v5, v2 :: v_dual_mov_b32 v93, 0
	v_add3_u32 v37, v57, v37, v17
	v_mul_lo_u32 v19, s6, v19
	v_add3_u32 v49, v57, v49, v17
	s_delay_alu instid0(VALU_DEP_4)
	v_lshlrev_b64_e32 v[56:57], 2, v[4:5]
	s_mov_b32 s3, 0
	s_wait_kmcnt 0x0
	s_lshl_b32 s18, s2, 7
	s_mov_b32 s19, s3
	s_add_nc_u64 s[38:39], s[16:17], 0x7f
	v_add3_u32 v53, v18, v53, v3
	v_add3_u32 v55, v18, v55, v3
	s_mul_u64 s[36:37], s[6:7], s[18:19]
	v_add3_u32 v45, v58, v45, v19
	v_add3_u32 v51, v58, v51, v19
	s_lshl_b64 s[36:37], s[36:37], 2
	v_lshlrev_b64_e32 v[16:17], 2, v[20:21]
	v_lshlrev_b64_e32 v[6:7], 2, v[6:7]
	;; [unrolled: 1-line block ×3, first 2 shown]
	s_delay_alu instid0(VALU_DEP_3)
	v_add_nc_u64_e32 v[58:59], s[8:9], v[16:17]
	v_lshlrev_b64_e32 v[10:11], 2, v[22:23]
	v_add_nc_u64_e32 v[60:61], s[10:11], v[16:17]
	v_lshlrev_b64_e32 v[8:9], 2, v[8:9]
	v_add_nc_u64_e32 v[62:63], s[8:9], v[6:7]
	v_add_nc_u64_e32 v[64:65], s[10:11], v[6:7]
	v_lshlrev_b64_e32 v[6:7], 2, v[12:13]
	v_add_nc_u64_e32 v[12:13], s[6:7], v[20:21]
	v_add_nc_u64_e32 v[66:67], s[8:9], v[4:5]
	;; [unrolled: 1-line block ×3, first 2 shown]
	v_lshlrev_b64_e32 v[4:5], 2, v[14:15]
	v_add_nc_u64_e32 v[74:75], s[8:9], v[10:11]
	v_add_nc_u64_e32 v[76:77], s[10:11], v[10:11]
	;; [unrolled: 1-line block ×4, first 2 shown]
	v_lshlrev_b64_e32 v[6:7], 2, v[12:13]
	v_add_nc_u64_e32 v[82:83], s[8:9], v[8:9]
	v_add_nc_u64_e32 v[78:79], s[8:9], v[4:5]
	;; [unrolled: 1-line block ×6, first 2 shown]
	s_mov_b64 s[8:9], 0xffffffffffffff81
	s_mov_b64 s[10:11], 0xffffffffffffff82
.LBB159_53:                             ; =>This Inner Loop Header: Depth=1
	v_cmp_ge_i64_e64 s2, s[38:39], s[4:5]
	v_add_nc_u64_e32 v[90:91], s[38:39], v[26:27]
                                        ; implicit-def: $vgpr3
	s_and_b32 vcc_lo, exec_lo, s2
	s_mov_b32 s2, -1
	s_cbranch_vccz .LBB159_75
; %bb.54:                               ;   in Loop: Header=BB159_53 Depth=1
	s_load_b32 s2, s[34:35], 0xc
	v_mov_b32_e32 v94, 0
	s_wait_kmcnt 0x0
	s_and_b32 s2, s2, 0xffff
	s_delay_alu instid0(SALU_CYCLE_1) | instskip(SKIP_1) | instid1(VALU_DEP_1)
	v_mad_u32_u24 v3, v1, s2, v92
	s_mov_b32 s2, exec_lo
	v_and_b32_e32 v4, 31, v3
	s_delay_alu instid0(VALU_DEP_1)
	v_cmpx_gt_u32_e32 8, v4
	s_cbranch_execz .LBB159_58
; %bb.55:                               ;   in Loop: Header=BB159_53 Depth=1
	v_dual_mov_b32 v5, v2 :: v_dual_mov_b32 v94, 0
	s_mov_b32 s13, exec_lo
	s_delay_alu instid0(VALU_DEP_1) | instskip(NEXT) | instid1(VALU_DEP_1)
	v_add_nc_u64_e32 v[4:5], v[90:91], v[4:5]
	v_add_nc_u64_e32 v[4:5], s[8:9], v[4:5]
	s_delay_alu instid0(VALU_DEP_1)
	v_cmpx_gt_i64_e64 s[4:5], v[4:5]
	s_cbranch_execz .LBB159_57
; %bb.56:                               ;   in Loop: Header=BB159_53 Depth=1
	v_lshl_add_u64 v[4:5], v[4:5], 2, s[14:15]
	global_load_b32 v94, v[4:5], off
.LBB159_57:                             ;   in Loop: Header=BB159_53 Depth=1
	s_wait_xcnt 0x0
	s_or_b32 exec_lo, exec_lo, s13
.LBB159_58:                             ;   in Loop: Header=BB159_53 Depth=1
	s_delay_alu instid0(SALU_CYCLE_1)
	s_or_b32 exec_lo, exec_lo, s2
	v_add_nc_u64_e32 v[10:11], s[8:9], v[90:91]
	v_dual_mov_b32 v7, v2 :: v_dual_mov_b32 v8, v2
	v_dual_mov_b32 v9, v2 :: v_dual_mov_b32 v3, v2
	;; [unrolled: 1-line block ×3, first 2 shown]
	v_mov_b32_e32 v6, v2
	v_cmp_gt_i64_e32 vcc_lo, s[4:5], v[10:11]
	s_delay_alu instid0(VALU_DEP_4)
	v_mov_b64_e32 v[16:17], v[8:9]
	v_mov_b64_e32 v[24:25], v[8:9]
	;; [unrolled: 1-line block ×8, first 2 shown]
	s_and_saveexec_b32 s2, vcc_lo
	s_cbranch_execz .LBB159_60
; %bb.59:                               ;   in Loop: Header=BB159_53 Depth=1
	v_add_nc_u64_e32 v[4:5], v[58:59], v[56:57]
	v_add_nc_u64_e32 v[6:7], v[60:61], v[56:57]
	v_dual_mov_b32 v19, v2 :: v_dual_mov_b32 v20, v2
	v_dual_mov_b32 v21, v2 :: v_dual_mov_b32 v22, v2
	v_dual_mov_b32 v23, v2 :: v_dual_mov_b32 v24, v2
	global_load_b32 v18, v[4:5], off
	global_load_b32 v10, v[6:7], off
	v_dual_mov_b32 v25, v2 :: v_dual_mov_b32 v11, v2
	v_dual_mov_b32 v12, v2 :: v_dual_mov_b32 v13, v2
	;; [unrolled: 1-line block ×4, first 2 shown]
.LBB159_60:                             ;   in Loop: Header=BB159_53 Depth=1
	s_wait_xcnt 0x0
	s_or_b32 exec_lo, exec_lo, s2
	v_add_nc_u64_e32 v[4:5], s[10:11], v[90:91]
	s_mov_b32 s2, exec_lo
	s_delay_alu instid0(VALU_DEP_1)
	v_cmpx_gt_i64_e64 s[4:5], v[4:5]
	s_cbranch_execz .LBB159_62
; %bb.61:                               ;   in Loop: Header=BB159_53 Depth=1
	v_add_nc_u64_e32 v[4:5], v[86:87], v[56:57]
	v_add_nc_u64_e32 v[6:7], v[88:89], v[56:57]
	global_load_b32 v19, v[4:5], off
	global_load_b32 v11, v[6:7], off
.LBB159_62:                             ;   in Loop: Header=BB159_53 Depth=1
	s_wait_xcnt 0x0
	s_or_b32 exec_lo, exec_lo, s2
	v_add_nc_u64_e32 v[4:5], s[20:21], v[90:91]
	s_mov_b32 s2, exec_lo
	s_delay_alu instid0(VALU_DEP_1)
	v_cmpx_gt_i64_e64 s[4:5], v[4:5]
	s_cbranch_execz .LBB159_64
; %bb.63:                               ;   in Loop: Header=BB159_53 Depth=1
	v_add_nc_u64_e32 v[4:5], v[82:83], v[56:57]
	v_add_nc_u64_e32 v[6:7], v[84:85], v[56:57]
	global_load_b32 v20, v[4:5], off
	global_load_b32 v12, v[6:7], off
.LBB159_64:                             ;   in Loop: Header=BB159_53 Depth=1
	;; [unrolled: 13-line block ×7, first 2 shown]
	s_wait_xcnt 0x0
	s_or_b32 exec_lo, exec_lo, s2
	s_wait_loadcnt 0x0
	ds_bpermute_b32 v4, v2, v94
	ds_bpermute_b32 v5, v2, v94 offset:4
	ds_bpermute_b32 v6, v2, v94 offset:8
	;; [unrolled: 1-line block ×3, first 2 shown]
	v_pk_mul_f32 v[8:9], v[10:11], v[18:19]
	ds_bpermute_b32 v10, v2, v94 offset:16
	ds_bpermute_b32 v11, v2, v94 offset:20
	s_mov_b32 s2, 0
	s_wait_dscnt 0x4
	v_pk_mul_f32 v[4:5], v[8:9], v[4:5]
	v_pk_mul_f32 v[8:9], v[12:13], v[20:21]
	s_delay_alu instid0(VALU_DEP_2)
	v_add_f32_e32 v3, v93, v4
	ds_bpermute_b32 v4, v2, v94 offset:24
	s_wait_dscnt 0x3
	v_pk_mul_f32 v[6:7], v[8:9], v[6:7]
	v_pk_mul_f32 v[8:9], v[14:15], v[22:23]
	v_add_f32_e32 v3, v3, v5
	ds_bpermute_b32 v5, v2, v94 offset:28
	s_wait_dscnt 0x2
	v_pk_mul_f32 v[8:9], v[8:9], v[10:11]
	v_add_f32_e32 v3, v3, v6
	s_delay_alu instid0(VALU_DEP_1) | instskip(SKIP_1) | instid1(VALU_DEP_2)
	v_add_f32_e32 v3, v3, v7
	v_pk_mul_f32 v[6:7], v[16:17], v[24:25]
	v_add_f32_e32 v3, v3, v8
	s_delay_alu instid0(VALU_DEP_1) | instskip(SKIP_1) | instid1(VALU_DEP_3)
	v_add_f32_e32 v3, v3, v9
	s_wait_dscnt 0x0
	v_pk_mul_f32 v[4:5], v[6:7], v[4:5]
	s_delay_alu instid0(VALU_DEP_1) | instskip(NEXT) | instid1(VALU_DEP_1)
	v_add_f32_e32 v3, v3, v4
	v_add_f32_e32 v3, v3, v5
.LBB159_75:                             ;   in Loop: Header=BB159_53 Depth=1
	s_and_b32 vcc_lo, exec_lo, s2
	s_cbranch_vccz .LBB159_81
; %bb.76:                               ;   in Loop: Header=BB159_53 Depth=1
	s_load_b32 s2, s[34:35], 0x0
	s_wait_kmcnt 0x0
	s_cmp_lt_u32 s12, s2
	s_cselect_b32 s2, 12, 18
	s_delay_alu instid0(SALU_CYCLE_1) | instskip(SKIP_4) | instid1(VALU_DEP_1)
	s_add_nc_u64 s[40:41], s[34:35], s[2:3]
	s_load_u16 s2, s[40:41], 0x0
	s_wait_kmcnt 0x0
	v_mad_u32_u24 v3, v1, s2, v92
	s_mov_b32 s2, exec_lo
	v_dual_mov_b32 v3, 0 :: v_dual_bitop2_b32 v4, 31, v3 bitop3:0x40
	s_delay_alu instid0(VALU_DEP_1)
	v_cmpx_gt_u32_e32 8, v4
	s_cbranch_execz .LBB159_80
; %bb.77:                               ;   in Loop: Header=BB159_53 Depth=1
	v_dual_mov_b32 v5, v2 :: v_dual_mov_b32 v3, 0
	s_mov_b32 s13, exec_lo
	s_delay_alu instid0(VALU_DEP_1) | instskip(NEXT) | instid1(VALU_DEP_1)
	v_add_nc_u64_e32 v[4:5], v[90:91], v[4:5]
	v_add_nc_u64_e32 v[4:5], s[8:9], v[4:5]
	s_delay_alu instid0(VALU_DEP_1)
	v_cmpx_gt_i64_e64 s[4:5], v[4:5]
	s_cbranch_execz .LBB159_79
; %bb.78:                               ;   in Loop: Header=BB159_53 Depth=1
	v_lshl_add_u64 v[4:5], v[4:5], 2, s[14:15]
	global_load_b32 v3, v[4:5], off
.LBB159_79:                             ;   in Loop: Header=BB159_53 Depth=1
	s_wait_xcnt 0x0
	s_or_b32 exec_lo, exec_lo, s13
.LBB159_80:                             ;   in Loop: Header=BB159_53 Depth=1
	s_delay_alu instid0(SALU_CYCLE_1)
	s_or_b32 exec_lo, exec_lo, s2
	v_add_nc_u64_e32 v[4:5], v[58:59], v[56:57]
	v_add_nc_u64_e32 v[6:7], v[60:61], v[56:57]
	;; [unrolled: 1-line block ×5, first 2 shown]
	global_load_b32 v12, v[4:5], off
	global_load_b32 v14, v[6:7], off
	;; [unrolled: 1-line block ×4, first 2 shown]
	s_wait_xcnt 0x3
	v_add_nc_u64_e32 v[4:5], v[30:31], v[56:57]
	s_wait_xcnt 0x2
	v_add_nc_u64_e32 v[6:7], v[40:41], v[56:57]
	;; [unrolled: 2-line block ×4, first 2 shown]
	global_load_b32 v18, v[4:5], off
	global_load_b32 v20, v[6:7], off
	;; [unrolled: 1-line block ×4, first 2 shown]
	s_wait_xcnt 0x3
	v_add_nc_u64_e32 v[4:5], v[46:47], v[56:57]
	s_wait_xcnt 0x2
	v_add_nc_u64_e32 v[6:7], v[36:37], v[56:57]
	;; [unrolled: 2-line block ×3, first 2 shown]
	global_load_b32 v10, v[16:17], off
	global_load_b32 v22, v[4:5], off
	;; [unrolled: 1-line block ×4, first 2 shown]
	s_wait_xcnt 0x2
	v_add_nc_u64_e32 v[4:5], v[44:45], v[56:57]
	s_wait_xcnt 0x1
	v_add_nc_u64_e32 v[6:7], v[50:51], v[56:57]
	;; [unrolled: 2-line block ×3, first 2 shown]
	v_add_nc_u64_e32 v[16:17], v[54:55], v[56:57]
	global_load_b32 v24, v[4:5], off
	global_load_b32 v90, v[6:7], off
	;; [unrolled: 1-line block ×4, first 2 shown]
	s_wait_loadcnt 0x10
	s_wait_xcnt 0x3
	ds_bpermute_b32 v4, v2, v3
	ds_bpermute_b32 v5, v2, v3 offset:4
	s_wait_xcnt 0x2
	ds_bpermute_b32 v6, v2, v3 offset:8
	ds_bpermute_b32 v7, v2, v3 offset:12
	s_wait_loadcnt 0xc
	s_wait_xcnt 0x1
	v_pk_mul_f32 v[8:9], v[12:13], v[14:15]
	ds_bpermute_b32 v12, v2, v3 offset:16
	ds_bpermute_b32 v13, v2, v3 offset:20
	s_wait_dscnt 0x4
	v_pk_mul_f32 v[4:5], v[8:9], v[4:5]
	s_wait_loadcnt 0x8
	v_pk_mul_f32 v[8:9], v[18:19], v[20:21]
	s_wait_dscnt 0x2
	s_delay_alu instid0(VALU_DEP_1)
	v_pk_mul_f32 v[6:7], v[8:9], v[6:7]
	v_add_f32_e32 v14, v93, v4
	s_wait_loadcnt 0x4
	v_pk_mul_f32 v[8:9], v[10:11], v[22:23]
	ds_bpermute_b32 v4, v2, v3 offset:24
	s_wait_dscnt 0x1
	v_pk_mul_f32 v[8:9], v[8:9], v[12:13]
	v_add_f32_e32 v14, v14, v5
	ds_bpermute_b32 v5, v2, v3 offset:28
	v_add_f32_e32 v3, v14, v6
	s_delay_alu instid0(VALU_DEP_1) | instskip(SKIP_2) | instid1(VALU_DEP_2)
	v_add_f32_e32 v3, v3, v7
	s_wait_loadcnt 0x0
	v_pk_mul_f32 v[6:7], v[24:25], v[90:91]
	v_add_f32_e32 v3, v3, v8
	s_delay_alu instid0(VALU_DEP_1) | instskip(SKIP_1) | instid1(VALU_DEP_3)
	v_add_f32_e32 v3, v3, v9
	s_wait_dscnt 0x0
	v_pk_mul_f32 v[4:5], v[6:7], v[4:5]
	s_delay_alu instid0(VALU_DEP_1) | instskip(NEXT) | instid1(VALU_DEP_1)
	v_add_f32_e32 v3, v3, v4
	v_add_f32_e32 v3, v3, v5
.LBB159_81:                             ;   in Loop: Header=BB159_53 Depth=1
	s_add_nc_u64 s[16:17], s[16:17], s[18:19]
	v_add_nc_u64_e32 v[58:59], s[36:37], v[58:59]
	v_cmp_ge_i64_e64 s2, s[16:17], s[4:5]
	v_add_nc_u64_e32 v[60:61], s[36:37], v[60:61]
	v_add_nc_u64_e32 v[28:29], s[36:37], v[28:29]
	;; [unrolled: 1-line block ×29, first 2 shown]
	s_and_b32 vcc_lo, exec_lo, s2
	s_add_nc_u64 s[38:39], s[38:39], s[18:19]
	s_cbranch_vccnz .LBB159_83
; %bb.82:                               ;   in Loop: Header=BB159_53 Depth=1
	v_mov_b32_e32 v93, v3
	s_branch .LBB159_53
.LBB159_83:
	v_and_b32_e32 v1, 0x3ff, v0
	v_bfe_u32 v2, v0, 10, 10
	v_bfe_u32 v0, v0, 5, 5
	s_mov_b32 s2, exec_lo
	s_delay_alu instid0(VALU_DEP_2) | instskip(NEXT) | instid1(VALU_DEP_2)
	v_mad_u32_u24 v4, v2, 33, v1
	v_add_nc_u32_e32 v0, v0, v2
	s_delay_alu instid0(VALU_DEP_2)
	v_lshl_add_u32 v2, v4, 2, 0
	v_mov_b32_e32 v4, 0
	ds_store_b32 v2, v3
	ds_store_b32 v2, v4 offset:2112
	s_wait_dscnt 0x0
	s_barrier_signal -1
	s_barrier_wait -1
	v_cmpx_gt_u32_e32 32, v0
	s_cbranch_execz .LBB159_93
; %bb.84:
	s_load_b64 s[2:3], s[0:1], 0x30
	v_and_b32_e32 v2, 31, v1
	s_delay_alu instid0(VALU_DEP_1)
	v_cmp_gt_u32_e32 vcc_lo, 16, v2
	v_mul_u32_u24_e32 v4, 33, v2
                                        ; implicit-def: $vgpr2
	s_wait_xcnt 0x0
	s_and_saveexec_b32 s0, vcc_lo
	s_cbranch_execz .LBB159_86
; %bb.85:
	v_lshlrev_b32_e32 v2, 2, v0
	v_lshlrev_b32_e32 v3, 2, v4
	s_delay_alu instid0(VALU_DEP_1)
	v_add3_u32 v2, 0, v2, v3
	ds_load_b32 v2, v2
.LBB159_86:
	s_or_b32 exec_lo, exec_lo, s0
	v_mbcnt_lo_u32_b32 v3, -1, 0
	s_mov_b32 s13, 0
	s_delay_alu instid0(SALU_CYCLE_1)
	s_lshl_b64 s[4:5], s[12:13], 5
	s_wait_kmcnt 0x0
	s_cmp_eq_u64 s[2:3], 0
	v_xor_b32_e32 v6, 4, v3
	v_xor_b32_e32 v5, 8, v3
	v_xor_b32_e32 v9, 1, v3
	s_cselect_b32 s8, -1, 0
	s_delay_alu instid0(VALU_DEP_2) | instskip(NEXT) | instid1(VALU_DEP_1)
	v_cmp_gt_i32_e64 s0, 32, v5
	v_cndmask_b32_e64 v5, v3, v5, s0
	v_cmp_gt_i32_e64 s0, 32, v6
	s_delay_alu instid0(VALU_DEP_1) | instskip(NEXT) | instid1(VALU_DEP_1)
	v_cndmask_b32_e64 v6, v3, v6, s0
	v_dual_lshlrev_b32 v6, 2, v6 :: v_dual_lshlrev_b32 v5, 2, v5
	s_wait_dscnt 0x0
	ds_bpermute_b32 v7, v5, v2
	s_wait_dscnt 0x0
	v_add_f32_e32 v2, v2, v7
	v_xor_b32_e32 v7, 2, v3
	ds_bpermute_b32 v8, v6, v2
	v_cmp_gt_i32_e64 s0, 32, v7
	s_wait_dscnt 0x0
	s_delay_alu instid0(VALU_DEP_1) | instskip(SKIP_1) | instid1(VALU_DEP_1)
	v_dual_add_f32 v2, v2, v8 :: v_dual_cndmask_b32 v7, v3, v7, s0
	v_cmp_gt_i32_e64 s0, 32, v9
	v_dual_lshlrev_b32 v7, 2, v7 :: v_dual_cndmask_b32 v3, v3, v9, s0
	v_cmp_ne_u32_e64 s0, 0, v1
	ds_bpermute_b32 v8, v7, v2
	s_wait_dscnt 0x0
	v_dual_add_f32 v9, v2, v8 :: v_dual_lshlrev_b32 v8, 2, v3
	v_or_b32_e32 v2, s4, v0
	ds_bpermute_b32 v10, v8, v9
	s_wait_dscnt 0x0
	v_dual_mov_b32 v3, s5 :: v_dual_add_f32 v1, v9, v10
	s_delay_alu instid0(VALU_DEP_1) | instskip(SKIP_1) | instid1(SALU_CYCLE_1)
	v_cmp_le_i64_e64 s1, s[6:7], v[2:3]
	s_or_b32 s1, s0, s1
	s_nor_b32 s9, s8, s1
	s_delay_alu instid0(SALU_CYCLE_1)
	s_and_saveexec_b32 s1, s9
	s_cbranch_execz .LBB159_88
; %bb.87:
	v_lshl_add_u64 v[2:3], v[2:3], 2, s[2:3]
	global_store_b32 v[2:3], v1, off
.LBB159_88:
	s_wait_xcnt 0x0
	s_or_b32 exec_lo, exec_lo, s1
	v_cmp_gt_u32_e64 s1, 16, v0
	s_and_b32 exec_lo, exec_lo, s1
	s_cbranch_execz .LBB159_93
; %bb.89:
	s_and_saveexec_b32 s1, vcc_lo
	s_cbranch_execz .LBB159_91
; %bb.90:
	v_lshlrev_b32_e32 v1, 2, v0
	v_lshlrev_b32_e32 v2, 2, v4
	s_delay_alu instid0(VALU_DEP_1)
	v_add3_u32 v1, 0, v1, v2
	ds_load_b32 v1, v1 offset:64
.LBB159_91:
	s_or_b32 exec_lo, exec_lo, s1
	s_wait_dscnt 0x0
	ds_bpermute_b32 v2, v5, v1
	s_wait_dscnt 0x0
	v_dual_mov_b32 v5, s5 :: v_dual_add_f32 v1, v1, v2
	ds_bpermute_b32 v2, v6, v1
	s_wait_dscnt 0x0
	v_add_f32_e32 v1, v1, v2
	ds_bpermute_b32 v2, v7, v1
	s_wait_dscnt 0x0
	v_dual_add_f32 v2, v1, v2 :: v_dual_add_nc_u32 v1, 16, v0
	ds_bpermute_b32 v3, v8, v2
	v_or_b32_e32 v4, s4, v1
	s_delay_alu instid0(VALU_DEP_1) | instskip(SKIP_1) | instid1(SALU_CYCLE_1)
	v_cmp_le_i64_e32 vcc_lo, s[6:7], v[4:5]
	s_or_b32 s0, s0, vcc_lo
	s_nor_b32 s0, s8, s0
	s_delay_alu instid0(SALU_CYCLE_1) | instskip(NEXT) | instid1(SALU_CYCLE_1)
	s_and_saveexec_b32 s1, s0
	s_xor_b32 s1, exec_lo, s1
	s_cbranch_execz .LBB159_93
; %bb.92:
	s_wait_dscnt 0x0
	v_dual_mov_b32 v1, 0 :: v_dual_add_f32 v2, v2, v3
	s_delay_alu instid0(VALU_DEP_1) | instskip(NEXT) | instid1(VALU_DEP_1)
	v_add_nc_u64_e32 v[0:1], s[4:5], v[0:1]
	v_lshl_add_u64 v[0:1], v[0:1], 2, s[2:3]
	global_store_b32 v[0:1], v2, off offset:64
.LBB159_93:
	s_sendmsg sendmsg(MSG_DEALLOC_VGPRS)
	s_endpgm
	.section	.rodata,"a",@progbits
	.p2align	6, 0x0
	.amdhsa_kernel _ZN2at6native12_GLOBAL__N_135GammaBetaBackwardCUDAKernelTemplateIffLj32ELj16ELj128ELb0ELb0ELb1EEEvllPKT_S5_PKT0_S8_PS3_S9_
		.amdhsa_group_segment_fixed_size 0
		.amdhsa_private_segment_fixed_size 0
		.amdhsa_kernarg_size 320
		.amdhsa_user_sgpr_count 2
		.amdhsa_user_sgpr_dispatch_ptr 0
		.amdhsa_user_sgpr_queue_ptr 0
		.amdhsa_user_sgpr_kernarg_segment_ptr 1
		.amdhsa_user_sgpr_dispatch_id 0
		.amdhsa_user_sgpr_kernarg_preload_length 0
		.amdhsa_user_sgpr_kernarg_preload_offset 0
		.amdhsa_user_sgpr_private_segment_size 0
		.amdhsa_wavefront_size32 1
		.amdhsa_uses_dynamic_stack 0
		.amdhsa_enable_private_segment 0
		.amdhsa_system_sgpr_workgroup_id_x 1
		.amdhsa_system_sgpr_workgroup_id_y 1
		.amdhsa_system_sgpr_workgroup_id_z 0
		.amdhsa_system_sgpr_workgroup_info 0
		.amdhsa_system_vgpr_workitem_id 1
		.amdhsa_next_free_vgpr 95
		.amdhsa_next_free_sgpr 50
		.amdhsa_named_barrier_count 0
		.amdhsa_reserve_vcc 1
		.amdhsa_float_round_mode_32 0
		.amdhsa_float_round_mode_16_64 0
		.amdhsa_float_denorm_mode_32 3
		.amdhsa_float_denorm_mode_16_64 3
		.amdhsa_fp16_overflow 0
		.amdhsa_memory_ordered 1
		.amdhsa_forward_progress 1
		.amdhsa_inst_pref_size 46
		.amdhsa_round_robin_scheduling 0
		.amdhsa_exception_fp_ieee_invalid_op 0
		.amdhsa_exception_fp_denorm_src 0
		.amdhsa_exception_fp_ieee_div_zero 0
		.amdhsa_exception_fp_ieee_overflow 0
		.amdhsa_exception_fp_ieee_underflow 0
		.amdhsa_exception_fp_ieee_inexact 0
		.amdhsa_exception_int_div_zero 0
	.end_amdhsa_kernel
	.section	.text._ZN2at6native12_GLOBAL__N_135GammaBetaBackwardCUDAKernelTemplateIffLj32ELj16ELj128ELb0ELb0ELb1EEEvllPKT_S5_PKT0_S8_PS3_S9_,"axG",@progbits,_ZN2at6native12_GLOBAL__N_135GammaBetaBackwardCUDAKernelTemplateIffLj32ELj16ELj128ELb0ELb0ELb1EEEvllPKT_S5_PKT0_S8_PS3_S9_,comdat
.Lfunc_end159:
	.size	_ZN2at6native12_GLOBAL__N_135GammaBetaBackwardCUDAKernelTemplateIffLj32ELj16ELj128ELb0ELb0ELb1EEEvllPKT_S5_PKT0_S8_PS3_S9_, .Lfunc_end159-_ZN2at6native12_GLOBAL__N_135GammaBetaBackwardCUDAKernelTemplateIffLj32ELj16ELj128ELb0ELb0ELb1EEEvllPKT_S5_PKT0_S8_PS3_S9_
                                        ; -- End function
	.set _ZN2at6native12_GLOBAL__N_135GammaBetaBackwardCUDAKernelTemplateIffLj32ELj16ELj128ELb0ELb0ELb1EEEvllPKT_S5_PKT0_S8_PS3_S9_.num_vgpr, 95
	.set _ZN2at6native12_GLOBAL__N_135GammaBetaBackwardCUDAKernelTemplateIffLj32ELj16ELj128ELb0ELb0ELb1EEEvllPKT_S5_PKT0_S8_PS3_S9_.num_agpr, 0
	.set _ZN2at6native12_GLOBAL__N_135GammaBetaBackwardCUDAKernelTemplateIffLj32ELj16ELj128ELb0ELb0ELb1EEEvllPKT_S5_PKT0_S8_PS3_S9_.numbered_sgpr, 50
	.set _ZN2at6native12_GLOBAL__N_135GammaBetaBackwardCUDAKernelTemplateIffLj32ELj16ELj128ELb0ELb0ELb1EEEvllPKT_S5_PKT0_S8_PS3_S9_.num_named_barrier, 0
	.set _ZN2at6native12_GLOBAL__N_135GammaBetaBackwardCUDAKernelTemplateIffLj32ELj16ELj128ELb0ELb0ELb1EEEvllPKT_S5_PKT0_S8_PS3_S9_.private_seg_size, 0
	.set _ZN2at6native12_GLOBAL__N_135GammaBetaBackwardCUDAKernelTemplateIffLj32ELj16ELj128ELb0ELb0ELb1EEEvllPKT_S5_PKT0_S8_PS3_S9_.uses_vcc, 1
	.set _ZN2at6native12_GLOBAL__N_135GammaBetaBackwardCUDAKernelTemplateIffLj32ELj16ELj128ELb0ELb0ELb1EEEvllPKT_S5_PKT0_S8_PS3_S9_.uses_flat_scratch, 0
	.set _ZN2at6native12_GLOBAL__N_135GammaBetaBackwardCUDAKernelTemplateIffLj32ELj16ELj128ELb0ELb0ELb1EEEvllPKT_S5_PKT0_S8_PS3_S9_.has_dyn_sized_stack, 0
	.set _ZN2at6native12_GLOBAL__N_135GammaBetaBackwardCUDAKernelTemplateIffLj32ELj16ELj128ELb0ELb0ELb1EEEvllPKT_S5_PKT0_S8_PS3_S9_.has_recursion, 0
	.set _ZN2at6native12_GLOBAL__N_135GammaBetaBackwardCUDAKernelTemplateIffLj32ELj16ELj128ELb0ELb0ELb1EEEvllPKT_S5_PKT0_S8_PS3_S9_.has_indirect_call, 0
	.section	.AMDGPU.csdata,"",@progbits
; Kernel info:
; codeLenInByte = 5772
; TotalNumSgprs: 52
; NumVgprs: 95
; ScratchSize: 0
; MemoryBound: 0
; FloatMode: 240
; IeeeMode: 1
; LDSByteSize: 0 bytes/workgroup (compile time only)
; SGPRBlocks: 0
; VGPRBlocks: 5
; NumSGPRsForWavesPerEU: 52
; NumVGPRsForWavesPerEU: 95
; NamedBarCnt: 0
; Occupancy: 10
; WaveLimiterHint : 0
; COMPUTE_PGM_RSRC2:SCRATCH_EN: 0
; COMPUTE_PGM_RSRC2:USER_SGPR: 2
; COMPUTE_PGM_RSRC2:TRAP_HANDLER: 0
; COMPUTE_PGM_RSRC2:TGID_X_EN: 1
; COMPUTE_PGM_RSRC2:TGID_Y_EN: 1
; COMPUTE_PGM_RSRC2:TGID_Z_EN: 0
; COMPUTE_PGM_RSRC2:TIDIG_COMP_CNT: 1
	.section	.text._ZN2at6native12_GLOBAL__N_135GammaBetaBackwardCUDAKernelTemplateIffLj32ELj32ELj256ELb0ELb1ELb1EEEvllPKT_S5_PKT0_S8_PS3_S9_,"axG",@progbits,_ZN2at6native12_GLOBAL__N_135GammaBetaBackwardCUDAKernelTemplateIffLj32ELj32ELj256ELb0ELb1ELb1EEEvllPKT_S5_PKT0_S8_PS3_S9_,comdat
	.globl	_ZN2at6native12_GLOBAL__N_135GammaBetaBackwardCUDAKernelTemplateIffLj32ELj32ELj256ELb0ELb1ELb1EEEvllPKT_S5_PKT0_S8_PS3_S9_ ; -- Begin function _ZN2at6native12_GLOBAL__N_135GammaBetaBackwardCUDAKernelTemplateIffLj32ELj32ELj256ELb0ELb1ELb1EEEvllPKT_S5_PKT0_S8_PS3_S9_
	.p2align	8
	.type	_ZN2at6native12_GLOBAL__N_135GammaBetaBackwardCUDAKernelTemplateIffLj32ELj32ELj256ELb0ELb1ELb1EEEvllPKT_S5_PKT0_S8_PS3_S9_,@function
_ZN2at6native12_GLOBAL__N_135GammaBetaBackwardCUDAKernelTemplateIffLj32ELj32ELj256ELb0ELb1ELb1EEEvllPKT_S5_PKT0_S8_PS3_S9_: ; @_ZN2at6native12_GLOBAL__N_135GammaBetaBackwardCUDAKernelTemplateIffLj32ELj32ELj256ELb0ELb1ELb1EEEvllPKT_S5_PKT0_S8_PS3_S9_
; %bb.0:
	s_load_b128 s[4:7], s[0:1], 0x0
	s_bfe_u32 s2, ttmp6, 0x40010
	s_bfe_u32 s8, ttmp6, 0x40004
	s_add_co_i32 s2, s2, 1
	s_getreg_b32 s3, hwreg(HW_REG_IB_STS2, 6, 4)
	s_mul_i32 s2, ttmp7, s2
	s_mov_b32 s13, 0
	s_add_co_i32 s8, s8, s2
	s_cmp_eq_u32 s3, 0
	v_bfe_u32 v9, v0, 10, 10
	s_cselect_b32 s2, ttmp7, s8
	s_delay_alu instid0(SALU_CYCLE_1)
	s_lshl_b32 s12, s2, 8
	s_wait_kmcnt 0x0
	v_cmp_gt_i64_e64 s2, s[4:5], s[12:13]
	s_and_b32 vcc_lo, exec_lo, s2
	s_cbranch_vccnz .LBB160_2
; %bb.1:
	v_bfe_u32 v1, v0, 10, 10
	s_mov_b32 s2, s13
	v_and_b32_e32 v8, 0x3ff, v0
	v_mov_b32_e32 v16, 0
	s_and_not1_b32 vcc_lo, exec_lo, s2
	s_cbranch_vccz .LBB160_3
	s_branch .LBB160_10
.LBB160_2:
                                        ; implicit-def: $vgpr1
	v_and_b32_e32 v8, 0x3ff, v0
	v_mov_b32_e32 v16, 0
.LBB160_3:
	v_dual_mov_b32 v1, 0 :: v_dual_lshlrev_b32 v0, 3, v9
	s_load_b32 s2, s[0:1], 0x4c
	s_bfe_u32 s19, ttmp6, 0x4000c
	s_clause 0x2
	s_load_b32 s14, s[0:1], 0x44
	s_load_b128 s[8:11], s[0:1], 0x10
	s_load_b64 s[16:17], s[0:1], 0x28
	s_add_co_i32 s19, s19, 1
	v_add_nc_u64_e32 v[2:3], s[12:13], v[0:1]
	s_and_b32 s18, ttmp6, 15
	s_mul_i32 s19, ttmp9, s19
	v_dual_mov_b32 v5, v1 :: v_dual_mov_b32 v15, v1
	s_add_co_i32 s18, s18, s19
	s_mov_b32 s15, 0
	s_delay_alu instid0(VALU_DEP_2)
	v_mul_u64_e32 v[6:7], s[6:7], v[2:3]
	v_dual_mov_b32 v0, 4 :: v_dual_mov_b32 v10, 8
	v_dual_mov_b32 v12, 16 :: v_dual_mov_b32 v13, 20
	v_mov_b32_e32 v11, 12
	s_wait_kmcnt 0x0
	s_and_b32 s2, s2, 0xffff
	s_cmp_eq_u32 s3, 0
	v_mad_u32_u24 v4, v9, s2, v8
	s_cselect_b32 s2, ttmp9, s18
	s_lshl_b32 s14, s14, 8
	v_lshl_add_u32 v14, s2, 5, v8
	s_mul_u64 s[18:19], s[6:7], s[14:15]
	v_and_b32_e32 v4, 31, v4
	s_lshl_b64 s[18:19], s[18:19], 2
	s_lshl_b64 s[6:7], s[6:7], 2
	v_lshlrev_b64_e32 v[16:17], 2, v[14:15]
	v_dual_mov_b32 v14, 24 :: v_dual_mov_b32 v15, 28
	v_add_nc_u64_e32 v[2:3], v[2:3], v[4:5]
	v_cmp_gt_u32_e64 s2, 8, v4
	s_delay_alu instid0(VALU_DEP_2)
	v_lshl_add_u64 v[4:5], v[2:3], 2, s[16:17]
	s_lshl_b64 s[16:17], s[14:15], 2
	v_lshl_add_u64 v[6:7], v[6:7], 2, v[16:17]
	v_mov_b32_e32 v16, 0
	s_branch .LBB160_6
.LBB160_4:                              ;   in Loop: Header=BB160_6 Depth=1
	s_wait_xcnt 0x0
	s_or_b32 exec_lo, exec_lo, s21
.LBB160_5:                              ;   in Loop: Header=BB160_6 Depth=1
	s_delay_alu instid0(SALU_CYCLE_1)
	s_or_b32 exec_lo, exec_lo, s20
	v_add_nc_u64_e32 v[18:19], s[8:9], v[6:7]
	v_add_nc_u64_e32 v[20:21], s[10:11], v[6:7]
	s_add_nc_u64 s[12:13], s[12:13], s[14:15]
	v_add_nc_u64_e32 v[4:5], s[16:17], v[4:5]
	v_cmp_lt_i64_e64 s20, s[12:13], s[4:5]
	v_add_nc_u64_e32 v[2:3], s[14:15], v[2:3]
	v_add_nc_u64_e32 v[6:7], s[18:19], v[6:7]
	;; [unrolled: 1-line block ×4, first 2 shown]
	global_load_b32 v30, v[18:19], off
	global_load_b32 v32, v[20:21], off
	;; [unrolled: 1-line block ×4, first 2 shown]
	v_add_nc_u64_e32 v[26:27], s[6:7], v[22:23]
	v_add_nc_u64_e32 v[28:29], s[6:7], v[24:25]
	s_and_b32 vcc_lo, exec_lo, s20
	s_wait_xcnt 0x3
	s_delay_alu instid0(VALU_DEP_2) | instskip(SKIP_1) | instid1(VALU_DEP_2)
	v_add_nc_u64_e32 v[18:19], s[6:7], v[26:27]
	s_wait_xcnt 0x2
	v_add_nc_u64_e32 v[20:21], s[6:7], v[28:29]
	global_load_b32 v34, v[26:27], off
	global_load_b32 v36, v[28:29], off
	;; [unrolled: 1-line block ×4, first 2 shown]
	s_wait_xcnt 0x5
	v_add_nc_u64_e32 v[22:23], s[6:7], v[18:19]
	s_wait_xcnt 0x4
	v_add_nc_u64_e32 v[24:25], s[6:7], v[20:21]
	s_wait_xcnt 0x1
	s_delay_alu instid0(VALU_DEP_2) | instskip(SKIP_1) | instid1(VALU_DEP_2)
	v_add_nc_u64_e32 v[18:19], s[6:7], v[22:23]
	s_wait_xcnt 0x0
	v_add_nc_u64_e32 v[20:21], s[6:7], v[24:25]
	global_load_b32 v22, v[22:23], off
	global_load_b32 v38, v[24:25], off
	global_load_b32 v23, v[18:19], off
	global_load_b32 v39, v[20:21], off
	v_add_nc_u64_e32 v[26:27], s[6:7], v[18:19]
	v_add_nc_u64_e32 v[28:29], s[6:7], v[20:21]
	s_wait_xcnt 0x1
	s_delay_alu instid0(VALU_DEP_2) | instskip(SKIP_1) | instid1(VALU_DEP_2)
	v_add_nc_u64_e32 v[18:19], s[6:7], v[26:27]
	s_wait_xcnt 0x0
	v_add_nc_u64_e32 v[20:21], s[6:7], v[28:29]
	global_load_b32 v24, v[26:27], off
	global_load_b32 v40, v[28:29], off
	;; [unrolled: 1-line block ×4, first 2 shown]
	s_wait_loadcnt 0x10
	s_wait_xcnt 0x1
	ds_bpermute_b32 v18, v1, v17
	ds_bpermute_b32 v19, v0, v17
	s_wait_xcnt 0x0
	ds_bpermute_b32 v20, v10, v17
	ds_bpermute_b32 v21, v11, v17
	s_wait_loadcnt 0xc
	v_pk_mul_f32 v[26:27], v[30:31], v[32:33]
	s_wait_dscnt 0x2
	s_delay_alu instid0(VALU_DEP_1)
	v_pk_mul_f32 v[18:19], v[26:27], v[18:19]
	ds_bpermute_b32 v26, v12, v17
	ds_bpermute_b32 v27, v13, v17
	v_add_f32_e32 v16, v16, v18
	s_wait_loadcnt 0x8
	v_pk_mul_f32 v[28:29], v[34:35], v[36:37]
	s_delay_alu instid0(VALU_DEP_2) | instskip(SKIP_4) | instid1(VALU_DEP_1)
	v_add_f32_e32 v30, v16, v19
	ds_bpermute_b32 v16, v14, v17
	ds_bpermute_b32 v17, v15, v17
	s_wait_dscnt 0x4
	v_pk_mul_f32 v[18:19], v[28:29], v[20:21]
	v_add_f32_e32 v18, v30, v18
	s_wait_loadcnt 0x4
	v_pk_mul_f32 v[20:21], v[22:23], v[38:39]
	s_delay_alu instid0(VALU_DEP_2) | instskip(SKIP_1) | instid1(VALU_DEP_2)
	v_add_f32_e32 v22, v18, v19
	s_wait_dscnt 0x2
	v_pk_mul_f32 v[18:19], v[20:21], v[26:27]
	s_wait_loadcnt 0x0
	v_pk_mul_f32 v[20:21], v[24:25], v[40:41]
	s_wait_dscnt 0x0
	s_delay_alu instid0(VALU_DEP_1) | instskip(SKIP_1) | instid1(VALU_DEP_1)
	v_pk_mul_f32 v[16:17], v[20:21], v[16:17]
	v_add_f32_e32 v18, v22, v18
	v_add_f32_e32 v18, v18, v19
	s_delay_alu instid0(VALU_DEP_1) | instskip(NEXT) | instid1(VALU_DEP_1)
	v_add_f32_e32 v16, v18, v16
	v_add_f32_e32 v16, v16, v17
	s_cbranch_vccz .LBB160_9
.LBB160_6:                              ; =>This Inner Loop Header: Depth=1
	v_mov_b32_e32 v17, 0
	s_and_saveexec_b32 s20, s2
	s_cbranch_execz .LBB160_5
; %bb.7:                                ;   in Loop: Header=BB160_6 Depth=1
	v_mov_b32_e32 v17, 0
	s_mov_b32 s21, exec_lo
	v_cmpx_gt_i64_e64 s[4:5], v[2:3]
	s_cbranch_execz .LBB160_4
; %bb.8:                                ;   in Loop: Header=BB160_6 Depth=1
	global_load_b32 v17, v[4:5], off
	s_branch .LBB160_4
.LBB160_9:
	v_mov_b32_e32 v1, v9
.LBB160_10:
	s_load_b64 s[0:1], s[0:1], 0x30
	s_delay_alu instid0(VALU_DEP_1) | instskip(SKIP_2) | instid1(VALU_DEP_2)
	v_mad_u32_u24 v0, v1, 33, v8
	v_dual_lshrrev_b32 v2, 5, v8 :: v_dual_mov_b32 v4, 0
	s_mov_b32 s2, exec_lo
	v_lshl_add_u32 v3, v0, 2, 0
	s_delay_alu instid0(VALU_DEP_2)
	v_add_nc_u32_e32 v0, v2, v1
	ds_store_b32 v3, v16
	ds_store_b32 v3, v4 offset:4224
	s_wait_dscnt 0x0
	s_barrier_signal -1
	s_barrier_wait -1
	v_cmpx_gt_u32_e32 32, v0
	s_cbranch_execz .LBB160_13
; %bb.11:
	v_and_b32_e32 v1, 31, v8
	v_lshlrev_b32_e32 v2, 2, v0
	s_wait_kmcnt 0x0
	s_cmp_lg_u64 s[0:1], 0
	s_cselect_b32 s2, -1, 0
	v_mul_u32_u24_e32 v1, 0x84, v1
	s_delay_alu instid0(VALU_DEP_1) | instskip(SKIP_4) | instid1(VALU_DEP_1)
	v_add3_u32 v1, 0, v2, v1
	v_mbcnt_lo_u32_b32 v2, -1, 0
	ds_load_b32 v1, v1
	v_xor_b32_e32 v4, 8, v2
	v_xor_b32_e32 v3, 16, v2
	v_cmp_gt_i32_e32 vcc_lo, 32, v3
	v_cndmask_b32_e32 v3, v2, v3, vcc_lo
	s_delay_alu instid0(VALU_DEP_1)
	v_lshlrev_b32_e32 v3, 2, v3
	s_wait_dscnt 0x0
	ds_bpermute_b32 v3, v3, v1
	s_wait_dscnt 0x0
	v_add_f32_e32 v1, v1, v3
	v_cmp_gt_i32_e32 vcc_lo, 32, v4
	v_cndmask_b32_e32 v4, v2, v4, vcc_lo
	s_delay_alu instid0(VALU_DEP_1) | instskip(SKIP_3) | instid1(VALU_DEP_1)
	v_lshlrev_b32_e32 v4, 2, v4
	ds_bpermute_b32 v3, v4, v1
	s_wait_dscnt 0x0
	v_dual_add_f32 v1, v1, v3 :: v_dual_bitop2_b32 v4, 4, v2 bitop3:0x14
	v_cmp_gt_i32_e32 vcc_lo, 32, v4
	v_cndmask_b32_e32 v4, v2, v4, vcc_lo
	s_delay_alu instid0(VALU_DEP_1) | instskip(SKIP_2) | instid1(VALU_DEP_1)
	v_lshlrev_b32_e32 v4, 2, v4
	ds_bpermute_b32 v3, v4, v1
	v_xor_b32_e32 v4, 2, v2
	v_cmp_gt_i32_e32 vcc_lo, 32, v4
	v_cndmask_b32_e32 v4, v2, v4, vcc_lo
	s_wait_dscnt 0x0
	s_delay_alu instid0(VALU_DEP_1) | instskip(SKIP_2) | instid1(VALU_DEP_1)
	v_dual_add_f32 v1, v1, v3 :: v_dual_lshlrev_b32 v4, 2, v4
	ds_bpermute_b32 v3, v4, v1
	v_xor_b32_e32 v4, 1, v2
	v_cmp_gt_i32_e32 vcc_lo, 32, v4
	v_cndmask_b32_e32 v2, v2, v4, vcc_lo
	v_cmp_eq_u32_e32 vcc_lo, 0, v8
	s_delay_alu instid0(VALU_DEP_2)
	v_lshlrev_b32_e32 v2, 2, v2
	s_and_b32 s2, vcc_lo, s2
	s_wait_dscnt 0x0
	v_add_f32_e32 v1, v1, v3
	ds_bpermute_b32 v2, v2, v1
	s_and_b32 exec_lo, exec_lo, s2
	s_cbranch_execz .LBB160_13
; %bb.12:
	s_bfe_u32 s2, ttmp6, 0x4000c
	s_and_b32 s4, ttmp6, 15
	s_add_co_i32 s2, s2, 1
	s_wait_dscnt 0x0
	v_add_f32_e32 v1, v1, v2
	s_mul_i32 s2, ttmp9, s2
	s_delay_alu instid0(SALU_CYCLE_1) | instskip(SKIP_3) | instid1(SALU_CYCLE_1)
	s_add_co_i32 s4, s4, s2
	s_cmp_eq_u32 s3, 0
	s_mov_b32 s3, 0
	s_cselect_b32 s2, ttmp9, s4
	s_lshl_b64 s[2:3], s[2:3], 7
	s_delay_alu instid0(SALU_CYCLE_1)
	s_add_nc_u64 s[0:1], s[0:1], s[2:3]
	global_store_b32 v0, v1, s[0:1] scale_offset
.LBB160_13:
	s_endpgm
	.section	.rodata,"a",@progbits
	.p2align	6, 0x0
	.amdhsa_kernel _ZN2at6native12_GLOBAL__N_135GammaBetaBackwardCUDAKernelTemplateIffLj32ELj32ELj256ELb0ELb1ELb1EEEvllPKT_S5_PKT0_S8_PS3_S9_
		.amdhsa_group_segment_fixed_size 0
		.amdhsa_private_segment_fixed_size 0
		.amdhsa_kernarg_size 320
		.amdhsa_user_sgpr_count 2
		.amdhsa_user_sgpr_dispatch_ptr 0
		.amdhsa_user_sgpr_queue_ptr 0
		.amdhsa_user_sgpr_kernarg_segment_ptr 1
		.amdhsa_user_sgpr_dispatch_id 0
		.amdhsa_user_sgpr_kernarg_preload_length 0
		.amdhsa_user_sgpr_kernarg_preload_offset 0
		.amdhsa_user_sgpr_private_segment_size 0
		.amdhsa_wavefront_size32 1
		.amdhsa_uses_dynamic_stack 0
		.amdhsa_enable_private_segment 0
		.amdhsa_system_sgpr_workgroup_id_x 1
		.amdhsa_system_sgpr_workgroup_id_y 1
		.amdhsa_system_sgpr_workgroup_id_z 0
		.amdhsa_system_sgpr_workgroup_info 0
		.amdhsa_system_vgpr_workitem_id 1
		.amdhsa_next_free_vgpr 42
		.amdhsa_next_free_sgpr 22
		.amdhsa_named_barrier_count 0
		.amdhsa_reserve_vcc 1
		.amdhsa_float_round_mode_32 0
		.amdhsa_float_round_mode_16_64 0
		.amdhsa_float_denorm_mode_32 3
		.amdhsa_float_denorm_mode_16_64 3
		.amdhsa_fp16_overflow 0
		.amdhsa_memory_ordered 1
		.amdhsa_forward_progress 1
		.amdhsa_inst_pref_size 11
		.amdhsa_round_robin_scheduling 0
		.amdhsa_exception_fp_ieee_invalid_op 0
		.amdhsa_exception_fp_denorm_src 0
		.amdhsa_exception_fp_ieee_div_zero 0
		.amdhsa_exception_fp_ieee_overflow 0
		.amdhsa_exception_fp_ieee_underflow 0
		.amdhsa_exception_fp_ieee_inexact 0
		.amdhsa_exception_int_div_zero 0
	.end_amdhsa_kernel
	.section	.text._ZN2at6native12_GLOBAL__N_135GammaBetaBackwardCUDAKernelTemplateIffLj32ELj32ELj256ELb0ELb1ELb1EEEvllPKT_S5_PKT0_S8_PS3_S9_,"axG",@progbits,_ZN2at6native12_GLOBAL__N_135GammaBetaBackwardCUDAKernelTemplateIffLj32ELj32ELj256ELb0ELb1ELb1EEEvllPKT_S5_PKT0_S8_PS3_S9_,comdat
.Lfunc_end160:
	.size	_ZN2at6native12_GLOBAL__N_135GammaBetaBackwardCUDAKernelTemplateIffLj32ELj32ELj256ELb0ELb1ELb1EEEvllPKT_S5_PKT0_S8_PS3_S9_, .Lfunc_end160-_ZN2at6native12_GLOBAL__N_135GammaBetaBackwardCUDAKernelTemplateIffLj32ELj32ELj256ELb0ELb1ELb1EEEvllPKT_S5_PKT0_S8_PS3_S9_
                                        ; -- End function
	.set _ZN2at6native12_GLOBAL__N_135GammaBetaBackwardCUDAKernelTemplateIffLj32ELj32ELj256ELb0ELb1ELb1EEEvllPKT_S5_PKT0_S8_PS3_S9_.num_vgpr, 42
	.set _ZN2at6native12_GLOBAL__N_135GammaBetaBackwardCUDAKernelTemplateIffLj32ELj32ELj256ELb0ELb1ELb1EEEvllPKT_S5_PKT0_S8_PS3_S9_.num_agpr, 0
	.set _ZN2at6native12_GLOBAL__N_135GammaBetaBackwardCUDAKernelTemplateIffLj32ELj32ELj256ELb0ELb1ELb1EEEvllPKT_S5_PKT0_S8_PS3_S9_.numbered_sgpr, 22
	.set _ZN2at6native12_GLOBAL__N_135GammaBetaBackwardCUDAKernelTemplateIffLj32ELj32ELj256ELb0ELb1ELb1EEEvllPKT_S5_PKT0_S8_PS3_S9_.num_named_barrier, 0
	.set _ZN2at6native12_GLOBAL__N_135GammaBetaBackwardCUDAKernelTemplateIffLj32ELj32ELj256ELb0ELb1ELb1EEEvllPKT_S5_PKT0_S8_PS3_S9_.private_seg_size, 0
	.set _ZN2at6native12_GLOBAL__N_135GammaBetaBackwardCUDAKernelTemplateIffLj32ELj32ELj256ELb0ELb1ELb1EEEvllPKT_S5_PKT0_S8_PS3_S9_.uses_vcc, 1
	.set _ZN2at6native12_GLOBAL__N_135GammaBetaBackwardCUDAKernelTemplateIffLj32ELj32ELj256ELb0ELb1ELb1EEEvllPKT_S5_PKT0_S8_PS3_S9_.uses_flat_scratch, 0
	.set _ZN2at6native12_GLOBAL__N_135GammaBetaBackwardCUDAKernelTemplateIffLj32ELj32ELj256ELb0ELb1ELb1EEEvllPKT_S5_PKT0_S8_PS3_S9_.has_dyn_sized_stack, 0
	.set _ZN2at6native12_GLOBAL__N_135GammaBetaBackwardCUDAKernelTemplateIffLj32ELj32ELj256ELb0ELb1ELb1EEEvllPKT_S5_PKT0_S8_PS3_S9_.has_recursion, 0
	.set _ZN2at6native12_GLOBAL__N_135GammaBetaBackwardCUDAKernelTemplateIffLj32ELj32ELj256ELb0ELb1ELb1EEEvllPKT_S5_PKT0_S8_PS3_S9_.has_indirect_call, 0
	.section	.AMDGPU.csdata,"",@progbits
; Kernel info:
; codeLenInByte = 1408
; TotalNumSgprs: 24
; NumVgprs: 42
; ScratchSize: 0
; MemoryBound: 0
; FloatMode: 240
; IeeeMode: 1
; LDSByteSize: 0 bytes/workgroup (compile time only)
; SGPRBlocks: 0
; VGPRBlocks: 2
; NumSGPRsForWavesPerEU: 24
; NumVGPRsForWavesPerEU: 42
; NamedBarCnt: 0
; Occupancy: 16
; WaveLimiterHint : 0
; COMPUTE_PGM_RSRC2:SCRATCH_EN: 0
; COMPUTE_PGM_RSRC2:USER_SGPR: 2
; COMPUTE_PGM_RSRC2:TRAP_HANDLER: 0
; COMPUTE_PGM_RSRC2:TGID_X_EN: 1
; COMPUTE_PGM_RSRC2:TGID_Y_EN: 1
; COMPUTE_PGM_RSRC2:TGID_Z_EN: 0
; COMPUTE_PGM_RSRC2:TIDIG_COMP_CNT: 1
	.section	.text._ZN2at6native12_GLOBAL__N_135GammaBetaBackwardCUDAKernelTemplateIffLj32ELj32ELj256ELb0ELb0ELb1EEEvllPKT_S5_PKT0_S8_PS3_S9_,"axG",@progbits,_ZN2at6native12_GLOBAL__N_135GammaBetaBackwardCUDAKernelTemplateIffLj32ELj32ELj256ELb0ELb0ELb1EEEvllPKT_S5_PKT0_S8_PS3_S9_,comdat
	.globl	_ZN2at6native12_GLOBAL__N_135GammaBetaBackwardCUDAKernelTemplateIffLj32ELj32ELj256ELb0ELb0ELb1EEEvllPKT_S5_PKT0_S8_PS3_S9_ ; -- Begin function _ZN2at6native12_GLOBAL__N_135GammaBetaBackwardCUDAKernelTemplateIffLj32ELj32ELj256ELb0ELb0ELb1EEEvllPKT_S5_PKT0_S8_PS3_S9_
	.p2align	8
	.type	_ZN2at6native12_GLOBAL__N_135GammaBetaBackwardCUDAKernelTemplateIffLj32ELj32ELj256ELb0ELb0ELb1EEEvllPKT_S5_PKT0_S8_PS3_S9_,@function
_ZN2at6native12_GLOBAL__N_135GammaBetaBackwardCUDAKernelTemplateIffLj32ELj32ELj256ELb0ELb0ELb1EEEvllPKT_S5_PKT0_S8_PS3_S9_: ; @_ZN2at6native12_GLOBAL__N_135GammaBetaBackwardCUDAKernelTemplateIffLj32ELj32ELj256ELb0ELb0ELb1EEEvllPKT_S5_PKT0_S8_PS3_S9_
; %bb.0:
	s_load_b256 s[4:11], s[0:1], 0x0
	s_bfe_u32 s3, ttmp6, 0x4000c
	s_bfe_u32 s12, ttmp6, 0x40010
	s_add_co_i32 s3, s3, 1
	s_add_co_i32 s12, s12, 1
	s_and_b32 s2, ttmp6, 15
	s_bfe_u32 s13, ttmp6, 0x40004
	s_mul_i32 s3, ttmp9, s3
	s_mul_i32 s12, ttmp7, s12
	s_getreg_b32 s14, hwreg(HW_REG_IB_STS2, 6, 4)
	s_add_co_i32 s2, s2, s3
	s_add_co_i32 s13, s13, s12
	s_cmp_eq_u32 s14, 0
	s_mov_b32 s17, 0
	s_cselect_b32 s12, ttmp9, s2
	s_cselect_b32 s2, ttmp7, s13
	s_lshl_b32 s3, s12, 5
	s_load_b64 s[14:15], s[0:1], 0x28
	s_or_b32 s16, s3, 31
	s_wait_kmcnt 0x0
	v_cmp_le_i64_e64 s18, s[6:7], s[16:17]
	s_lshl_b32 s16, s2, 8
	s_delay_alu instid0(SALU_CYCLE_1) | instskip(SKIP_2) | instid1(VALU_DEP_1)
	v_cmp_gt_i64_e64 s13, s[4:5], s[16:17]
	s_and_b32 vcc_lo, exec_lo, s18
	v_cndmask_b32_e64 v1, 0, 1, s13
	v_cmp_ne_u32_e64 s2, 1, v1
	s_cbranch_vccz .LBB161_49
; %bb.1:
	v_mov_b32_e32 v3, 0
	s_and_b32 vcc_lo, exec_lo, s2
	s_cbranch_vccnz .LBB161_50
; %bb.2:
	v_bfe_u32 v1, v0, 10, 10
	v_mov_b32_e32 v2, 0
	v_and_b32_e32 v64, 0x3ff, v0
	s_load_b32 s18, s[0:1], 0x44
	s_mov_b32 s19, 0
	s_delay_alu instid0(VALU_DEP_2) | instskip(NEXT) | instid1(VALU_DEP_2)
	v_dual_mov_b32 v27, v2 :: v_dual_lshlrev_b32 v26, 3, v1
	v_dual_mov_b32 v19, v2 :: v_dual_add_nc_u32 v18, s3, v64
	v_mov_b32_e32 v65, 0
	s_mov_b32 s35, s19
	s_delay_alu instid0(VALU_DEP_3)
	v_add_nc_u64_e32 v[4:5], s[16:17], v[26:27]
	s_add_nc_u64 s[20:21], s[0:1], 64
	v_cmp_gt_i64_e64 s2, s[6:7], v[18:19]
	v_lshlrev_b64_e32 v[28:29], 2, v[18:19]
	s_mov_b64 s[22:23], 0xffffffffffffff01
	s_mov_b64 s[24:25], 0xffffffffffffff02
	;; [unrolled: 1-line block ×3, first 2 shown]
	v_mul_u64_e32 v[6:7], s[6:7], v[4:5]
	v_add_nc_u64_e32 v[8:9], 7, v[4:5]
	v_add_nc_u64_e32 v[10:11], 6, v[4:5]
	;; [unrolled: 1-line block ×6, first 2 shown]
	s_wait_kmcnt 0x0
	s_lshl_b32 s34, s18, 8
	v_mul_u64_e32 v[8:9], s[6:7], v[8:9]
	v_mul_u64_e32 v[10:11], s[6:7], v[10:11]
	;; [unrolled: 1-line block ×6, first 2 shown]
	s_mul_u64 s[42:43], s[6:7], s[34:35]
	s_mov_b64 s[28:29], 0xffffffffffffff04
	s_mov_b64 s[30:31], 0xffffffffffffff05
	;; [unrolled: 1-line block ×5, first 2 shown]
	s_lshl_b64 s[42:43], s[42:43], 2
	s_add_nc_u64 s[44:45], s[16:17], 0xff
	s_mov_b64 s[46:47], s[16:17]
	v_lshlrev_b64_e32 v[20:21], 2, v[6:7]
	v_add_nc_u64_e32 v[6:7], s[6:7], v[6:7]
	s_delay_alu instid0(VALU_DEP_2)
	v_add_nc_u64_e32 v[30:31], s[8:9], v[20:21]
	v_lshlrev_b64_e32 v[8:9], 2, v[8:9]
	v_lshlrev_b64_e32 v[10:11], 2, v[10:11]
	v_lshlrev_b64_e32 v[12:13], 2, v[12:13]
	v_lshlrev_b64_e32 v[14:15], 2, v[14:15]
	v_lshlrev_b64_e32 v[16:17], 2, v[16:17]
	v_lshlrev_b64_e32 v[4:5], 2, v[4:5]
	v_lshlrev_b64_e32 v[6:7], 2, v[6:7]
	v_add_nc_u64_e32 v[32:33], s[10:11], v[20:21]
	v_add_nc_u64_e32 v[34:35], s[8:9], v[8:9]
	;; [unrolled: 1-line block ×15, first 2 shown]
.LBB161_3:                              ; =>This Inner Loop Header: Depth=1
	v_cmp_ge_i64_e64 s18, s[44:45], s[4:5]
	v_add_nc_u64_e32 v[62:63], s[44:45], v[26:27]
                                        ; implicit-def: $vgpr3
                                        ; implicit-def: $vgpr10_vgpr11_vgpr12_vgpr13_vgpr14_vgpr15_vgpr16_vgpr17
                                        ; implicit-def: $vgpr18_vgpr19_vgpr20_vgpr21_vgpr22_vgpr23_vgpr24_vgpr25
                                        ; implicit-def: $vgpr4
	s_and_b32 vcc_lo, exec_lo, s18
	s_mov_b32 s18, -1
	s_cbranch_vccz .LBB161_25
; %bb.4:                                ;   in Loop: Header=BB161_3 Depth=1
	s_load_b32 s18, s[20:21], 0xc
	v_mov_b32_e32 v66, 0
	s_wait_kmcnt 0x0
	s_and_b32 s18, s18, 0xffff
	s_delay_alu instid0(SALU_CYCLE_1) | instskip(SKIP_1) | instid1(VALU_DEP_1)
	v_mad_u32_u24 v3, v1, s18, v64
	s_mov_b32 s18, exec_lo
	v_and_b32_e32 v4, 31, v3
	s_delay_alu instid0(VALU_DEP_1)
	v_cmpx_gt_u32_e32 8, v4
	s_cbranch_execz .LBB161_8
; %bb.5:                                ;   in Loop: Header=BB161_3 Depth=1
	v_dual_mov_b32 v5, v2 :: v_dual_mov_b32 v66, 0
	s_mov_b32 s33, exec_lo
	s_delay_alu instid0(VALU_DEP_1) | instskip(NEXT) | instid1(VALU_DEP_1)
	v_add_nc_u64_e32 v[4:5], v[62:63], v[4:5]
	v_add_nc_u64_e32 v[4:5], s[22:23], v[4:5]
	s_delay_alu instid0(VALU_DEP_1)
	v_cmpx_gt_i64_e64 s[4:5], v[4:5]
	s_cbranch_execz .LBB161_7
; %bb.6:                                ;   in Loop: Header=BB161_3 Depth=1
	v_lshl_add_u64 v[4:5], v[4:5], 2, s[14:15]
	global_load_b32 v66, v[4:5], off
.LBB161_7:                              ;   in Loop: Header=BB161_3 Depth=1
	s_wait_xcnt 0x0
	s_or_b32 exec_lo, exec_lo, s33
.LBB161_8:                              ;   in Loop: Header=BB161_3 Depth=1
	s_delay_alu instid0(SALU_CYCLE_1)
	s_or_b32 exec_lo, exec_lo, s18
	v_add_nc_u64_e32 v[10:11], s[22:23], v[62:63]
	v_dual_mov_b32 v7, v2 :: v_dual_mov_b32 v8, v2
	v_dual_mov_b32 v9, v2 :: v_dual_mov_b32 v3, v2
	;; [unrolled: 1-line block ×3, first 2 shown]
	v_mov_b32_e32 v6, v2
	v_cmp_gt_i64_e32 vcc_lo, s[4:5], v[10:11]
	s_delay_alu instid0(VALU_DEP_4)
	v_mov_b64_e32 v[16:17], v[8:9]
	v_mov_b64_e32 v[24:25], v[8:9]
	;; [unrolled: 1-line block ×8, first 2 shown]
	s_and_b32 s33, s2, vcc_lo
	s_delay_alu instid0(SALU_CYCLE_1)
	s_and_saveexec_b32 s18, s33
	s_cbranch_execz .LBB161_10
; %bb.9:                                ;   in Loop: Header=BB161_3 Depth=1
	v_add_nc_u64_e32 v[4:5], v[30:31], v[28:29]
	v_add_nc_u64_e32 v[6:7], v[32:33], v[28:29]
	v_dual_mov_b32 v19, v2 :: v_dual_mov_b32 v20, v2
	v_dual_mov_b32 v21, v2 :: v_dual_mov_b32 v22, v2
	v_dual_mov_b32 v23, v2 :: v_dual_mov_b32 v24, v2
	global_load_b32 v18, v[4:5], off
	global_load_b32 v10, v[6:7], off
	v_dual_mov_b32 v25, v2 :: v_dual_mov_b32 v11, v2
	v_dual_mov_b32 v12, v2 :: v_dual_mov_b32 v13, v2
	;; [unrolled: 1-line block ×4, first 2 shown]
.LBB161_10:                             ;   in Loop: Header=BB161_3 Depth=1
	s_wait_xcnt 0x0
	s_or_b32 exec_lo, exec_lo, s18
	v_add_nc_u64_e32 v[4:5], s[24:25], v[62:63]
	s_delay_alu instid0(VALU_DEP_1) | instskip(SKIP_1) | instid1(SALU_CYCLE_1)
	v_cmp_gt_i64_e32 vcc_lo, s[4:5], v[4:5]
	s_and_b32 s33, s2, vcc_lo
	s_and_saveexec_b32 s18, s33
	s_cbranch_execz .LBB161_12
; %bb.11:                               ;   in Loop: Header=BB161_3 Depth=1
	v_add_nc_u64_e32 v[4:5], v[58:59], v[28:29]
	v_add_nc_u64_e32 v[6:7], v[60:61], v[28:29]
	global_load_b32 v19, v[4:5], off
	global_load_b32 v11, v[6:7], off
.LBB161_12:                             ;   in Loop: Header=BB161_3 Depth=1
	s_wait_xcnt 0x0
	s_or_b32 exec_lo, exec_lo, s18
	v_add_nc_u64_e32 v[4:5], s[26:27], v[62:63]
	s_delay_alu instid0(VALU_DEP_1) | instskip(SKIP_1) | instid1(SALU_CYCLE_1)
	v_cmp_gt_i64_e32 vcc_lo, s[4:5], v[4:5]
	s_and_b32 s33, s2, vcc_lo
	s_and_saveexec_b32 s18, s33
	s_cbranch_execz .LBB161_14
; %bb.13:                               ;   in Loop: Header=BB161_3 Depth=1
	v_add_nc_u64_e32 v[4:5], v[54:55], v[28:29]
	v_add_nc_u64_e32 v[6:7], v[56:57], v[28:29]
	global_load_b32 v20, v[4:5], off
	global_load_b32 v12, v[6:7], off
.LBB161_14:                             ;   in Loop: Header=BB161_3 Depth=1
	;; [unrolled: 14-line block ×7, first 2 shown]
	s_wait_xcnt 0x0
	s_or_b32 exec_lo, exec_lo, s18
	s_wait_loadcnt 0x0
	ds_bpermute_b32 v3, v2, v66
	ds_bpermute_b32 v4, v2, v66 offset:4
	ds_bpermute_b32 v5, v2, v66 offset:8
	;; [unrolled: 1-line block ×4, first 2 shown]
	v_pk_mul_f32 v[8:9], v[12:13], v[20:21]
	v_dual_mul_f32 v18, v10, v18 :: v_dual_mul_f32 v10, v11, v19
	v_pk_mul_f32 v[12:13], v[14:15], v[22:23]
	ds_bpermute_b32 v14, v2, v66 offset:20
	v_mov_b32_e32 v11, v8
	ds_bpermute_b32 v15, v2, v66 offset:24
	v_dual_mov_b32 v8, v9 :: v_dual_mov_b32 v9, v12
	s_mov_b32 s18, 0
	s_wait_dscnt 0x6
	v_fma_f32 v3, v18, v3, v65
	s_wait_dscnt 0x4
	v_pk_mul_f32 v[4:5], v[10:11], v[4:5]
	s_wait_dscnt 0x2
	v_pk_mul_f32 v[6:7], v[8:9], v[6:7]
	v_dual_mov_b32 v8, v13 :: v_dual_mul_f32 v9, v16, v24
	s_delay_alu instid0(VALU_DEP_3) | instskip(SKIP_2) | instid1(VALU_DEP_1)
	v_add_f32_e32 v3, v3, v4
	ds_bpermute_b32 v4, v2, v66 offset:28
	v_add_f32_e32 v3, v3, v5
	v_add_f32_e32 v3, v3, v6
	s_delay_alu instid0(VALU_DEP_1) | instskip(SKIP_2) | instid1(VALU_DEP_1)
	v_add_f32_e32 v3, v3, v7
	s_wait_dscnt 0x1
	v_pk_mul_f32 v[6:7], v[8:9], v[14:15]
	v_add_f32_e32 v3, v3, v6
	s_delay_alu instid0(VALU_DEP_1)
	v_add_f32_e32 v3, v3, v7
.LBB161_25:                             ;   in Loop: Header=BB161_3 Depth=1
	s_and_b32 vcc_lo, exec_lo, s18
	s_cbranch_vccz .LBB161_40
; %bb.26:                               ;   in Loop: Header=BB161_3 Depth=1
	s_load_b32 s18, s[20:21], 0x0
	v_mov_b32_e32 v66, 0
	s_wait_kmcnt 0x0
	s_cmp_lt_u32 s12, s18
	s_cselect_b32 s18, 12, 18
	s_delay_alu instid0(SALU_CYCLE_1)
	s_add_nc_u64 s[48:49], s[20:21], s[18:19]
	s_load_u16 s18, s[48:49], 0x0
	s_wait_kmcnt 0x0
	v_mad_u32_u24 v3, v1, s18, v64
	s_mov_b32 s18, exec_lo
	s_wait_dscnt 0x0
	s_delay_alu instid0(VALU_DEP_1) | instskip(NEXT) | instid1(VALU_DEP_1)
	v_and_b32_e32 v4, 31, v3
	v_cmpx_gt_u32_e32 8, v4
	s_cbranch_execz .LBB161_30
; %bb.27:                               ;   in Loop: Header=BB161_3 Depth=1
	v_dual_mov_b32 v5, v2 :: v_dual_mov_b32 v66, 0
	s_mov_b32 s33, exec_lo
	s_delay_alu instid0(VALU_DEP_1) | instskip(NEXT) | instid1(VALU_DEP_1)
	v_add_nc_u64_e32 v[4:5], v[62:63], v[4:5]
	v_add_nc_u64_e32 v[4:5], s[22:23], v[4:5]
	s_delay_alu instid0(VALU_DEP_1)
	v_cmpx_gt_i64_e64 s[4:5], v[4:5]
	s_cbranch_execz .LBB161_29
; %bb.28:                               ;   in Loop: Header=BB161_3 Depth=1
	v_lshl_add_u64 v[4:5], v[4:5], 2, s[14:15]
	global_load_b32 v66, v[4:5], off
.LBB161_29:                             ;   in Loop: Header=BB161_3 Depth=1
	s_wait_xcnt 0x0
	s_or_b32 exec_lo, exec_lo, s33
.LBB161_30:                             ;   in Loop: Header=BB161_3 Depth=1
	s_delay_alu instid0(SALU_CYCLE_1) | instskip(SKIP_4) | instid1(VALU_DEP_3)
	s_or_b32 exec_lo, exec_lo, s18
	v_dual_mov_b32 v7, v2 :: v_dual_mov_b32 v8, v2
	v_dual_mov_b32 v9, v2 :: v_dual_mov_b32 v3, v2
	;; [unrolled: 1-line block ×3, first 2 shown]
	v_mov_b32_e32 v6, v2
	v_mov_b64_e32 v[16:17], v[8:9]
	v_mov_b64_e32 v[24:25], v[8:9]
	;; [unrolled: 1-line block ×8, first 2 shown]
	s_and_saveexec_b32 s18, s2
	s_cbranch_execnz .LBB161_42
; %bb.31:                               ;   in Loop: Header=BB161_3 Depth=1
	s_or_b32 exec_lo, exec_lo, s18
	s_and_saveexec_b32 s18, s2
	s_cbranch_execnz .LBB161_43
.LBB161_32:                             ;   in Loop: Header=BB161_3 Depth=1
	s_or_b32 exec_lo, exec_lo, s18
	s_and_saveexec_b32 s18, s2
	s_cbranch_execnz .LBB161_44
.LBB161_33:                             ;   in Loop: Header=BB161_3 Depth=1
	s_or_b32 exec_lo, exec_lo, s18
	s_and_saveexec_b32 s18, s2
	s_cbranch_execnz .LBB161_45
.LBB161_34:                             ;   in Loop: Header=BB161_3 Depth=1
	s_or_b32 exec_lo, exec_lo, s18
	s_and_saveexec_b32 s18, s2
	s_cbranch_execnz .LBB161_46
.LBB161_35:                             ;   in Loop: Header=BB161_3 Depth=1
	s_or_b32 exec_lo, exec_lo, s18
	s_and_saveexec_b32 s18, s2
	s_cbranch_execnz .LBB161_47
.LBB161_36:                             ;   in Loop: Header=BB161_3 Depth=1
	s_or_b32 exec_lo, exec_lo, s18
	s_and_saveexec_b32 s18, s2
	s_cbranch_execnz .LBB161_48
.LBB161_37:                             ;   in Loop: Header=BB161_3 Depth=1
	s_or_b32 exec_lo, exec_lo, s18
	s_and_saveexec_b32 s18, s2
	s_cbranch_execz .LBB161_39
.LBB161_38:                             ;   in Loop: Header=BB161_3 Depth=1
	v_add_nc_u64_e32 v[4:5], v[34:35], v[28:29]
	v_add_nc_u64_e32 v[6:7], v[36:37], v[28:29]
	global_load_b32 v25, v[4:5], off
	global_load_b32 v17, v[6:7], off
.LBB161_39:                             ;   in Loop: Header=BB161_3 Depth=1
	s_wait_xcnt 0x0
	s_or_b32 exec_lo, exec_lo, s18
	s_wait_loadcnt 0x0
	ds_bpermute_b32 v3, v2, v66
	ds_bpermute_b32 v4, v2, v66 offset:4
	ds_bpermute_b32 v5, v2, v66 offset:8
	;; [unrolled: 1-line block ×4, first 2 shown]
	v_pk_mul_f32 v[8:9], v[12:13], v[20:21]
	v_dual_mul_f32 v18, v10, v18 :: v_dual_mul_f32 v10, v11, v19
	v_pk_mul_f32 v[12:13], v[14:15], v[22:23]
	ds_bpermute_b32 v14, v2, v66 offset:20
	v_mov_b32_e32 v11, v8
	ds_bpermute_b32 v15, v2, v66 offset:24
	v_dual_mov_b32 v8, v9 :: v_dual_mov_b32 v9, v12
	s_wait_dscnt 0x6
	v_fmac_f32_e32 v65, v18, v3
	s_wait_dscnt 0x4
	v_pk_mul_f32 v[4:5], v[10:11], v[4:5]
	s_wait_dscnt 0x2
	v_pk_mul_f32 v[6:7], v[8:9], v[6:7]
	v_dual_mul_f32 v9, v16, v24 :: v_dual_mov_b32 v8, v13
	s_delay_alu instid0(VALU_DEP_3) | instskip(SKIP_2) | instid1(VALU_DEP_1)
	v_add_f32_e32 v3, v65, v4
	ds_bpermute_b32 v4, v2, v66 offset:28
	v_add_f32_e32 v3, v3, v5
	v_add_f32_e32 v3, v3, v6
	s_delay_alu instid0(VALU_DEP_1) | instskip(SKIP_2) | instid1(VALU_DEP_1)
	v_add_f32_e32 v3, v3, v7
	s_wait_dscnt 0x1
	v_pk_mul_f32 v[6:7], v[8:9], v[14:15]
	v_add_f32_e32 v3, v3, v6
	s_delay_alu instid0(VALU_DEP_1)
	v_add_f32_e32 v3, v3, v7
.LBB161_40:                             ;   in Loop: Header=BB161_3 Depth=1
	s_add_nc_u64 s[46:47], s[46:47], s[34:35]
	v_mul_f32_e32 v5, v25, v17
	v_cmp_lt_i64_e64 s18, s[46:47], s[4:5]
	v_add_nc_u64_e32 v[30:31], s[42:43], v[30:31]
	v_add_nc_u64_e32 v[32:33], s[42:43], v[32:33]
	v_add_nc_u64_e32 v[34:35], s[42:43], v[34:35]
	v_add_nc_u64_e32 v[36:37], s[42:43], v[36:37]
	v_add_nc_u64_e32 v[38:39], s[42:43], v[38:39]
	v_add_nc_u64_e32 v[40:41], s[42:43], v[40:41]
	v_add_nc_u64_e32 v[42:43], s[42:43], v[42:43]
	v_add_nc_u64_e32 v[44:45], s[42:43], v[44:45]
	v_add_nc_u64_e32 v[46:47], s[42:43], v[46:47]
	v_add_nc_u64_e32 v[48:49], s[42:43], v[48:49]
	v_add_nc_u64_e32 v[50:51], s[42:43], v[50:51]
	v_add_nc_u64_e32 v[52:53], s[42:43], v[52:53]
	v_add_nc_u64_e32 v[54:55], s[42:43], v[54:55]
	v_add_nc_u64_e32 v[56:57], s[42:43], v[56:57]
	v_add_nc_u64_e32 v[58:59], s[42:43], v[58:59]
	v_add_nc_u64_e32 v[60:61], s[42:43], v[60:61]
	s_wait_dscnt 0x0
	v_fmac_f32_e32 v3, v5, v4
	s_and_b32 vcc_lo, exec_lo, s18
	s_add_nc_u64 s[44:45], s[44:45], s[34:35]
	s_cbranch_vccz .LBB161_50
; %bb.41:                               ;   in Loop: Header=BB161_3 Depth=1
	s_delay_alu instid0(VALU_DEP_1)
	v_mov_b32_e32 v65, v3
	s_branch .LBB161_3
.LBB161_42:                             ;   in Loop: Header=BB161_3 Depth=1
	v_add_nc_u64_e32 v[4:5], v[30:31], v[28:29]
	v_add_nc_u64_e32 v[6:7], v[32:33], v[28:29]
	v_dual_mov_b32 v19, v2 :: v_dual_mov_b32 v20, v2
	v_dual_mov_b32 v21, v2 :: v_dual_mov_b32 v22, v2
	;; [unrolled: 1-line block ×3, first 2 shown]
	global_load_b32 v18, v[4:5], off
	global_load_b32 v10, v[6:7], off
	v_dual_mov_b32 v25, v2 :: v_dual_mov_b32 v11, v2
	v_dual_mov_b32 v12, v2 :: v_dual_mov_b32 v13, v2
	;; [unrolled: 1-line block ×4, first 2 shown]
	s_wait_xcnt 0x0
	s_or_b32 exec_lo, exec_lo, s18
	s_and_saveexec_b32 s18, s2
	s_cbranch_execz .LBB161_32
.LBB161_43:                             ;   in Loop: Header=BB161_3 Depth=1
	v_add_nc_u64_e32 v[4:5], v[58:59], v[28:29]
	v_add_nc_u64_e32 v[6:7], v[60:61], v[28:29]
	global_load_b32 v19, v[4:5], off
	global_load_b32 v11, v[6:7], off
	s_wait_xcnt 0x0
	s_or_b32 exec_lo, exec_lo, s18
	s_and_saveexec_b32 s18, s2
	s_cbranch_execz .LBB161_33
.LBB161_44:                             ;   in Loop: Header=BB161_3 Depth=1
	v_add_nc_u64_e32 v[4:5], v[54:55], v[28:29]
	v_add_nc_u64_e32 v[6:7], v[56:57], v[28:29]
	global_load_b32 v20, v[4:5], off
	global_load_b32 v12, v[6:7], off
	s_wait_xcnt 0x0
	s_or_b32 exec_lo, exec_lo, s18
	s_and_saveexec_b32 s18, s2
	s_cbranch_execz .LBB161_34
.LBB161_45:                             ;   in Loop: Header=BB161_3 Depth=1
	v_add_nc_u64_e32 v[4:5], v[50:51], v[28:29]
	v_add_nc_u64_e32 v[6:7], v[52:53], v[28:29]
	global_load_b32 v21, v[4:5], off
	global_load_b32 v13, v[6:7], off
	s_wait_xcnt 0x0
	s_or_b32 exec_lo, exec_lo, s18
	s_and_saveexec_b32 s18, s2
	s_cbranch_execz .LBB161_35
.LBB161_46:                             ;   in Loop: Header=BB161_3 Depth=1
	v_add_nc_u64_e32 v[4:5], v[46:47], v[28:29]
	v_add_nc_u64_e32 v[6:7], v[48:49], v[28:29]
	global_load_b32 v22, v[4:5], off
	global_load_b32 v14, v[6:7], off
	s_wait_xcnt 0x0
	s_or_b32 exec_lo, exec_lo, s18
	s_and_saveexec_b32 s18, s2
	s_cbranch_execz .LBB161_36
.LBB161_47:                             ;   in Loop: Header=BB161_3 Depth=1
	v_add_nc_u64_e32 v[4:5], v[42:43], v[28:29]
	v_add_nc_u64_e32 v[6:7], v[44:45], v[28:29]
	global_load_b32 v23, v[4:5], off
	global_load_b32 v15, v[6:7], off
	s_wait_xcnt 0x0
	s_or_b32 exec_lo, exec_lo, s18
	s_and_saveexec_b32 s18, s2
	s_cbranch_execz .LBB161_37
.LBB161_48:                             ;   in Loop: Header=BB161_3 Depth=1
	v_add_nc_u64_e32 v[4:5], v[38:39], v[28:29]
	v_add_nc_u64_e32 v[6:7], v[40:41], v[28:29]
	global_load_b32 v24, v[4:5], off
	global_load_b32 v16, v[6:7], off
	s_wait_xcnt 0x0
	s_or_b32 exec_lo, exec_lo, s18
	s_and_saveexec_b32 s18, s2
	s_cbranch_execnz .LBB161_38
	s_branch .LBB161_39
.LBB161_49:
                                        ; implicit-def: $vgpr3
	s_branch .LBB161_51
.LBB161_50:
	s_cbranch_execnz .LBB161_83
.LBB161_51:
	v_mov_b32_e32 v3, 0
	s_and_not1_b32 vcc_lo, exec_lo, s13
	s_cbranch_vccnz .LBB161_83
; %bb.52:
	v_bfe_u32 v1, v0, 10, 10
	v_mov_b32_e32 v2, 0
	v_and_b32_e32 v92, 0x3ff, v0
	s_load_b32 s2, s[0:1], 0x44
	s_mov_b64 s[20:21], 0xffffffffffffff03
	s_delay_alu instid0(VALU_DEP_2) | instskip(SKIP_3) | instid1(VALU_DEP_2)
	v_dual_mov_b32 v5, v2 :: v_dual_lshlrev_b32 v4, 5, v1
	v_dual_mov_b32 v27, v2 :: v_dual_lshlrev_b32 v26, 3, v1
	s_mov_b64 s[22:23], 0xffffffffffffff04
	s_mov_b64 s[24:25], 0xffffffffffffff05
	v_lshl_add_u64 v[6:7], s[16:17], 2, v[4:5]
	s_mov_b64 s[26:27], 0xffffffffffffff06
	s_mov_b64 s[28:29], 0xffffffffffffff07
	;; [unrolled: 1-line block ×3, first 2 shown]
	s_add_nc_u64 s[34:35], s[0:1], 64
	v_add_nc_u64_e32 v[14:15], 8, v[6:7]
	v_add_nc_u64_e32 v[16:17], 12, v[6:7]
	;; [unrolled: 1-line block ×7, first 2 shown]
	v_mad_nc_u64_u32 v[30:31], s6, v14, s[8:9]
	v_mul_lo_u32 v25, s6, v15
	v_mul_lo_u32 v52, s7, v14
	v_mad_nc_u64_u32 v[32:33], s6, v16, s[8:9]
	v_mul_lo_u32 v53, s6, v17
	v_mul_lo_u32 v54, s7, v16
	;; [unrolled: 3-line block ×3, first 2 shown]
	v_mad_nc_u64_u32 v[40:41], s6, v14, s[10:11]
	v_mad_nc_u64_u32 v[42:43], s6, v16, s[10:11]
	;; [unrolled: 1-line block ×4, first 2 shown]
	v_add3_u32 v31, v52, v31, v25
	v_mul_lo_u32 v59, s7, v20
	v_mad_nc_u64_u32 v[50:51], s6, v20, s[10:11]
	v_add3_u32 v33, v54, v33, v53
	v_mul_lo_u32 v20, s7, v6
	v_mad_nc_u64_u32 v[28:29], s6, v12, s[8:9]
	v_add3_u32 v35, v56, v35, v55
	v_add3_u32 v41, v52, v41, v25
	;; [unrolled: 1-line block ×3, first 2 shown]
	v_mad_nc_u64_u32 v[52:53], s6, v6, s[8:9]
	v_add3_u32 v47, v56, v47, v55
	v_mad_nc_u64_u32 v[54:55], s6, v6, s[10:11]
	v_add_nc_u32_e32 v6, s3, v92
	v_add_nc_u64_e32 v[4:5], s[16:17], v[26:27]
	v_mul_lo_u32 v3, s6, v13
	v_mul_lo_u32 v24, s7, v12
	v_mad_nc_u64_u32 v[38:39], s6, v12, s[10:11]
	v_mad_nc_u64_u32 v[36:37], s6, v10, s[8:9]
	v_mul_lo_u32 v57, s6, v11
	v_mul_lo_u32 v58, s7, v10
	v_add_nc_u64_e32 v[12:13], 7, v[4:5]
	v_add_nc_u64_e32 v[14:15], 6, v[4:5]
	v_mul_u64_e32 v[8:9], s[6:7], v[4:5]
	v_add_nc_u64_e32 v[16:17], 5, v[4:5]
	v_add_nc_u64_e32 v[22:23], 4, v[4:5]
	;; [unrolled: 1-line block ×4, first 2 shown]
	v_mul_u64_e32 v[12:13], s[6:7], v[12:13]
	v_mul_u64_e32 v[14:15], s[6:7], v[14:15]
	v_mad_nc_u64_u32 v[48:49], s6, v10, s[10:11]
	v_mul_u64_e32 v[16:17], s[6:7], v[16:17]
	v_mul_u64_e32 v[22:23], s[6:7], v[22:23]
	;; [unrolled: 1-line block ×4, first 2 shown]
	v_add3_u32 v29, v24, v29, v3
	v_add3_u32 v39, v24, v39, v3
	v_mul_lo_u32 v3, s6, v7
	v_dual_mov_b32 v7, v2 :: v_dual_mov_b32 v93, 0
	v_add3_u32 v37, v58, v37, v57
	v_add3_u32 v49, v58, v49, v57
	v_mul_lo_u32 v21, s6, v21
	s_delay_alu instid0(VALU_DEP_4)
	v_lshlrev_b64_e32 v[56:57], 2, v[6:7]
	s_mov_b32 s3, 0
	s_wait_kmcnt 0x0
	s_lshl_b32 s18, s2, 8
	s_mov_b32 s19, s3
	s_add_nc_u64 s[38:39], s[16:17], 0xff
	v_add3_u32 v53, v20, v53, v3
	v_add3_u32 v55, v20, v55, v3
	s_mul_u64 s[36:37], s[6:7], s[18:19]
	s_delay_alu instid0(SALU_CYCLE_1)
	s_lshl_b64 s[36:37], s[36:37], 2
	v_add3_u32 v45, v59, v45, v21
	v_add3_u32 v51, v59, v51, v21
	v_lshlrev_b64_e32 v[18:19], 2, v[8:9]
	v_add_nc_u64_e32 v[8:9], s[6:7], v[8:9]
	v_lshlrev_b64_e32 v[12:13], 2, v[12:13]
	v_lshlrev_b64_e32 v[6:7], 2, v[14:15]
	s_delay_alu instid0(VALU_DEP_4) | instskip(NEXT) | instid1(VALU_DEP_4)
	v_add_nc_u64_e32 v[58:59], s[8:9], v[18:19]
	v_lshlrev_b64_e32 v[8:9], 2, v[8:9]
	v_lshlrev_b64_e32 v[14:15], 2, v[22:23]
	v_add_nc_u64_e32 v[60:61], s[10:11], v[18:19]
	v_lshlrev_b64_e32 v[4:5], 2, v[4:5]
	v_add_nc_u64_e32 v[62:63], s[8:9], v[12:13]
	v_add_nc_u64_e32 v[64:65], s[10:11], v[12:13]
	v_lshlrev_b64_e32 v[12:13], 2, v[16:17]
	v_add_nc_u64_e32 v[66:67], s[8:9], v[6:7]
	;; [unrolled: 3-line block ×3, first 2 shown]
	v_add_nc_u64_e32 v[76:77], s[10:11], v[14:15]
	v_add_nc_u64_e32 v[82:83], s[8:9], v[4:5]
	;; [unrolled: 1-line block ×9, first 2 shown]
	s_mov_b64 s[8:9], 0xffffffffffffff01
	s_mov_b64 s[10:11], 0xffffffffffffff02
.LBB161_53:                             ; =>This Inner Loop Header: Depth=1
	v_cmp_ge_i64_e64 s2, s[38:39], s[4:5]
	v_add_nc_u64_e32 v[90:91], s[38:39], v[26:27]
                                        ; implicit-def: $vgpr3
	s_and_b32 vcc_lo, exec_lo, s2
	s_mov_b32 s2, -1
	s_cbranch_vccz .LBB161_75
; %bb.54:                               ;   in Loop: Header=BB161_53 Depth=1
	s_load_b32 s2, s[34:35], 0xc
	v_mov_b32_e32 v94, 0
	s_wait_kmcnt 0x0
	s_and_b32 s2, s2, 0xffff
	s_delay_alu instid0(SALU_CYCLE_1) | instskip(SKIP_1) | instid1(VALU_DEP_1)
	v_mad_u32_u24 v3, v1, s2, v92
	s_mov_b32 s2, exec_lo
	v_and_b32_e32 v4, 31, v3
	s_delay_alu instid0(VALU_DEP_1)
	v_cmpx_gt_u32_e32 8, v4
	s_cbranch_execz .LBB161_58
; %bb.55:                               ;   in Loop: Header=BB161_53 Depth=1
	v_dual_mov_b32 v5, v2 :: v_dual_mov_b32 v94, 0
	s_mov_b32 s13, exec_lo
	s_delay_alu instid0(VALU_DEP_1) | instskip(NEXT) | instid1(VALU_DEP_1)
	v_add_nc_u64_e32 v[4:5], v[90:91], v[4:5]
	v_add_nc_u64_e32 v[4:5], s[8:9], v[4:5]
	s_delay_alu instid0(VALU_DEP_1)
	v_cmpx_gt_i64_e64 s[4:5], v[4:5]
	s_cbranch_execz .LBB161_57
; %bb.56:                               ;   in Loop: Header=BB161_53 Depth=1
	v_lshl_add_u64 v[4:5], v[4:5], 2, s[14:15]
	global_load_b32 v94, v[4:5], off
.LBB161_57:                             ;   in Loop: Header=BB161_53 Depth=1
	s_wait_xcnt 0x0
	s_or_b32 exec_lo, exec_lo, s13
.LBB161_58:                             ;   in Loop: Header=BB161_53 Depth=1
	s_delay_alu instid0(SALU_CYCLE_1)
	s_or_b32 exec_lo, exec_lo, s2
	v_add_nc_u64_e32 v[10:11], s[8:9], v[90:91]
	v_dual_mov_b32 v7, v2 :: v_dual_mov_b32 v8, v2
	v_dual_mov_b32 v9, v2 :: v_dual_mov_b32 v3, v2
	;; [unrolled: 1-line block ×3, first 2 shown]
	v_mov_b32_e32 v6, v2
	v_cmp_gt_i64_e32 vcc_lo, s[4:5], v[10:11]
	s_delay_alu instid0(VALU_DEP_4)
	v_mov_b64_e32 v[16:17], v[8:9]
	v_mov_b64_e32 v[24:25], v[8:9]
	;; [unrolled: 1-line block ×8, first 2 shown]
	s_and_saveexec_b32 s2, vcc_lo
	s_cbranch_execz .LBB161_60
; %bb.59:                               ;   in Loop: Header=BB161_53 Depth=1
	v_add_nc_u64_e32 v[4:5], v[58:59], v[56:57]
	v_add_nc_u64_e32 v[6:7], v[60:61], v[56:57]
	v_dual_mov_b32 v19, v2 :: v_dual_mov_b32 v20, v2
	v_dual_mov_b32 v21, v2 :: v_dual_mov_b32 v22, v2
	;; [unrolled: 1-line block ×3, first 2 shown]
	global_load_b32 v18, v[4:5], off
	global_load_b32 v10, v[6:7], off
	v_dual_mov_b32 v25, v2 :: v_dual_mov_b32 v11, v2
	v_dual_mov_b32 v12, v2 :: v_dual_mov_b32 v13, v2
	;; [unrolled: 1-line block ×4, first 2 shown]
.LBB161_60:                             ;   in Loop: Header=BB161_53 Depth=1
	s_wait_xcnt 0x0
	s_or_b32 exec_lo, exec_lo, s2
	v_add_nc_u64_e32 v[4:5], s[10:11], v[90:91]
	s_mov_b32 s2, exec_lo
	s_delay_alu instid0(VALU_DEP_1)
	v_cmpx_gt_i64_e64 s[4:5], v[4:5]
	s_cbranch_execz .LBB161_62
; %bb.61:                               ;   in Loop: Header=BB161_53 Depth=1
	v_add_nc_u64_e32 v[4:5], v[86:87], v[56:57]
	v_add_nc_u64_e32 v[6:7], v[88:89], v[56:57]
	global_load_b32 v19, v[4:5], off
	global_load_b32 v11, v[6:7], off
.LBB161_62:                             ;   in Loop: Header=BB161_53 Depth=1
	s_wait_xcnt 0x0
	s_or_b32 exec_lo, exec_lo, s2
	v_add_nc_u64_e32 v[4:5], s[20:21], v[90:91]
	s_mov_b32 s2, exec_lo
	s_delay_alu instid0(VALU_DEP_1)
	v_cmpx_gt_i64_e64 s[4:5], v[4:5]
	s_cbranch_execz .LBB161_64
; %bb.63:                               ;   in Loop: Header=BB161_53 Depth=1
	v_add_nc_u64_e32 v[4:5], v[82:83], v[56:57]
	v_add_nc_u64_e32 v[6:7], v[84:85], v[56:57]
	global_load_b32 v20, v[4:5], off
	global_load_b32 v12, v[6:7], off
.LBB161_64:                             ;   in Loop: Header=BB161_53 Depth=1
	;; [unrolled: 13-line block ×7, first 2 shown]
	s_wait_xcnt 0x0
	s_or_b32 exec_lo, exec_lo, s2
	s_wait_loadcnt 0x0
	ds_bpermute_b32 v4, v2, v94
	ds_bpermute_b32 v5, v2, v94 offset:4
	ds_bpermute_b32 v6, v2, v94 offset:8
	;; [unrolled: 1-line block ×3, first 2 shown]
	v_pk_mul_f32 v[8:9], v[10:11], v[18:19]
	ds_bpermute_b32 v10, v2, v94 offset:16
	ds_bpermute_b32 v11, v2, v94 offset:20
	s_mov_b32 s2, 0
	s_wait_dscnt 0x4
	v_pk_mul_f32 v[4:5], v[8:9], v[4:5]
	v_pk_mul_f32 v[8:9], v[12:13], v[20:21]
	s_delay_alu instid0(VALU_DEP_2)
	v_add_f32_e32 v3, v93, v4
	ds_bpermute_b32 v4, v2, v94 offset:24
	s_wait_dscnt 0x3
	v_pk_mul_f32 v[6:7], v[8:9], v[6:7]
	v_pk_mul_f32 v[8:9], v[14:15], v[22:23]
	v_add_f32_e32 v3, v3, v5
	ds_bpermute_b32 v5, v2, v94 offset:28
	s_wait_dscnt 0x2
	v_pk_mul_f32 v[8:9], v[8:9], v[10:11]
	v_add_f32_e32 v3, v3, v6
	s_delay_alu instid0(VALU_DEP_1) | instskip(SKIP_1) | instid1(VALU_DEP_2)
	v_add_f32_e32 v3, v3, v7
	v_pk_mul_f32 v[6:7], v[16:17], v[24:25]
	v_add_f32_e32 v3, v3, v8
	s_delay_alu instid0(VALU_DEP_1) | instskip(SKIP_1) | instid1(VALU_DEP_3)
	v_add_f32_e32 v3, v3, v9
	s_wait_dscnt 0x0
	v_pk_mul_f32 v[4:5], v[6:7], v[4:5]
	s_delay_alu instid0(VALU_DEP_1) | instskip(NEXT) | instid1(VALU_DEP_1)
	v_add_f32_e32 v3, v3, v4
	v_add_f32_e32 v3, v3, v5
.LBB161_75:                             ;   in Loop: Header=BB161_53 Depth=1
	s_and_b32 vcc_lo, exec_lo, s2
	s_cbranch_vccz .LBB161_81
; %bb.76:                               ;   in Loop: Header=BB161_53 Depth=1
	s_load_b32 s2, s[34:35], 0x0
	s_wait_kmcnt 0x0
	s_cmp_lt_u32 s12, s2
	s_cselect_b32 s2, 12, 18
	s_delay_alu instid0(SALU_CYCLE_1) | instskip(SKIP_4) | instid1(VALU_DEP_1)
	s_add_nc_u64 s[40:41], s[34:35], s[2:3]
	s_load_u16 s2, s[40:41], 0x0
	s_wait_kmcnt 0x0
	v_mad_u32_u24 v3, v1, s2, v92
	s_mov_b32 s2, exec_lo
	v_dual_mov_b32 v3, 0 :: v_dual_bitop2_b32 v4, 31, v3 bitop3:0x40
	s_delay_alu instid0(VALU_DEP_1)
	v_cmpx_gt_u32_e32 8, v4
	s_cbranch_execz .LBB161_80
; %bb.77:                               ;   in Loop: Header=BB161_53 Depth=1
	v_dual_mov_b32 v5, v2 :: v_dual_mov_b32 v3, 0
	s_mov_b32 s13, exec_lo
	s_delay_alu instid0(VALU_DEP_1) | instskip(NEXT) | instid1(VALU_DEP_1)
	v_add_nc_u64_e32 v[4:5], v[90:91], v[4:5]
	v_add_nc_u64_e32 v[4:5], s[8:9], v[4:5]
	s_delay_alu instid0(VALU_DEP_1)
	v_cmpx_gt_i64_e64 s[4:5], v[4:5]
	s_cbranch_execz .LBB161_79
; %bb.78:                               ;   in Loop: Header=BB161_53 Depth=1
	v_lshl_add_u64 v[4:5], v[4:5], 2, s[14:15]
	global_load_b32 v3, v[4:5], off
.LBB161_79:                             ;   in Loop: Header=BB161_53 Depth=1
	s_wait_xcnt 0x0
	s_or_b32 exec_lo, exec_lo, s13
.LBB161_80:                             ;   in Loop: Header=BB161_53 Depth=1
	s_delay_alu instid0(SALU_CYCLE_1)
	s_or_b32 exec_lo, exec_lo, s2
	v_add_nc_u64_e32 v[4:5], v[58:59], v[56:57]
	v_add_nc_u64_e32 v[6:7], v[60:61], v[56:57]
	;; [unrolled: 1-line block ×7, first 2 shown]
	global_load_b32 v4, v[4:5], off
	global_load_b32 v6, v[6:7], off
	;; [unrolled: 1-line block ×4, first 2 shown]
	s_wait_xcnt 0x1
	v_add_nc_u64_e32 v[8:9], v[30:31], v[56:57]
	s_wait_xcnt 0x0
	v_add_nc_u64_e32 v[10:11], v[40:41], v[56:57]
	v_add_nc_u64_e32 v[18:19], v[48:49], v[56:57]
	;; [unrolled: 1-line block ×4, first 2 shown]
	global_load_b32 v8, v[8:9], off
	global_load_b32 v10, v[10:11], off
	;; [unrolled: 1-line block ×4, first 2 shown]
	s_wait_xcnt 0x1
	v_add_nc_u64_e32 v[12:13], v[46:47], v[56:57]
	s_wait_xcnt 0x0
	v_add_nc_u64_e32 v[14:15], v[36:37], v[56:57]
	global_load_b32 v16, v[16:17], off
	global_load_b32 v12, v[12:13], off
	;; [unrolled: 1-line block ×4, first 2 shown]
	s_wait_xcnt 0x1
	v_add_nc_u64_e32 v[14:15], v[44:45], v[56:57]
	s_wait_xcnt 0x0
	v_add_nc_u64_e32 v[18:19], v[50:51], v[56:57]
	global_load_b32 v14, v[14:15], off
	global_load_b32 v18, v[18:19], off
	;; [unrolled: 1-line block ×4, first 2 shown]
	s_wait_loadcnt 0x10
	s_wait_xcnt 0x1
	ds_bpermute_b32 v20, v2, v3
	ds_bpermute_b32 v21, v2, v3 offset:4
	s_wait_xcnt 0x0
	ds_bpermute_b32 v22, v2, v3 offset:8
	ds_bpermute_b32 v23, v2, v3 offset:12
	s_wait_loadcnt 0xc
	v_pk_mul_f32 v[4:5], v[4:5], v[6:7]
	ds_bpermute_b32 v6, v2, v3 offset:16
	ds_bpermute_b32 v7, v2, v3 offset:20
	s_wait_dscnt 0x4
	v_pk_mul_f32 v[4:5], v[4:5], v[20:21]
	s_wait_loadcnt 0x8
	v_pk_mul_f32 v[8:9], v[8:9], v[10:11]
	s_wait_dscnt 0x2
	s_delay_alu instid0(VALU_DEP_1)
	v_pk_mul_f32 v[8:9], v[8:9], v[22:23]
	v_add_f32_e32 v10, v93, v4
	ds_bpermute_b32 v4, v2, v3 offset:24
	v_add_f32_e32 v20, v10, v5
	ds_bpermute_b32 v5, v2, v3 offset:28
	s_wait_loadcnt 0x4
	v_pk_mul_f32 v[10:11], v[16:17], v[12:13]
	v_add_f32_e32 v3, v20, v8
	s_wait_dscnt 0x2
	s_delay_alu instid0(VALU_DEP_2) | instskip(NEXT) | instid1(VALU_DEP_2)
	v_pk_mul_f32 v[6:7], v[10:11], v[6:7]
	v_add_f32_e32 v3, v3, v9
	s_wait_loadcnt 0x0
	v_pk_mul_f32 v[8:9], v[14:15], v[18:19]
	s_delay_alu instid0(VALU_DEP_2) | instskip(NEXT) | instid1(VALU_DEP_1)
	v_add_f32_e32 v3, v3, v6
	v_add_f32_e32 v3, v3, v7
	s_wait_dscnt 0x0
	s_delay_alu instid0(VALU_DEP_3) | instskip(NEXT) | instid1(VALU_DEP_1)
	v_pk_mul_f32 v[4:5], v[8:9], v[4:5]
	v_add_f32_e32 v3, v3, v4
	s_delay_alu instid0(VALU_DEP_1)
	v_add_f32_e32 v3, v3, v5
.LBB161_81:                             ;   in Loop: Header=BB161_53 Depth=1
	s_add_nc_u64 s[16:17], s[16:17], s[18:19]
	v_add_nc_u64_e32 v[58:59], s[36:37], v[58:59]
	v_cmp_ge_i64_e64 s2, s[16:17], s[4:5]
	v_add_nc_u64_e32 v[60:61], s[36:37], v[60:61]
	v_add_nc_u64_e32 v[28:29], s[36:37], v[28:29]
	;; [unrolled: 1-line block ×29, first 2 shown]
	s_and_b32 vcc_lo, exec_lo, s2
	s_add_nc_u64 s[38:39], s[38:39], s[18:19]
	s_cbranch_vccnz .LBB161_83
; %bb.82:                               ;   in Loop: Header=BB161_53 Depth=1
	v_mov_b32_e32 v93, v3
	s_branch .LBB161_53
.LBB161_83:
	v_and_b32_e32 v2, 0x3ff, v0
	v_bfe_u32 v1, v0, 10, 10
	v_bfe_u32 v0, v0, 5, 5
	s_mov_b32 s13, 0
	s_mov_b32 s2, exec_lo
	s_delay_alu instid0(VALU_DEP_2) | instskip(NEXT) | instid1(VALU_DEP_2)
	v_mad_u32_u24 v4, v1, 33, v2
	v_add_nc_u32_e32 v0, v0, v1
	s_delay_alu instid0(VALU_DEP_2)
	v_lshl_add_u32 v1, v4, 2, 0
	v_mov_b32_e32 v4, 0
	ds_store_b32 v1, v3
	ds_store_b32 v1, v4 offset:4224
	s_wait_dscnt 0x0
	s_barrier_signal -1
	s_barrier_wait -1
	v_cmpx_gt_u32_e32 32, v0
	s_cbranch_execz .LBB161_86
; %bb.84:
	v_dual_lshlrev_b32 v3, 2, v0 :: v_dual_bitop2_b32 v1, 31, v2 bitop3:0x40
	s_load_b64 s[2:3], s[0:1], 0x30
	s_wait_xcnt 0x0
	s_lshl_b64 s[0:1], s[12:13], 5
	s_delay_alu instid0(VALU_DEP_1) | instskip(SKIP_2) | instid1(VALU_DEP_3)
	v_mul_u32_u24_e32 v1, 0x84, v1
	v_or_b32_e32 v0, s0, v0
	v_cmp_eq_u32_e64 s0, 0, v2
	v_add3_u32 v1, 0, v3, v1
	v_mbcnt_lo_u32_b32 v3, -1, 0
	ds_load_b32 v1, v1
	v_xor_b32_e32 v5, 8, v3
	v_xor_b32_e32 v4, 16, v3
	s_delay_alu instid0(VALU_DEP_1)
	v_cmp_gt_i32_e32 vcc_lo, 32, v4
	s_wait_kmcnt 0x0
	s_cmp_lg_u64 s[2:3], 0
	v_cndmask_b32_e32 v4, v3, v4, vcc_lo
	v_cmp_gt_i32_e32 vcc_lo, 32, v5
	v_cndmask_b32_e32 v5, v3, v5, vcc_lo
	s_delay_alu instid0(VALU_DEP_1)
	v_dual_lshlrev_b32 v5, 2, v5 :: v_dual_lshlrev_b32 v4, 2, v4
	s_wait_dscnt 0x0
	ds_bpermute_b32 v4, v4, v1
	s_wait_dscnt 0x0
	v_add_f32_e32 v1, v1, v4
	ds_bpermute_b32 v4, v5, v1
	v_xor_b32_e32 v5, 4, v3
	s_delay_alu instid0(VALU_DEP_1) | instskip(SKIP_2) | instid1(VALU_DEP_1)
	v_cmp_gt_i32_e32 vcc_lo, 32, v5
	s_wait_dscnt 0x0
	v_dual_cndmask_b32 v5, v3, v5, vcc_lo :: v_dual_add_f32 v1, v1, v4
	v_lshlrev_b32_e32 v5, 2, v5
	ds_bpermute_b32 v4, v5, v1
	s_wait_dscnt 0x0
	v_dual_add_f32 v1, v1, v4 :: v_dual_bitop2_b32 v5, 2, v3 bitop3:0x14
	s_delay_alu instid0(VALU_DEP_1) | instskip(SKIP_1) | instid1(VALU_DEP_1)
	v_cmp_gt_i32_e32 vcc_lo, 32, v5
	v_cndmask_b32_e32 v5, v3, v5, vcc_lo
	v_lshlrev_b32_e32 v5, 2, v5
	ds_bpermute_b32 v4, v5, v1
	v_xor_b32_e32 v5, 1, v3
	s_delay_alu instid0(VALU_DEP_1) | instskip(SKIP_2) | instid1(VALU_DEP_1)
	v_cmp_gt_i32_e32 vcc_lo, 32, v5
	s_wait_dscnt 0x0
	v_dual_cndmask_b32 v5, v3, v5, vcc_lo :: v_dual_add_f32 v3, v1, v4
	v_lshlrev_b32_e32 v1, 2, v5
	ds_bpermute_b32 v4, v1, v3
	v_mov_b32_e32 v1, s1
	s_cselect_b32 s1, -1, 0
	s_delay_alu instid0(VALU_DEP_1) | instskip(SKIP_1) | instid1(SALU_CYCLE_1)
	v_cmp_gt_i64_e32 vcc_lo, s[6:7], v[0:1]
	s_and_b32 s0, s0, vcc_lo
	s_and_b32 s0, s1, s0
	s_delay_alu instid0(SALU_CYCLE_1)
	s_and_b32 exec_lo, exec_lo, s0
	s_cbranch_execz .LBB161_86
; %bb.85:
	s_wait_dscnt 0x0
	v_add_f32_e32 v2, v3, v4
	v_lshl_add_u64 v[0:1], v[0:1], 2, s[2:3]
	global_store_b32 v[0:1], v2, off
.LBB161_86:
	s_sendmsg sendmsg(MSG_DEALLOC_VGPRS)
	s_endpgm
	.section	.rodata,"a",@progbits
	.p2align	6, 0x0
	.amdhsa_kernel _ZN2at6native12_GLOBAL__N_135GammaBetaBackwardCUDAKernelTemplateIffLj32ELj32ELj256ELb0ELb0ELb1EEEvllPKT_S5_PKT0_S8_PS3_S9_
		.amdhsa_group_segment_fixed_size 0
		.amdhsa_private_segment_fixed_size 0
		.amdhsa_kernarg_size 320
		.amdhsa_user_sgpr_count 2
		.amdhsa_user_sgpr_dispatch_ptr 0
		.amdhsa_user_sgpr_queue_ptr 0
		.amdhsa_user_sgpr_kernarg_segment_ptr 1
		.amdhsa_user_sgpr_dispatch_id 0
		.amdhsa_user_sgpr_kernarg_preload_length 0
		.amdhsa_user_sgpr_kernarg_preload_offset 0
		.amdhsa_user_sgpr_private_segment_size 0
		.amdhsa_wavefront_size32 1
		.amdhsa_uses_dynamic_stack 0
		.amdhsa_enable_private_segment 0
		.amdhsa_system_sgpr_workgroup_id_x 1
		.amdhsa_system_sgpr_workgroup_id_y 1
		.amdhsa_system_sgpr_workgroup_id_z 0
		.amdhsa_system_sgpr_workgroup_info 0
		.amdhsa_system_vgpr_workitem_id 1
		.amdhsa_next_free_vgpr 95
		.amdhsa_next_free_sgpr 50
		.amdhsa_named_barrier_count 0
		.amdhsa_reserve_vcc 1
		.amdhsa_float_round_mode_32 0
		.amdhsa_float_round_mode_16_64 0
		.amdhsa_float_denorm_mode_32 3
		.amdhsa_float_denorm_mode_16_64 3
		.amdhsa_fp16_overflow 0
		.amdhsa_memory_ordered 1
		.amdhsa_forward_progress 1
		.amdhsa_inst_pref_size 44
		.amdhsa_round_robin_scheduling 0
		.amdhsa_exception_fp_ieee_invalid_op 0
		.amdhsa_exception_fp_denorm_src 0
		.amdhsa_exception_fp_ieee_div_zero 0
		.amdhsa_exception_fp_ieee_overflow 0
		.amdhsa_exception_fp_ieee_underflow 0
		.amdhsa_exception_fp_ieee_inexact 0
		.amdhsa_exception_int_div_zero 0
	.end_amdhsa_kernel
	.section	.text._ZN2at6native12_GLOBAL__N_135GammaBetaBackwardCUDAKernelTemplateIffLj32ELj32ELj256ELb0ELb0ELb1EEEvllPKT_S5_PKT0_S8_PS3_S9_,"axG",@progbits,_ZN2at6native12_GLOBAL__N_135GammaBetaBackwardCUDAKernelTemplateIffLj32ELj32ELj256ELb0ELb0ELb1EEEvllPKT_S5_PKT0_S8_PS3_S9_,comdat
.Lfunc_end161:
	.size	_ZN2at6native12_GLOBAL__N_135GammaBetaBackwardCUDAKernelTemplateIffLj32ELj32ELj256ELb0ELb0ELb1EEEvllPKT_S5_PKT0_S8_PS3_S9_, .Lfunc_end161-_ZN2at6native12_GLOBAL__N_135GammaBetaBackwardCUDAKernelTemplateIffLj32ELj32ELj256ELb0ELb0ELb1EEEvllPKT_S5_PKT0_S8_PS3_S9_
                                        ; -- End function
	.set _ZN2at6native12_GLOBAL__N_135GammaBetaBackwardCUDAKernelTemplateIffLj32ELj32ELj256ELb0ELb0ELb1EEEvllPKT_S5_PKT0_S8_PS3_S9_.num_vgpr, 95
	.set _ZN2at6native12_GLOBAL__N_135GammaBetaBackwardCUDAKernelTemplateIffLj32ELj32ELj256ELb0ELb0ELb1EEEvllPKT_S5_PKT0_S8_PS3_S9_.num_agpr, 0
	.set _ZN2at6native12_GLOBAL__N_135GammaBetaBackwardCUDAKernelTemplateIffLj32ELj32ELj256ELb0ELb0ELb1EEEvllPKT_S5_PKT0_S8_PS3_S9_.numbered_sgpr, 50
	.set _ZN2at6native12_GLOBAL__N_135GammaBetaBackwardCUDAKernelTemplateIffLj32ELj32ELj256ELb0ELb0ELb1EEEvllPKT_S5_PKT0_S8_PS3_S9_.num_named_barrier, 0
	.set _ZN2at6native12_GLOBAL__N_135GammaBetaBackwardCUDAKernelTemplateIffLj32ELj32ELj256ELb0ELb0ELb1EEEvllPKT_S5_PKT0_S8_PS3_S9_.private_seg_size, 0
	.set _ZN2at6native12_GLOBAL__N_135GammaBetaBackwardCUDAKernelTemplateIffLj32ELj32ELj256ELb0ELb0ELb1EEEvllPKT_S5_PKT0_S8_PS3_S9_.uses_vcc, 1
	.set _ZN2at6native12_GLOBAL__N_135GammaBetaBackwardCUDAKernelTemplateIffLj32ELj32ELj256ELb0ELb0ELb1EEEvllPKT_S5_PKT0_S8_PS3_S9_.uses_flat_scratch, 0
	.set _ZN2at6native12_GLOBAL__N_135GammaBetaBackwardCUDAKernelTemplateIffLj32ELj32ELj256ELb0ELb0ELb1EEEvllPKT_S5_PKT0_S8_PS3_S9_.has_dyn_sized_stack, 0
	.set _ZN2at6native12_GLOBAL__N_135GammaBetaBackwardCUDAKernelTemplateIffLj32ELj32ELj256ELb0ELb0ELb1EEEvllPKT_S5_PKT0_S8_PS3_S9_.has_recursion, 0
	.set _ZN2at6native12_GLOBAL__N_135GammaBetaBackwardCUDAKernelTemplateIffLj32ELj32ELj256ELb0ELb0ELb1EEEvllPKT_S5_PKT0_S8_PS3_S9_.has_indirect_call, 0
	.section	.AMDGPU.csdata,"",@progbits
; Kernel info:
; codeLenInByte = 5540
; TotalNumSgprs: 52
; NumVgprs: 95
; ScratchSize: 0
; MemoryBound: 0
; FloatMode: 240
; IeeeMode: 1
; LDSByteSize: 0 bytes/workgroup (compile time only)
; SGPRBlocks: 0
; VGPRBlocks: 5
; NumSGPRsForWavesPerEU: 52
; NumVGPRsForWavesPerEU: 95
; NamedBarCnt: 0
; Occupancy: 10
; WaveLimiterHint : 0
; COMPUTE_PGM_RSRC2:SCRATCH_EN: 0
; COMPUTE_PGM_RSRC2:USER_SGPR: 2
; COMPUTE_PGM_RSRC2:TRAP_HANDLER: 0
; COMPUTE_PGM_RSRC2:TGID_X_EN: 1
; COMPUTE_PGM_RSRC2:TGID_Y_EN: 1
; COMPUTE_PGM_RSRC2:TGID_Z_EN: 0
; COMPUTE_PGM_RSRC2:TIDIG_COMP_CNT: 1
	.section	.text._ZN2at6native12_GLOBAL__N_118cuComputeGradInputIN3c104HalfEfLb1EEEvPKT_S7_llPKT0_SA_S7_PS5_,"axG",@progbits,_ZN2at6native12_GLOBAL__N_118cuComputeGradInputIN3c104HalfEfLb1EEEvPKT_S7_llPKT0_SA_S7_PS5_,comdat
	.globl	_ZN2at6native12_GLOBAL__N_118cuComputeGradInputIN3c104HalfEfLb1EEEvPKT_S7_llPKT0_SA_S7_PS5_ ; -- Begin function _ZN2at6native12_GLOBAL__N_118cuComputeGradInputIN3c104HalfEfLb1EEEvPKT_S7_llPKT0_SA_S7_PS5_
	.p2align	8
	.type	_ZN2at6native12_GLOBAL__N_118cuComputeGradInputIN3c104HalfEfLb1EEEvPKT_S7_llPKT0_SA_S7_PS5_,@function
_ZN2at6native12_GLOBAL__N_118cuComputeGradInputIN3c104HalfEfLb1EEEvPKT_S7_llPKT0_SA_S7_PS5_: ; @_ZN2at6native12_GLOBAL__N_118cuComputeGradInputIN3c104HalfEfLb1EEEvPKT_S7_llPKT0_SA_S7_PS5_
; %bb.0:
	s_load_b128 s[8:11], s[0:1], 0x10
	s_bfe_u32 s2, ttmp6, 0x40010
	s_bfe_u32 s3, ttmp6, 0x40004
	s_add_co_i32 s2, s2, 1
	s_getreg_b32 s4, hwreg(HW_REG_IB_STS2, 6, 4)
	s_mul_i32 s2, ttmp7, s2
	s_delay_alu instid0(SALU_CYCLE_1) | instskip(SKIP_2) | instid1(SALU_CYCLE_1)
	s_add_co_i32 s3, s3, s2
	s_cmp_eq_u32 s4, 0
	s_cselect_b32 s6, ttmp7, s3
	s_ashr_i32 s7, s6, 31
	s_wait_kmcnt 0x0
	v_cmp_le_i64_e64 s2, s[8:9], s[6:7]
	s_and_b32 vcc_lo, exec_lo, s2
	s_cbranch_vccnz .LBB162_47
; %bb.1:
	s_clause 0x2
	s_load_b32 s2, s[0:1], 0x4c
	s_load_b128 s[12:15], s[0:1], 0x30
	s_load_b32 s30, s[0:1], 0x44
	s_cls_i32 s3, s11
	v_and_b32_e32 v12, 0x3ff, v0
	v_bfe_u32 v13, v0, 10, 10
	s_clause 0x1
	s_load_b128 s[16:19], s[0:1], 0x0
	s_load_b64 s[20:21], s[0:1], 0x28
	v_cmp_gt_i64_e64 s37, s[10:11], 0
	v_mbcnt_lo_u32_b32 v15, -1, 0
	v_lshlrev_b32_e32 v8, 3, v12
	s_wait_xcnt 0x0
	v_cmp_eq_u32_e64 s0, 0, v13
	v_cmp_ne_u32_e64 s1, 0, v13
	v_cndmask_b32_e64 v14, 0, 1, s37
	v_add_nc_u32_e32 v18, 0, v8
	s_wait_kmcnt 0x0
	s_lshr_b32 s31, s2, 16
	s_and_b32 s33, s2, 0xffff
	s_cmp_lg_u64 s[12:13], 0
	v_mad_u32_u24 v0, v13, s33, v12
	s_cselect_b32 s34, -1, 0
	s_cmp_gt_u32 s33, 1
	s_mul_i32 s22, s31, s33
	s_cselect_b32 s35, -1, 0
	s_cmp_gt_u32 s31, 1
	v_lshlrev_b32_e32 v9, 3, v0
	s_cselect_b32 s36, -1, 0
	s_xor_b32 s2, s10, s11
	s_add_co_i32 s3, s3, -1
	s_ashr_i32 s2, s2, 31
	s_ashr_i32 s23, s22, 31
	s_add_co_i32 s2, s2, 32
	v_add_nc_u32_e32 v16, 0, v9
	s_min_u32 s4, s3, s2
	s_delay_alu instid0(SALU_CYCLE_1) | instskip(NEXT) | instid1(SALU_CYCLE_1)
	s_lshl_b64 s[2:3], s[10:11], s4
	s_min_u32 s2, s2, 1
	s_delay_alu instid0(SALU_CYCLE_1) | instskip(SKIP_2) | instid1(SALU_CYCLE_3)
	s_or_b32 s2, s3, s2
	s_sub_co_i32 s3, 32, s4
	s_cvt_f32_i32 s2, s2
	v_ldexp_f32 v2, s2, s3
	s_delay_alu instid0(VALU_DEP_1) | instskip(SKIP_1) | instid1(VALU_DEP_2)
	v_div_scale_f32 v1, null, v2, v2, 1.0
	v_div_scale_f32 v6, vcc_lo, 1.0, v2, 1.0
	v_rcp_f32_e32 v3, v1
	v_xor_b32_e32 v5, 0x80000000, v1
	s_delay_alu instid0(TRANS32_DEP_1) | instid1(VALU_DEP_1)
	v_fma_f32 v1, v5, v3, 1.0
	s_delay_alu instid0(VALU_DEP_1) | instskip(NEXT) | instid1(VALU_DEP_1)
	v_dual_fmac_f32 v3, v1, v3 :: v_dual_mov_b32 v1, 0
	v_mul_f32_e32 v7, v6, v3
	s_delay_alu instid0(VALU_DEP_2) | instskip(NEXT) | instid1(VALU_DEP_2)
	v_cmp_gt_i64_e64 s2, s[10:11], v[0:1]
	v_fma_f32 v4, v5, v7, v6
	s_delay_alu instid0(VALU_DEP_1) | instskip(NEXT) | instid1(VALU_DEP_1)
	v_dual_fmac_f32 v7, v4, v3 :: v_dual_add_nc_u32 v4, s22, v0
	v_dual_fmac_f32 v6, v5, v7 :: v_dual_ashrrev_i32 v5, 31, v4
	s_delay_alu instid0(VALU_DEP_1) | instskip(NEXT) | instid1(VALU_DEP_2)
	v_div_fmas_f32 v3, v6, v3, v7
	v_sub_nc_u64_e64 v[4:5], v[4:5], s[22:23]
	s_delay_alu instid0(VALU_DEP_2)
	v_div_fixup_f32 v17, v3, v2, 1.0
	s_branch .LBB162_4
.LBB162_2:                              ;   in Loop: Header=BB162_4 Depth=1
	s_or_b32 exec_lo, exec_lo, s3
.LBB162_3:                              ;   in Loop: Header=BB162_4 Depth=1
	s_add_co_i32 s6, s30, s6
	s_wait_storecnt_dscnt 0x0
	s_ashr_i32 s7, s6, 31
	s_barrier_signal -1
	v_cmp_le_i64_e64 s3, s[8:9], s[6:7]
	s_barrier_wait -1
	s_and_b32 vcc_lo, exec_lo, s3
	s_cbranch_vccnz .LBB162_47
.LBB162_4:                              ; =>This Loop Header: Depth=1
                                        ;     Child Loop BB162_8 Depth 2
                                        ;     Child Loop BB162_19 Depth 2
	;; [unrolled: 1-line block ×6, first 2 shown]
	s_lshl_b64 s[4:5], s[6:7], 2
	v_cmp_ne_u32_e64 s3, 1, v14
	s_add_nc_u64 s[4:5], s[20:21], s[4:5]
	s_and_not1_b32 vcc_lo, exec_lo, s34
	s_load_b32 s38, s[4:5], 0x0
	s_wait_xcnt 0x0
	s_mul_u64 s[4:5], s[6:7], s[10:11]
                                        ; implicit-def: $vgpr7
	s_delay_alu instid0(SALU_CYCLE_1)
	s_lshl_b64 s[28:29], s[4:5], 1
	s_mov_b32 s4, -1
	s_add_nc_u64 s[24:25], s[18:19], s[28:29]
	s_add_nc_u64 s[26:27], s[16:17], s[28:29]
	s_cbranch_vccnz .LBB162_15
; %bb.5:                                ;   in Loop: Header=BB162_4 Depth=1
	v_mov_b32_e32 v7, 0
	s_and_b32 vcc_lo, exec_lo, s3
	s_cbranch_vccnz .LBB162_14
; %bb.6:                                ;   in Loop: Header=BB162_4 Depth=1
	s_mov_b32 s4, 0
	s_branch .LBB162_8
.LBB162_7:                              ;   in Loop: Header=BB162_8 Depth=2
	s_or_b32 exec_lo, exec_lo, s3
	s_delay_alu instid0(VALU_DEP_1) | instskip(SKIP_1) | instid1(SALU_CYCLE_1)
	v_mul_f32_e32 v3, v3, v10
	s_add_co_i32 s4, s4, s22
	s_ashr_i32 s5, s4, 31
	s_delay_alu instid0(SALU_CYCLE_1) | instskip(NEXT) | instid1(VALU_DEP_2)
	v_cmp_le_i64_e64 s3, s[10:11], s[4:5]
	v_mul_f32_e32 v3, v6, v3
	s_wait_kmcnt 0x0
	s_delay_alu instid0(VALU_DEP_1)
	v_fmac_f32_e32 v7, s38, v3
	s_and_b32 vcc_lo, exec_lo, s3
	s_cbranch_vccnz .LBB162_14
.LBB162_8:                              ;   Parent Loop BB162_4 Depth=1
                                        ; =>  This Inner Loop Header: Depth=2
	v_dual_mov_b32 v3, 0 :: v_dual_add_nc_u32 v8, s4, v0
	s_delay_alu instid0(VALU_DEP_1) | instskip(NEXT) | instid1(VALU_DEP_1)
	v_ashrrev_i32_e32 v9, 31, v8
	v_cmp_gt_i64_e32 vcc_lo, s[10:11], v[8:9]
	s_and_saveexec_b32 s3, vcc_lo
	s_cbranch_execz .LBB162_10
; %bb.9:                                ;   in Loop: Header=BB162_8 Depth=2
	v_lshl_add_u64 v[10:11], v[8:9], 1, s[12:13]
	global_load_u16 v3, v[10:11], off
	s_wait_loadcnt 0x0
	v_cvt_f32_f16_e32 v3, v3
.LBB162_10:                             ;   in Loop: Header=BB162_8 Depth=2
	s_or_b32 exec_lo, exec_lo, s3
	v_dual_mov_b32 v10, 0 :: v_dual_mov_b32 v6, 0
	s_and_saveexec_b32 s3, vcc_lo
	s_cbranch_execz .LBB162_12
; %bb.11:                               ;   in Loop: Header=BB162_8 Depth=2
	v_lshl_add_u64 v[20:21], v[8:9], 1, s[24:25]
	global_load_u16 v6, v[20:21], off
	s_wait_loadcnt 0x0
	v_cvt_f32_f16_e32 v6, v6
.LBB162_12:                             ;   in Loop: Header=BB162_8 Depth=2
	s_or_b32 exec_lo, exec_lo, s3
	s_and_saveexec_b32 s3, vcc_lo
	s_cbranch_execz .LBB162_7
; %bb.13:                               ;   in Loop: Header=BB162_8 Depth=2
	v_lshl_add_u64 v[8:9], v[8:9], 1, s[26:27]
	global_load_u16 v8, v[8:9], off
	s_wait_loadcnt 0x0
	v_cvt_f32_f16_e32 v10, v8
	s_branch .LBB162_7
.LBB162_14:                             ;   in Loop: Header=BB162_4 Depth=1
	s_mov_b32 s4, 0
.LBB162_15:                             ;   in Loop: Header=BB162_4 Depth=1
	s_delay_alu instid0(SALU_CYCLE_1)
	s_and_not1_b32 vcc_lo, exec_lo, s4
	s_cbranch_vccnz .LBB162_23
; %bb.16:                               ;   in Loop: Header=BB162_4 Depth=1
	v_mov_b32_e32 v7, 0
	s_and_not1_b32 vcc_lo, exec_lo, s37
	s_cbranch_vccnz .LBB162_23
; %bb.17:                               ;   in Loop: Header=BB162_4 Depth=1
	s_mov_b32 s4, 0
	s_branch .LBB162_19
.LBB162_18:                             ;   in Loop: Header=BB162_19 Depth=2
	s_or_b32 exec_lo, exec_lo, s3
	s_add_co_i32 s4, s4, s22
	s_delay_alu instid0(VALU_DEP_1) | instskip(SKIP_1) | instid1(SALU_CYCLE_1)
	v_mul_f32_e32 v3, v3, v6
	s_ashr_i32 s5, s4, 31
	v_cmp_le_i64_e64 s3, s[10:11], s[4:5]
	s_wait_kmcnt 0x0
	s_delay_alu instid0(VALU_DEP_2)
	v_fmac_f32_e32 v7, s38, v3
	s_and_b32 vcc_lo, exec_lo, s3
	s_cbranch_vccnz .LBB162_23
.LBB162_19:                             ;   Parent Loop BB162_4 Depth=1
                                        ; =>  This Inner Loop Header: Depth=2
	v_dual_mov_b32 v3, 0 :: v_dual_add_nc_u32 v8, s4, v0
	s_delay_alu instid0(VALU_DEP_1) | instskip(NEXT) | instid1(VALU_DEP_1)
	v_ashrrev_i32_e32 v9, 31, v8
	v_cmp_gt_i64_e32 vcc_lo, s[10:11], v[8:9]
	s_and_saveexec_b32 s3, vcc_lo
	s_cbranch_execz .LBB162_21
; %bb.20:                               ;   in Loop: Header=BB162_19 Depth=2
	v_lshl_add_u64 v[10:11], v[8:9], 1, s[24:25]
	global_load_u16 v3, v[10:11], off
	s_wait_loadcnt 0x0
	v_cvt_f32_f16_e32 v3, v3
.LBB162_21:                             ;   in Loop: Header=BB162_19 Depth=2
	s_or_b32 exec_lo, exec_lo, s3
	v_mov_b32_e32 v6, 0
	s_and_saveexec_b32 s3, vcc_lo
	s_cbranch_execz .LBB162_18
; %bb.22:                               ;   in Loop: Header=BB162_19 Depth=2
	v_lshl_add_u64 v[8:9], v[8:9], 1, s[26:27]
	global_load_u16 v6, v[8:9], off
	s_wait_loadcnt 0x0
	v_cvt_f32_f16_e32 v6, v6
	s_branch .LBB162_18
.LBB162_23:                             ;   in Loop: Header=BB162_4 Depth=1
	s_and_not1_b32 vcc_lo, exec_lo, s35
	s_cbranch_vccnz .LBB162_26
; %bb.24:                               ;   in Loop: Header=BB162_4 Depth=1
	s_mov_b32 s3, s33
.LBB162_25:                             ;   Parent Loop BB162_4 Depth=1
                                        ; =>  This Inner Loop Header: Depth=2
	s_delay_alu instid0(SALU_CYCLE_1) | instskip(SKIP_3) | instid1(VALU_DEP_1)
	s_lshr_b32 s4, s3, 1
	s_cmp_lt_u32 s3, 4
	v_xor_b32_e32 v3, s4, v15
	s_mov_b32 s3, s4
	v_cmp_gt_i32_e32 vcc_lo, 32, v3
	v_cndmask_b32_e32 v3, v15, v3, vcc_lo
	s_delay_alu instid0(VALU_DEP_1)
	v_lshlrev_b32_e32 v3, 2, v3
	ds_bpermute_b32 v3, v3, v7
	s_wait_dscnt 0x0
	v_add_f32_e32 v7, v7, v3
	s_cbranch_scc0 .LBB162_25
.LBB162_26:                             ;   in Loop: Header=BB162_4 Depth=1
	s_and_not1_b32 vcc_lo, exec_lo, s36
	s_mov_b32 s5, s31
	s_cbranch_vccnz .LBB162_38
.LBB162_27:                             ;   Parent Loop BB162_4 Depth=1
                                        ; =>  This Inner Loop Header: Depth=2
	s_lshr_b32 s7, s5, 1
	s_and_b32 s4, s5, 0xfffe
	v_cmp_le_u32_e64 s3, s7, v13
	v_cmp_gt_u32_e64 s4, s4, v13
	v_cmp_gt_u32_e32 vcc_lo, s7, v13
	s_and_b32 s4, s3, s4
	s_delay_alu instid0(SALU_CYCLE_1)
	s_and_saveexec_b32 s3, s4
	s_cbranch_execz .LBB162_29
; %bb.28:                               ;   in Loop: Header=BB162_27 Depth=2
	v_subrev_nc_u32_e32 v3, s7, v13
	s_delay_alu instid0(VALU_DEP_1) | instskip(NEXT) | instid1(VALU_DEP_1)
	v_mad_u32_u24 v3, v3, s33, v12
	v_lshl_add_u32 v3, v3, 3, 0
	ds_store_b32 v3, v7 offset:4
.LBB162_29:                             ;   in Loop: Header=BB162_27 Depth=2
	s_or_b32 exec_lo, exec_lo, s3
	s_wait_dscnt 0x0
	s_barrier_signal -1
	s_barrier_wait -1
	s_and_saveexec_b32 s3, vcc_lo
	s_cbranch_execz .LBB162_31
; %bb.30:                               ;   in Loop: Header=BB162_27 Depth=2
	ds_load_b32 v3, v16 offset:4
	s_wait_dscnt 0x0
	v_add_f32_e32 v7, v7, v3
.LBB162_31:                             ;   in Loop: Header=BB162_27 Depth=2
	s_or_b32 exec_lo, exec_lo, s3
	s_cmp_lt_u32 s5, 4
	s_barrier_signal -1
	s_barrier_wait -1
	s_cbranch_scc1 .LBB162_33
; %bb.32:                               ;   in Loop: Header=BB162_27 Depth=2
	s_mov_b32 s5, s7
	s_branch .LBB162_27
.LBB162_33:                             ;   in Loop: Header=BB162_4 Depth=1
	s_and_saveexec_b32 s3, s0
; %bb.34:                               ;   in Loop: Header=BB162_4 Depth=1
	ds_store_b32 v18, v7 offset:4
; %bb.35:                               ;   in Loop: Header=BB162_4 Depth=1
	s_or_b32 exec_lo, exec_lo, s3
	s_wait_dscnt 0x0
	s_barrier_signal -1
	s_barrier_wait -1
	s_and_saveexec_b32 s3, s1
; %bb.36:                               ;   in Loop: Header=BB162_4 Depth=1
	ds_load_b32 v7, v18 offset:4
; %bb.37:                               ;   in Loop: Header=BB162_4 Depth=1
	s_or_b32 exec_lo, exec_lo, s3
.LBB162_38:                             ;   in Loop: Header=BB162_4 Depth=1
	s_wait_kmcnt 0x0
	v_mul_f32_e32 v19, s38, v17
	s_and_not1_b32 vcc_lo, exec_lo, s34
	s_add_nc_u64 s[4:5], s[14:15], s[28:29]
	s_cbranch_vccnz .LBB162_43
; %bb.39:                               ;   in Loop: Header=BB162_4 Depth=1
	s_and_saveexec_b32 s3, s2
	s_cbranch_execz .LBB162_42
; %bb.40:                               ;   in Loop: Header=BB162_4 Depth=1
	v_mov_b64_e32 v[8:9], v[4:5]
	v_mov_b64_e32 v[10:11], v[0:1]
	v_mov_b32_e32 v3, s38
	s_mov_b32 s7, 0
.LBB162_41:                             ;   Parent Loop BB162_4 Depth=1
                                        ; =>  This Inner Loop Header: Depth=2
	s_delay_alu instid0(VALU_DEP_2) | instskip(NEXT) | instid1(VALU_DEP_4)
	v_lshlrev_b64_e32 v[10:11], 1, v[10:11]
	v_add_nc_u64_e32 v[8:9], s[22:23], v[8:9]
	s_delay_alu instid0(VALU_DEP_2) | instskip(SKIP_2) | instid1(VALU_DEP_4)
	v_add_nc_u64_e32 v[20:21], s[24:25], v[10:11]
	v_add_nc_u64_e32 v[22:23], s[26:27], v[10:11]
	;; [unrolled: 1-line block ×3, first 2 shown]
	v_cmp_le_i64_e32 vcc_lo, s[10:11], v[8:9]
	global_load_u16 v6, v[20:21], off
	global_load_u16 v26, v[22:23], off
	;; [unrolled: 1-line block ×3, first 2 shown]
	s_or_b32 s7, vcc_lo, s7
	s_wait_loadcnt 0x2
	s_wait_xcnt 0x2
	v_cvt_f32_f16_e32 v21, v6
	s_wait_loadcnt 0x1
	v_cvt_f32_f16_e32 v20, v26
	s_wait_loadcnt 0x0
	v_cvt_f32_f16_e32 v6, v27
	s_delay_alu instid0(VALU_DEP_2) | instskip(SKIP_1) | instid1(VALU_DEP_1)
	v_pk_mul_f32 v[20:21], v[2:3], v[20:21]
	s_wait_dscnt 0x0
	v_pk_mul_f32 v[20:21], v[20:21], v[6:7]
	s_delay_alu instid0(VALU_DEP_1) | instskip(SKIP_2) | instid1(VALU_DEP_3)
	v_sub_f32_e32 v6, v20, v21
	v_add_nc_u64_e32 v[20:21], s[4:5], v[10:11]
	v_dual_mov_b32 v10, v8 :: v_dual_ashrrev_i32 v11, 31, v8
	v_fma_mixlo_f16 v6, v19, v6, 0
	global_store_b16 v[20:21], v6, off
	s_wait_xcnt 0x0
	s_and_not1_b32 exec_lo, exec_lo, s7
	s_cbranch_execnz .LBB162_41
.LBB162_42:                             ;   in Loop: Header=BB162_4 Depth=1
	s_or_b32 exec_lo, exec_lo, s3
	s_cbranch_execnz .LBB162_3
	s_branch .LBB162_44
.LBB162_43:                             ;   in Loop: Header=BB162_4 Depth=1
.LBB162_44:                             ;   in Loop: Header=BB162_4 Depth=1
	s_and_saveexec_b32 s3, s2
	s_cbranch_execz .LBB162_2
; %bb.45:                               ;   in Loop: Header=BB162_4 Depth=1
	v_mov_b64_e32 v[8:9], v[4:5]
	v_mov_b64_e32 v[10:11], v[0:1]
	s_mov_b32 s7, 0
.LBB162_46:                             ;   Parent Loop BB162_4 Depth=1
                                        ; =>  This Inner Loop Header: Depth=2
	s_delay_alu instid0(VALU_DEP_1) | instskip(NEXT) | instid1(VALU_DEP_3)
	v_lshlrev_b64_e32 v[10:11], 1, v[10:11]
	v_add_nc_u64_e32 v[8:9], s[22:23], v[8:9]
	s_delay_alu instid0(VALU_DEP_2) | instskip(NEXT) | instid1(VALU_DEP_2)
	v_add_nc_u64_e32 v[20:21], s[24:25], v[10:11]
	v_cmp_le_i64_e32 vcc_lo, s[10:11], v[8:9]
	global_load_u16 v3, v[20:21], off
	s_wait_xcnt 0x0
	v_add_nc_u64_e32 v[20:21], s[26:27], v[10:11]
	s_or_b32 s7, vcc_lo, s7
	global_load_u16 v6, v[20:21], off
	s_wait_xcnt 0x0
	v_add_nc_u64_e32 v[20:21], s[4:5], v[10:11]
	v_dual_mov_b32 v10, v8 :: v_dual_ashrrev_i32 v11, 31, v8
	s_wait_loadcnt 0x1
	v_cvt_f32_f16_e32 v3, v3
	s_delay_alu instid0(VALU_DEP_1) | instskip(SKIP_1) | instid1(VALU_DEP_1)
	v_mul_f32_e32 v3, s38, v3
	s_wait_dscnt 0x0
	v_mul_f32_e32 v3, v7, v3
	s_wait_loadcnt 0x0
	s_delay_alu instid0(VALU_DEP_1) | instskip(NEXT) | instid1(VALU_DEP_1)
	v_fma_mix_f32 v3, v2, v6, -v3 op_sel_hi:[0,1,0]
	v_fma_mixlo_f16 v3, v19, v3, 0
	global_store_b16 v[20:21], v3, off
	s_wait_xcnt 0x0
	s_and_not1_b32 exec_lo, exec_lo, s7
	s_cbranch_execnz .LBB162_46
	s_branch .LBB162_2
.LBB162_47:
	s_endpgm
	.section	.rodata,"a",@progbits
	.p2align	6, 0x0
	.amdhsa_kernel _ZN2at6native12_GLOBAL__N_118cuComputeGradInputIN3c104HalfEfLb1EEEvPKT_S7_llPKT0_SA_S7_PS5_
		.amdhsa_group_segment_fixed_size 0
		.amdhsa_private_segment_fixed_size 0
		.amdhsa_kernarg_size 320
		.amdhsa_user_sgpr_count 2
		.amdhsa_user_sgpr_dispatch_ptr 0
		.amdhsa_user_sgpr_queue_ptr 0
		.amdhsa_user_sgpr_kernarg_segment_ptr 1
		.amdhsa_user_sgpr_dispatch_id 0
		.amdhsa_user_sgpr_kernarg_preload_length 0
		.amdhsa_user_sgpr_kernarg_preload_offset 0
		.amdhsa_user_sgpr_private_segment_size 0
		.amdhsa_wavefront_size32 1
		.amdhsa_uses_dynamic_stack 0
		.amdhsa_enable_private_segment 0
		.amdhsa_system_sgpr_workgroup_id_x 1
		.amdhsa_system_sgpr_workgroup_id_y 1
		.amdhsa_system_sgpr_workgroup_id_z 0
		.amdhsa_system_sgpr_workgroup_info 0
		.amdhsa_system_vgpr_workitem_id 1
		.amdhsa_next_free_vgpr 28
		.amdhsa_next_free_sgpr 39
		.amdhsa_named_barrier_count 0
		.amdhsa_reserve_vcc 1
		.amdhsa_float_round_mode_32 0
		.amdhsa_float_round_mode_16_64 0
		.amdhsa_float_denorm_mode_32 3
		.amdhsa_float_denorm_mode_16_64 3
		.amdhsa_fp16_overflow 0
		.amdhsa_memory_ordered 1
		.amdhsa_forward_progress 1
		.amdhsa_inst_pref_size 13
		.amdhsa_round_robin_scheduling 0
		.amdhsa_exception_fp_ieee_invalid_op 0
		.amdhsa_exception_fp_denorm_src 0
		.amdhsa_exception_fp_ieee_div_zero 0
		.amdhsa_exception_fp_ieee_overflow 0
		.amdhsa_exception_fp_ieee_underflow 0
		.amdhsa_exception_fp_ieee_inexact 0
		.amdhsa_exception_int_div_zero 0
	.end_amdhsa_kernel
	.section	.text._ZN2at6native12_GLOBAL__N_118cuComputeGradInputIN3c104HalfEfLb1EEEvPKT_S7_llPKT0_SA_S7_PS5_,"axG",@progbits,_ZN2at6native12_GLOBAL__N_118cuComputeGradInputIN3c104HalfEfLb1EEEvPKT_S7_llPKT0_SA_S7_PS5_,comdat
.Lfunc_end162:
	.size	_ZN2at6native12_GLOBAL__N_118cuComputeGradInputIN3c104HalfEfLb1EEEvPKT_S7_llPKT0_SA_S7_PS5_, .Lfunc_end162-_ZN2at6native12_GLOBAL__N_118cuComputeGradInputIN3c104HalfEfLb1EEEvPKT_S7_llPKT0_SA_S7_PS5_
                                        ; -- End function
	.set _ZN2at6native12_GLOBAL__N_118cuComputeGradInputIN3c104HalfEfLb1EEEvPKT_S7_llPKT0_SA_S7_PS5_.num_vgpr, 28
	.set _ZN2at6native12_GLOBAL__N_118cuComputeGradInputIN3c104HalfEfLb1EEEvPKT_S7_llPKT0_SA_S7_PS5_.num_agpr, 0
	.set _ZN2at6native12_GLOBAL__N_118cuComputeGradInputIN3c104HalfEfLb1EEEvPKT_S7_llPKT0_SA_S7_PS5_.numbered_sgpr, 39
	.set _ZN2at6native12_GLOBAL__N_118cuComputeGradInputIN3c104HalfEfLb1EEEvPKT_S7_llPKT0_SA_S7_PS5_.num_named_barrier, 0
	.set _ZN2at6native12_GLOBAL__N_118cuComputeGradInputIN3c104HalfEfLb1EEEvPKT_S7_llPKT0_SA_S7_PS5_.private_seg_size, 0
	.set _ZN2at6native12_GLOBAL__N_118cuComputeGradInputIN3c104HalfEfLb1EEEvPKT_S7_llPKT0_SA_S7_PS5_.uses_vcc, 1
	.set _ZN2at6native12_GLOBAL__N_118cuComputeGradInputIN3c104HalfEfLb1EEEvPKT_S7_llPKT0_SA_S7_PS5_.uses_flat_scratch, 0
	.set _ZN2at6native12_GLOBAL__N_118cuComputeGradInputIN3c104HalfEfLb1EEEvPKT_S7_llPKT0_SA_S7_PS5_.has_dyn_sized_stack, 0
	.set _ZN2at6native12_GLOBAL__N_118cuComputeGradInputIN3c104HalfEfLb1EEEvPKT_S7_llPKT0_SA_S7_PS5_.has_recursion, 0
	.set _ZN2at6native12_GLOBAL__N_118cuComputeGradInputIN3c104HalfEfLb1EEEvPKT_S7_llPKT0_SA_S7_PS5_.has_indirect_call, 0
	.section	.AMDGPU.csdata,"",@progbits
; Kernel info:
; codeLenInByte = 1652
; TotalNumSgprs: 41
; NumVgprs: 28
; ScratchSize: 0
; MemoryBound: 0
; FloatMode: 240
; IeeeMode: 1
; LDSByteSize: 0 bytes/workgroup (compile time only)
; SGPRBlocks: 0
; VGPRBlocks: 1
; NumSGPRsForWavesPerEU: 41
; NumVGPRsForWavesPerEU: 28
; NamedBarCnt: 0
; Occupancy: 16
; WaveLimiterHint : 0
; COMPUTE_PGM_RSRC2:SCRATCH_EN: 0
; COMPUTE_PGM_RSRC2:USER_SGPR: 2
; COMPUTE_PGM_RSRC2:TRAP_HANDLER: 0
; COMPUTE_PGM_RSRC2:TGID_X_EN: 1
; COMPUTE_PGM_RSRC2:TGID_Y_EN: 1
; COMPUTE_PGM_RSRC2:TGID_Z_EN: 0
; COMPUTE_PGM_RSRC2:TIDIG_COMP_CNT: 1
	.section	.text._ZN2at6native12_GLOBAL__N_128layer_norm_grad_input_kernelIN3c104HalfEfLb1EEEvPKT_S7_PKT0_SA_S7_PS5_i,"axG",@progbits,_ZN2at6native12_GLOBAL__N_128layer_norm_grad_input_kernelIN3c104HalfEfLb1EEEvPKT_S7_PKT0_SA_S7_PS5_i,comdat
	.globl	_ZN2at6native12_GLOBAL__N_128layer_norm_grad_input_kernelIN3c104HalfEfLb1EEEvPKT_S7_PKT0_SA_S7_PS5_i ; -- Begin function _ZN2at6native12_GLOBAL__N_128layer_norm_grad_input_kernelIN3c104HalfEfLb1EEEvPKT_S7_PKT0_SA_S7_PS5_i
	.p2align	8
	.type	_ZN2at6native12_GLOBAL__N_128layer_norm_grad_input_kernelIN3c104HalfEfLb1EEEvPKT_S7_PKT0_SA_S7_PS5_i,@function
_ZN2at6native12_GLOBAL__N_128layer_norm_grad_input_kernelIN3c104HalfEfLb1EEEvPKT_S7_PKT0_SA_S7_PS5_i: ; @_ZN2at6native12_GLOBAL__N_128layer_norm_grad_input_kernelIN3c104HalfEfLb1EEEvPKT_S7_PKT0_SA_S7_PS5_i
; %bb.0:
	s_clause 0x1
	s_load_b128 s[4:7], s[0:1], 0x18
	s_load_b32 s2, s[0:1], 0x30
	s_bfe_u32 s3, ttmp6, 0x4000c
	s_and_b32 s8, ttmp6, 15
	s_add_co_i32 s3, s3, 1
	s_getreg_b32 s9, hwreg(HW_REG_IB_STS2, 6, 4)
	s_mul_i32 s3, ttmp9, s3
	v_lshlrev_b32_e32 v2, 2, v0
	s_add_co_i32 s3, s8, s3
	s_cmp_eq_u32 s9, 0
	s_load_b128 s[8:11], s[0:1], 0x0
	s_cselect_b32 s18, ttmp9, s3
	v_or_b32_e32 v1, 3, v2
	s_mov_b32 s19, 0
	s_wait_kmcnt 0x0
	s_load_b32 s20, s[4:5], s18 offset:0x0 scale_offset
	s_ashr_i32 s3, s2, 31
	v_cmp_gt_u32_e32 vcc_lo, s2, v1
	s_mul_u64 s[16:17], s[2:3], s[18:19]
	v_mov_b32_e32 v1, 0
	s_lshl_b64 s[14:15], s[16:17], 1
	s_wait_xcnt 0x0
	s_add_nc_u64 s[4:5], s[10:11], s[14:15]
	s_add_nc_u64 s[12:13], s[8:9], s[14:15]
	s_and_saveexec_b32 s3, vcc_lo
	s_cbranch_execz .LBB163_12
; %bb.1:
	s_load_b32 s21, s[0:1], 0x44
	s_cmp_lg_u64 s[6:7], 0
	v_dual_mov_b32 v3, 0 :: v_dual_mov_b32 v1, 0
	s_cselect_b32 s18, -1, 0
	s_wait_kmcnt 0x0
	s_and_b32 s21, s21, 0xffff
	s_delay_alu instid0(SALU_CYCLE_1)
	s_lshl_b32 s21, s21, 2
	s_branch .LBB163_3
.LBB163_2:                              ;   in Loop: Header=BB163_3 Depth=1
	global_load_u16 v8, v[6:7], off offset:6
	global_load_u16 v9, v[4:5], off offset:6
	s_wait_loadcnt 0x6
	s_wait_xcnt 0x0
	v_cvt_f32_f16_e32 v4, v14
	v_cvt_f32_f16_e32 v5, v13
	s_wait_loadcnt 0x4
	v_cvt_f32_f16_e32 v6, v17
	s_wait_loadcnt 0x2
	v_cvt_f32_f16_e32 v7, v19
	v_dual_add_nc_u32 v2, s21, v2 :: v_dual_mul_f32 v4, v11, v4
	s_delay_alu instid0(VALU_DEP_1) | instskip(SKIP_1) | instid1(VALU_DEP_1)
	v_dual_mul_f32 v6, v10, v6 :: v_dual_mul_f32 v4, v4, v5
	v_cvt_f32_f16_e32 v5, v15
	v_dual_fmac_f32 v1, s20, v4 :: v_dual_mul_f32 v4, v6, v5
	v_cvt_f32_f16_e32 v5, v18
	s_delay_alu instid0(VALU_DEP_2) | instskip(SKIP_2) | instid1(VALU_DEP_2)
	v_dual_mul_f32 v6, v16, v7 :: v_dual_fmac_f32 v1, s20, v4
	s_wait_loadcnt 0x1
	v_cvt_f32_f16_e32 v7, v8
	v_mul_f32_e32 v4, v6, v5
	s_wait_loadcnt 0x0
	v_cvt_f32_f16_e32 v5, v9
	s_delay_alu instid0(VALU_DEP_3) | instskip(NEXT) | instid1(VALU_DEP_1)
	v_dual_mul_f32 v6, v12, v7 :: v_dual_add_nc_u32 v7, 3, v2
	v_dual_fmac_f32 v1, s20, v4 :: v_dual_mul_f32 v4, v6, v5
	s_delay_alu instid0(VALU_DEP_2) | instskip(NEXT) | instid1(VALU_DEP_2)
	v_cmp_le_u32_e32 vcc_lo, s2, v7
	v_fmac_f32_e32 v1, s20, v4
	s_or_b32 s19, vcc_lo, s19
	s_delay_alu instid0(SALU_CYCLE_1)
	s_and_not1_b32 exec_lo, exec_lo, s19
	s_cbranch_execz .LBB163_11
.LBB163_3:                              ; =>This Inner Loop Header: Depth=1
	v_dual_mov_b32 v10, 1.0 :: v_dual_mov_b32 v11, 1.0
	v_lshl_add_u64 v[8:9], v[2:3], 1, s[6:7]
	s_and_b32 vcc_lo, exec_lo, s18
	s_cbranch_vccz .LBB163_5
; %bb.4:                                ;   in Loop: Header=BB163_3 Depth=1
	global_load_u16 v4, v[8:9], off
	s_wait_loadcnt 0x0
	v_cvt_f32_f16_e32 v11, v4
.LBB163_5:                              ;   in Loop: Header=BB163_3 Depth=1
	v_lshlrev_b64_e32 v[6:7], 1, v[2:3]
	s_and_not1_b32 vcc_lo, exec_lo, s18
	s_delay_alu instid0(VALU_DEP_1)
	v_add_nc_u64_e32 v[4:5], s[4:5], v[6:7]
	v_add_nc_u64_e32 v[6:7], s[12:13], v[6:7]
	global_load_u16 v13, v[4:5], off
	global_load_u16 v14, v[6:7], off
	s_cbranch_vccnz .LBB163_7
; %bb.6:                                ;   in Loop: Header=BB163_3 Depth=1
	global_load_u16 v10, v[8:9], off offset:2
	s_wait_loadcnt 0x0
	v_cvt_f32_f16_e32 v10, v10
.LBB163_7:                              ;   in Loop: Header=BB163_3 Depth=1
	global_load_u16 v15, v[4:5], off offset:2
	global_load_u16 v17, v[6:7], off offset:2
	v_dual_mov_b32 v12, 1.0 :: v_dual_mov_b32 v16, 1.0
	s_and_not1_b32 vcc_lo, exec_lo, s18
	s_cbranch_vccnz .LBB163_9
; %bb.8:                                ;   in Loop: Header=BB163_3 Depth=1
	global_load_u16 v16, v[8:9], off offset:4
	s_wait_loadcnt 0x0
	v_cvt_f32_f16_e32 v16, v16
.LBB163_9:                              ;   in Loop: Header=BB163_3 Depth=1
	global_load_u16 v18, v[4:5], off offset:4
	global_load_u16 v19, v[6:7], off offset:4
	s_and_not1_b32 vcc_lo, exec_lo, s18
	s_cbranch_vccnz .LBB163_2
; %bb.10:                               ;   in Loop: Header=BB163_3 Depth=1
	global_load_u16 v8, v[8:9], off offset:6
	s_wait_loadcnt 0x0
	v_cvt_f32_f16_e32 v12, v8
	s_branch .LBB163_2
.LBB163_11:
	s_or_b32 exec_lo, exec_lo, s19
.LBB163_12:
	s_delay_alu instid0(SALU_CYCLE_1) | instskip(NEXT) | instid1(SALU_CYCLE_1)
	s_or_b32 exec_lo, exec_lo, s3
	s_mov_b32 s3, exec_lo
	v_cmpx_gt_u32_e64 s2, v2
	s_cbranch_execz .LBB163_19
; %bb.13:
	v_mov_b32_e32 v3, 0
	s_cmp_lg_u64 s[6:7], 0
	s_delay_alu instid0(VALU_DEP_1) | instskip(NEXT) | instid1(VALU_DEP_1)
	v_lshlrev_b64_e32 v[4:5], 1, v[2:3]
	v_lshl_add_u64 v[8:9], s[16:17], 1, v[4:5]
	v_add_nc_u64_e32 v[4:5], s[6:7], v[4:5]
	s_delay_alu instid0(VALU_DEP_2)
	v_add_nc_u64_e32 v[6:7], s[10:11], v[8:9]
	v_add_nc_u64_e32 v[8:9], s[8:9], v[8:9]
	s_cselect_b32 s8, -1, 0
	s_mov_b32 s9, 0
	s_branch .LBB163_16
.LBB163_14:                             ;   in Loop: Header=BB163_16 Depth=1
	global_load_u16 v3, v[4:5], off
	s_wait_loadcnt 0x0
	v_cvt_f32_f16_e32 v3, v3
.LBB163_15:                             ;   in Loop: Header=BB163_16 Depth=1
	global_load_u16 v10, v[8:9], off
	global_load_u16 v11, v[6:7], off
	v_add_nc_u64_e32 v[4:5], 2, v[4:5]
	s_wait_xcnt 0x0
	v_add_nc_u64_e32 v[6:7], 2, v[6:7]
	v_add_nc_u64_e32 v[8:9], 2, v[8:9]
	s_wait_loadcnt 0x1
	v_cvt_f32_f16_e32 v10, v10
	s_wait_loadcnt 0x0
	v_cvt_f32_f16_e32 v11, v11
	s_delay_alu instid0(VALU_DEP_2) | instskip(NEXT) | instid1(VALU_DEP_1)
	v_mul_f32_e32 v3, v3, v10
	v_dual_mul_f32 v3, v3, v11 :: v_dual_add_nc_u32 v2, 1, v2
	s_delay_alu instid0(VALU_DEP_1) | instskip(SKIP_1) | instid1(VALU_DEP_2)
	v_cmp_le_u32_e32 vcc_lo, s2, v2
	s_wait_kmcnt 0x0
	v_fmac_f32_e32 v1, s20, v3
	s_or_b32 s9, vcc_lo, s9
	s_delay_alu instid0(SALU_CYCLE_1)
	s_and_not1_b32 exec_lo, exec_lo, s9
	s_cbranch_execz .LBB163_18
.LBB163_16:                             ; =>This Inner Loop Header: Depth=1
	s_and_not1_b32 vcc_lo, exec_lo, s8
	s_cbranch_vccz .LBB163_14
; %bb.17:                               ;   in Loop: Header=BB163_16 Depth=1
	v_mov_b32_e32 v3, 1.0
	s_branch .LBB163_15
.LBB163_18:
	s_or_b32 exec_lo, exec_lo, s9
.LBB163_19:
	s_delay_alu instid0(SALU_CYCLE_1) | instskip(SKIP_4) | instid1(VALU_DEP_1)
	s_or_b32 exec_lo, exec_lo, s3
	v_mbcnt_lo_u32_b32 v5, -1, 0
	s_mov_b32 s3, exec_lo
	s_barrier_signal -1
	s_barrier_wait -1
	v_lshl_or_b32 v2, v5, 2, 64
	v_cmp_gt_u32_e32 vcc_lo, 24, v5
	ds_bpermute_b32 v4, v2, v1
	v_cndmask_b32_e64 v3, 0, 8, vcc_lo
	v_cmp_gt_u32_e32 vcc_lo, 28, v5
	s_delay_alu instid0(VALU_DEP_2)
	v_add_lshl_u32 v3, v3, v5, 2
	s_wait_dscnt 0x0
	v_add_f32_e32 v4, v1, v4
	v_cndmask_b32_e64 v1, 0, 4, vcc_lo
	v_cmp_gt_u32_e32 vcc_lo, 30, v5
	ds_bpermute_b32 v6, v3, v4
	v_add_lshl_u32 v1, v1, v5, 2
	s_wait_dscnt 0x0
	v_add_f32_e32 v6, v4, v6
	v_cndmask_b32_e64 v4, 0, 2, vcc_lo
	v_cmp_ne_u32_e32 vcc_lo, 31, v5
	s_delay_alu instid0(VALU_DEP_2) | instskip(SKIP_1) | instid1(VALU_DEP_1)
	v_add_lshl_u32 v4, v4, v5, 2
	v_add_co_ci_u32_e64 v5, null, 0, v5, vcc_lo
	v_lshlrev_b32_e32 v5, 2, v5
	ds_bpermute_b32 v7, v1, v6
	s_wait_dscnt 0x0
	v_add_f32_e32 v6, v6, v7
	ds_bpermute_b32 v7, v4, v6
	s_wait_dscnt 0x0
	v_dual_add_f32 v7, v6, v7 :: v_dual_bitop2_b32 v6, 31, v0 bitop3:0x40
	ds_bpermute_b32 v8, v5, v7
	v_cmpx_eq_u32_e32 0, v6
	s_cbranch_execz .LBB163_21
; %bb.20:
	v_lshrrev_b32_e32 v9, 3, v0
	s_wait_dscnt 0x0
	s_delay_alu instid0(VALU_DEP_1)
	v_dual_add_f32 v7, v7, v8 :: v_dual_add_nc_u32 v9, 0, v9
	ds_store_b32 v9, v7
.LBB163_21:
	s_or_b32 exec_lo, exec_lo, s3
	s_wait_dscnt 0x0
	s_barrier_signal -1
	s_barrier_wait -1
	s_load_b32 s3, s[0:1], 0x44
	v_mov_b32_e32 v7, 0
	s_wait_kmcnt 0x0
	s_bfe_u32 s8, s3, 0xb0005
	s_delay_alu instid0(SALU_CYCLE_1)
	v_cmp_gt_u32_e32 vcc_lo, s8, v0
	s_and_saveexec_b32 s8, vcc_lo
; %bb.22:
	v_lshl_add_u32 v6, v6, 2, 0
	ds_load_b32 v7, v6
; %bb.23:
	s_or_b32 exec_lo, exec_lo, s8
	s_delay_alu instid0(SALU_CYCLE_1)
	s_mov_b32 s8, exec_lo
	v_cmpx_gt_u32_e32 32, v0
	s_cbranch_execz .LBB163_25
; %bb.24:
	s_wait_dscnt 0x0
	ds_bpermute_b32 v2, v2, v7
	s_wait_dscnt 0x0
	v_add_f32_e32 v2, v7, v2
	ds_bpermute_b32 v3, v3, v2
	s_wait_dscnt 0x0
	v_add_f32_e32 v2, v2, v3
	;; [unrolled: 3-line block ×5, first 2 shown]
.LBB163_25:
	s_or_b32 exec_lo, exec_lo, s8
	s_delay_alu instid0(SALU_CYCLE_1)
	s_mov_b32 s8, exec_lo
	v_cmpx_eq_u32_e32 0, v0
	s_cbranch_execz .LBB163_27
; %bb.26:
	v_mov_b32_e32 v1, 0
	s_wait_dscnt 0x0
	ds_store_b32 v1, v7 offset:4
.LBB163_27:
	s_or_b32 exec_lo, exec_lo, s8
	s_wait_dscnt 0x0
	s_barrier_signal -1
	s_barrier_wait -1
	s_mov_b32 s8, exec_lo
	v_cmpx_gt_i32_e64 s2, v0
	s_cbranch_execz .LBB163_33
; %bb.28:
	s_cvt_f32_i32 s8, s2
	s_load_b64 s[0:1], s[0:1], 0x28
	s_and_b32 s3, 0xffff, s3
	s_cmp_lg_u64 s[6:7], 0
	v_div_scale_f32 v1, null, s8, s8, 1.0
	v_div_scale_f32 v4, vcc_lo, 1.0, s8, 1.0
	s_cselect_b32 s9, -1, 0
	v_rcp_f32_e32 v2, v1
	v_nop
	v_xor_b32_e32 v1, 0x80000000, v1
	s_mov_b32 s10, 0
	s_delay_alu instid0(TRANS32_DEP_1) | instid1(VALU_DEP_1)
	v_fma_f32 v3, v1, v2, 1.0
	s_wait_kmcnt 0x0
	s_add_nc_u64 s[0:1], s[0:1], s[14:15]
	s_delay_alu instid0(VALU_DEP_1) | instskip(NEXT) | instid1(VALU_DEP_1)
	v_fmac_f32_e32 v2, v3, v2
	v_mul_f32_e32 v5, v4, v2
	s_delay_alu instid0(VALU_DEP_1) | instskip(NEXT) | instid1(VALU_DEP_1)
	v_fma_f32 v3, v1, v5, v4
	v_dual_fmac_f32 v5, v3, v2 :: v_dual_mov_b32 v3, 0
	s_delay_alu instid0(VALU_DEP_1) | instskip(SKIP_2) | instid1(VALU_DEP_1)
	v_fmac_f32_e32 v4, v1, v5
	ds_load_b32 v3, v3 offset:4
	v_div_fmas_f32 v1, v4, v2, v5
	v_div_fixup_f32 v1, v1, s8, 1.0
	s_delay_alu instid0(VALU_DEP_1)
	v_mul_f32_e32 v6, s20, v1
	s_branch .LBB163_31
.LBB163_29:                             ;   in Loop: Header=BB163_31 Depth=1
	s_delay_alu instid0(VALU_DEP_1)
	v_lshl_add_u64 v[8:9], v[0:1], 1, s[6:7]
	global_load_u16 v4, v[8:9], off
	s_wait_loadcnt 0x0
	v_cvt_f32_f16_e32 v4, v4
.LBB163_30:                             ;   in Loop: Header=BB163_31 Depth=1
	s_wait_loadcnt 0x1
	s_wait_xcnt 0x0
	v_cvt_f32_f16_e32 v9, v5
	v_dual_mov_b32 v5, s20 :: v_dual_mov_b32 v8, s8
	s_wait_loadcnt 0x0
	v_cvt_f32_f16_e32 v2, v2
	s_delay_alu instid0(VALU_DEP_2) | instskip(SKIP_2) | instid1(VALU_DEP_2)
	v_pk_mul_f32 v[4:5], v[4:5], v[8:9]
	v_lshl_add_u64 v[8:9], v[0:1], 1, s[0:1]
	s_wait_dscnt 0x0
	v_pk_mul_f32 v[4:5], v[4:5], v[2:3]
	s_delay_alu instid0(VALU_DEP_1) | instskip(NEXT) | instid1(VALU_DEP_1)
	v_dual_sub_f32 v1, v4, v5 :: v_dual_add_nc_u32 v0, s3, v0
	v_cmp_le_i32_e32 vcc_lo, s2, v0
	s_delay_alu instid0(VALU_DEP_2)
	v_fma_mixlo_f16 v1, v6, v1, 0
	s_or_b32 s10, vcc_lo, s10
	global_store_b16 v[8:9], v1, off
	s_wait_xcnt 0x0
	s_and_not1_b32 exec_lo, exec_lo, s10
	s_cbranch_execz .LBB163_33
.LBB163_31:                             ; =>This Inner Loop Header: Depth=1
	s_clause 0x1
	global_load_u16 v5, v0, s[4:5] scale_offset
	global_load_u16 v2, v0, s[12:13] scale_offset
	v_ashrrev_i32_e32 v1, 31, v0
	s_and_not1_b32 vcc_lo, exec_lo, s9
	s_cbranch_vccz .LBB163_29
; %bb.32:                               ;   in Loop: Header=BB163_31 Depth=1
	v_mov_b32_e32 v4, 1.0
	s_branch .LBB163_30
.LBB163_33:
	s_endpgm
	.section	.rodata,"a",@progbits
	.p2align	6, 0x0
	.amdhsa_kernel _ZN2at6native12_GLOBAL__N_128layer_norm_grad_input_kernelIN3c104HalfEfLb1EEEvPKT_S7_PKT0_SA_S7_PS5_i
		.amdhsa_group_segment_fixed_size 0
		.amdhsa_private_segment_fixed_size 0
		.amdhsa_kernarg_size 312
		.amdhsa_user_sgpr_count 2
		.amdhsa_user_sgpr_dispatch_ptr 0
		.amdhsa_user_sgpr_queue_ptr 0
		.amdhsa_user_sgpr_kernarg_segment_ptr 1
		.amdhsa_user_sgpr_dispatch_id 0
		.amdhsa_user_sgpr_kernarg_preload_length 0
		.amdhsa_user_sgpr_kernarg_preload_offset 0
		.amdhsa_user_sgpr_private_segment_size 0
		.amdhsa_wavefront_size32 1
		.amdhsa_uses_dynamic_stack 0
		.amdhsa_enable_private_segment 0
		.amdhsa_system_sgpr_workgroup_id_x 1
		.amdhsa_system_sgpr_workgroup_id_y 0
		.amdhsa_system_sgpr_workgroup_id_z 0
		.amdhsa_system_sgpr_workgroup_info 0
		.amdhsa_system_vgpr_workitem_id 0
		.amdhsa_next_free_vgpr 20
		.amdhsa_next_free_sgpr 22
		.amdhsa_named_barrier_count 0
		.amdhsa_reserve_vcc 1
		.amdhsa_float_round_mode_32 0
		.amdhsa_float_round_mode_16_64 0
		.amdhsa_float_denorm_mode_32 3
		.amdhsa_float_denorm_mode_16_64 3
		.amdhsa_fp16_overflow 0
		.amdhsa_memory_ordered 1
		.amdhsa_forward_progress 1
		.amdhsa_inst_pref_size 13
		.amdhsa_round_robin_scheduling 0
		.amdhsa_exception_fp_ieee_invalid_op 0
		.amdhsa_exception_fp_denorm_src 0
		.amdhsa_exception_fp_ieee_div_zero 0
		.amdhsa_exception_fp_ieee_overflow 0
		.amdhsa_exception_fp_ieee_underflow 0
		.amdhsa_exception_fp_ieee_inexact 0
		.amdhsa_exception_int_div_zero 0
	.end_amdhsa_kernel
	.section	.text._ZN2at6native12_GLOBAL__N_128layer_norm_grad_input_kernelIN3c104HalfEfLb1EEEvPKT_S7_PKT0_SA_S7_PS5_i,"axG",@progbits,_ZN2at6native12_GLOBAL__N_128layer_norm_grad_input_kernelIN3c104HalfEfLb1EEEvPKT_S7_PKT0_SA_S7_PS5_i,comdat
.Lfunc_end163:
	.size	_ZN2at6native12_GLOBAL__N_128layer_norm_grad_input_kernelIN3c104HalfEfLb1EEEvPKT_S7_PKT0_SA_S7_PS5_i, .Lfunc_end163-_ZN2at6native12_GLOBAL__N_128layer_norm_grad_input_kernelIN3c104HalfEfLb1EEEvPKT_S7_PKT0_SA_S7_PS5_i
                                        ; -- End function
	.set _ZN2at6native12_GLOBAL__N_128layer_norm_grad_input_kernelIN3c104HalfEfLb1EEEvPKT_S7_PKT0_SA_S7_PS5_i.num_vgpr, 20
	.set _ZN2at6native12_GLOBAL__N_128layer_norm_grad_input_kernelIN3c104HalfEfLb1EEEvPKT_S7_PKT0_SA_S7_PS5_i.num_agpr, 0
	.set _ZN2at6native12_GLOBAL__N_128layer_norm_grad_input_kernelIN3c104HalfEfLb1EEEvPKT_S7_PKT0_SA_S7_PS5_i.numbered_sgpr, 22
	.set _ZN2at6native12_GLOBAL__N_128layer_norm_grad_input_kernelIN3c104HalfEfLb1EEEvPKT_S7_PKT0_SA_S7_PS5_i.num_named_barrier, 0
	.set _ZN2at6native12_GLOBAL__N_128layer_norm_grad_input_kernelIN3c104HalfEfLb1EEEvPKT_S7_PKT0_SA_S7_PS5_i.private_seg_size, 0
	.set _ZN2at6native12_GLOBAL__N_128layer_norm_grad_input_kernelIN3c104HalfEfLb1EEEvPKT_S7_PKT0_SA_S7_PS5_i.uses_vcc, 1
	.set _ZN2at6native12_GLOBAL__N_128layer_norm_grad_input_kernelIN3c104HalfEfLb1EEEvPKT_S7_PKT0_SA_S7_PS5_i.uses_flat_scratch, 0
	.set _ZN2at6native12_GLOBAL__N_128layer_norm_grad_input_kernelIN3c104HalfEfLb1EEEvPKT_S7_PKT0_SA_S7_PS5_i.has_dyn_sized_stack, 0
	.set _ZN2at6native12_GLOBAL__N_128layer_norm_grad_input_kernelIN3c104HalfEfLb1EEEvPKT_S7_PKT0_SA_S7_PS5_i.has_recursion, 0
	.set _ZN2at6native12_GLOBAL__N_128layer_norm_grad_input_kernelIN3c104HalfEfLb1EEEvPKT_S7_PKT0_SA_S7_PS5_i.has_indirect_call, 0
	.section	.AMDGPU.csdata,"",@progbits
; Kernel info:
; codeLenInByte = 1660
; TotalNumSgprs: 24
; NumVgprs: 20
; ScratchSize: 0
; MemoryBound: 0
; FloatMode: 240
; IeeeMode: 1
; LDSByteSize: 0 bytes/workgroup (compile time only)
; SGPRBlocks: 0
; VGPRBlocks: 1
; NumSGPRsForWavesPerEU: 24
; NumVGPRsForWavesPerEU: 20
; NamedBarCnt: 0
; Occupancy: 16
; WaveLimiterHint : 0
; COMPUTE_PGM_RSRC2:SCRATCH_EN: 0
; COMPUTE_PGM_RSRC2:USER_SGPR: 2
; COMPUTE_PGM_RSRC2:TRAP_HANDLER: 0
; COMPUTE_PGM_RSRC2:TGID_X_EN: 1
; COMPUTE_PGM_RSRC2:TGID_Y_EN: 0
; COMPUTE_PGM_RSRC2:TGID_Z_EN: 0
; COMPUTE_PGM_RSRC2:TIDIG_COMP_CNT: 0
	.section	.text._ZN2at6native12_GLOBAL__N_133GammaBetaBackwardSimpleCUDAKernelIN3c104HalfEfLb1EEEvllPKT_S7_PKT0_SA_PS5_SB_,"axG",@progbits,_ZN2at6native12_GLOBAL__N_133GammaBetaBackwardSimpleCUDAKernelIN3c104HalfEfLb1EEEvllPKT_S7_PKT0_SA_PS5_SB_,comdat
	.globl	_ZN2at6native12_GLOBAL__N_133GammaBetaBackwardSimpleCUDAKernelIN3c104HalfEfLb1EEEvllPKT_S7_PKT0_SA_PS5_SB_ ; -- Begin function _ZN2at6native12_GLOBAL__N_133GammaBetaBackwardSimpleCUDAKernelIN3c104HalfEfLb1EEEvllPKT_S7_PKT0_SA_PS5_SB_
	.p2align	8
	.type	_ZN2at6native12_GLOBAL__N_133GammaBetaBackwardSimpleCUDAKernelIN3c104HalfEfLb1EEEvllPKT_S7_PKT0_SA_PS5_SB_,@function
_ZN2at6native12_GLOBAL__N_133GammaBetaBackwardSimpleCUDAKernelIN3c104HalfEfLb1EEEvllPKT_S7_PKT0_SA_PS5_SB_: ; @_ZN2at6native12_GLOBAL__N_133GammaBetaBackwardSimpleCUDAKernelIN3c104HalfEfLb1EEEvllPKT_S7_PKT0_SA_PS5_SB_
; %bb.0:
	s_load_b32 s2, s[0:1], 0x4c
	s_bfe_u32 s12, ttmp6, 0x4000c
	s_load_b256 s[4:11], s[0:1], 0x0
	s_add_co_i32 s12, s12, 1
	s_and_b32 s3, ttmp6, 15
	s_mul_i32 s12, ttmp9, s12
	s_getreg_b32 s13, hwreg(HW_REG_IB_STS2, 6, 4)
	v_mov_b32_e32 v1, 0
	s_add_co_i32 s3, s3, s12
	s_wait_kmcnt 0x0
	s_and_b32 s2, s2, 0xffff
	s_cmp_eq_u32 s13, 0
	s_cselect_b32 s3, ttmp9, s3
	s_delay_alu instid0(SALU_CYCLE_1) | instskip(SKIP_1) | instid1(VALU_DEP_1)
	v_mad_nc_u64_u32 v[2:3], s2, s3, v[0:1]
	s_mov_b32 s2, exec_lo
	v_cmpx_gt_i64_e64 s[6:7], v[2:3]
	s_cbranch_execz .LBB164_9
; %bb.1:
	s_load_b128 s[12:15], s[0:1], 0x28
	s_wait_xcnt 0x0
	v_cmp_lt_i64_e64 s0, s[4:5], 1
	s_and_b32 vcc_lo, exec_lo, s0
	s_cbranch_vccnz .LBB164_7
; %bb.2:
	v_lshlrev_b64_e32 v[0:1], 1, v[2:3]
	v_mov_b32_e32 v4, 0
	s_wait_kmcnt 0x0
	s_cmp_lg_u64 s[14:15], 0
	s_cselect_b32 s2, -1, 0
	s_lshl_b64 s[0:1], s[6:7], 1
	s_branch .LBB164_4
.LBB164_3:                              ;   in Loop: Header=BB164_4 Depth=1
	v_add_nc_u64_e32 v[0:1], s[0:1], v[0:1]
	s_delay_alu instid0(VALU_DEP_2)
	v_add_f32_e32 v4, v4, v5
	s_add_nc_u64 s[4:5], s[4:5], -1
	s_add_nc_u64 s[12:13], s[12:13], 4
	s_cmp_eq_u64 s[4:5], 0
	s_cbranch_scc1 .LBB164_6
.LBB164_4:                              ; =>This Inner Loop Header: Depth=1
	v_mov_b32_e32 v5, 0
	s_and_not1_b32 vcc_lo, exec_lo, s2
	s_cbranch_vccnz .LBB164_3
; %bb.5:                                ;   in Loop: Header=BB164_4 Depth=1
	v_add_nc_u64_e32 v[6:7], s[8:9], v[0:1]
	v_add_nc_u64_e32 v[8:9], s[10:11], v[0:1]
	global_load_u16 v5, v[6:7], off
	global_load_u16 v10, v[8:9], off
	s_load_b32 s3, s[12:13], 0x0
	s_wait_loadcnt 0x1
	v_cvt_f32_f16_e32 v5, v5
	s_wait_loadcnt 0x0
	v_cvt_f32_f16_e32 v6, v10
	s_delay_alu instid0(VALU_DEP_1) | instskip(SKIP_1) | instid1(VALU_DEP_1)
	v_mul_f32_e32 v5, v5, v6
	s_wait_kmcnt 0x0
	v_mul_f32_e32 v5, s3, v5
	s_branch .LBB164_3
.LBB164_6:
	v_cvt_f16_f32_e32 v1, v4
.LBB164_7:
	s_wait_kmcnt 0x0
	s_cmp_lg_u64 s[14:15], 0
	s_cbranch_scc0 .LBB164_9
; %bb.8:
	v_lshl_add_u64 v[2:3], v[2:3], 1, s[14:15]
	global_store_b16 v[2:3], v1, off
.LBB164_9:
	s_endpgm
	.section	.rodata,"a",@progbits
	.p2align	6, 0x0
	.amdhsa_kernel _ZN2at6native12_GLOBAL__N_133GammaBetaBackwardSimpleCUDAKernelIN3c104HalfEfLb1EEEvllPKT_S7_PKT0_SA_PS5_SB_
		.amdhsa_group_segment_fixed_size 0
		.amdhsa_private_segment_fixed_size 0
		.amdhsa_kernarg_size 320
		.amdhsa_user_sgpr_count 2
		.amdhsa_user_sgpr_dispatch_ptr 0
		.amdhsa_user_sgpr_queue_ptr 0
		.amdhsa_user_sgpr_kernarg_segment_ptr 1
		.amdhsa_user_sgpr_dispatch_id 0
		.amdhsa_user_sgpr_kernarg_preload_length 0
		.amdhsa_user_sgpr_kernarg_preload_offset 0
		.amdhsa_user_sgpr_private_segment_size 0
		.amdhsa_wavefront_size32 1
		.amdhsa_uses_dynamic_stack 0
		.amdhsa_enable_private_segment 0
		.amdhsa_system_sgpr_workgroup_id_x 1
		.amdhsa_system_sgpr_workgroup_id_y 0
		.amdhsa_system_sgpr_workgroup_id_z 0
		.amdhsa_system_sgpr_workgroup_info 0
		.amdhsa_system_vgpr_workitem_id 0
		.amdhsa_next_free_vgpr 11
		.amdhsa_next_free_sgpr 16
		.amdhsa_named_barrier_count 0
		.amdhsa_reserve_vcc 1
		.amdhsa_float_round_mode_32 0
		.amdhsa_float_round_mode_16_64 0
		.amdhsa_float_denorm_mode_32 3
		.amdhsa_float_denorm_mode_16_64 3
		.amdhsa_fp16_overflow 0
		.amdhsa_memory_ordered 1
		.amdhsa_forward_progress 1
		.amdhsa_inst_pref_size 3
		.amdhsa_round_robin_scheduling 0
		.amdhsa_exception_fp_ieee_invalid_op 0
		.amdhsa_exception_fp_denorm_src 0
		.amdhsa_exception_fp_ieee_div_zero 0
		.amdhsa_exception_fp_ieee_overflow 0
		.amdhsa_exception_fp_ieee_underflow 0
		.amdhsa_exception_fp_ieee_inexact 0
		.amdhsa_exception_int_div_zero 0
	.end_amdhsa_kernel
	.section	.text._ZN2at6native12_GLOBAL__N_133GammaBetaBackwardSimpleCUDAKernelIN3c104HalfEfLb1EEEvllPKT_S7_PKT0_SA_PS5_SB_,"axG",@progbits,_ZN2at6native12_GLOBAL__N_133GammaBetaBackwardSimpleCUDAKernelIN3c104HalfEfLb1EEEvllPKT_S7_PKT0_SA_PS5_SB_,comdat
.Lfunc_end164:
	.size	_ZN2at6native12_GLOBAL__N_133GammaBetaBackwardSimpleCUDAKernelIN3c104HalfEfLb1EEEvllPKT_S7_PKT0_SA_PS5_SB_, .Lfunc_end164-_ZN2at6native12_GLOBAL__N_133GammaBetaBackwardSimpleCUDAKernelIN3c104HalfEfLb1EEEvllPKT_S7_PKT0_SA_PS5_SB_
                                        ; -- End function
	.set _ZN2at6native12_GLOBAL__N_133GammaBetaBackwardSimpleCUDAKernelIN3c104HalfEfLb1EEEvllPKT_S7_PKT0_SA_PS5_SB_.num_vgpr, 11
	.set _ZN2at6native12_GLOBAL__N_133GammaBetaBackwardSimpleCUDAKernelIN3c104HalfEfLb1EEEvllPKT_S7_PKT0_SA_PS5_SB_.num_agpr, 0
	.set _ZN2at6native12_GLOBAL__N_133GammaBetaBackwardSimpleCUDAKernelIN3c104HalfEfLb1EEEvllPKT_S7_PKT0_SA_PS5_SB_.numbered_sgpr, 16
	.set _ZN2at6native12_GLOBAL__N_133GammaBetaBackwardSimpleCUDAKernelIN3c104HalfEfLb1EEEvllPKT_S7_PKT0_SA_PS5_SB_.num_named_barrier, 0
	.set _ZN2at6native12_GLOBAL__N_133GammaBetaBackwardSimpleCUDAKernelIN3c104HalfEfLb1EEEvllPKT_S7_PKT0_SA_PS5_SB_.private_seg_size, 0
	.set _ZN2at6native12_GLOBAL__N_133GammaBetaBackwardSimpleCUDAKernelIN3c104HalfEfLb1EEEvllPKT_S7_PKT0_SA_PS5_SB_.uses_vcc, 1
	.set _ZN2at6native12_GLOBAL__N_133GammaBetaBackwardSimpleCUDAKernelIN3c104HalfEfLb1EEEvllPKT_S7_PKT0_SA_PS5_SB_.uses_flat_scratch, 0
	.set _ZN2at6native12_GLOBAL__N_133GammaBetaBackwardSimpleCUDAKernelIN3c104HalfEfLb1EEEvllPKT_S7_PKT0_SA_PS5_SB_.has_dyn_sized_stack, 0
	.set _ZN2at6native12_GLOBAL__N_133GammaBetaBackwardSimpleCUDAKernelIN3c104HalfEfLb1EEEvllPKT_S7_PKT0_SA_PS5_SB_.has_recursion, 0
	.set _ZN2at6native12_GLOBAL__N_133GammaBetaBackwardSimpleCUDAKernelIN3c104HalfEfLb1EEEvllPKT_S7_PKT0_SA_PS5_SB_.has_indirect_call, 0
	.section	.AMDGPU.csdata,"",@progbits
; Kernel info:
; codeLenInByte = 308
; TotalNumSgprs: 18
; NumVgprs: 11
; ScratchSize: 0
; MemoryBound: 0
; FloatMode: 240
; IeeeMode: 1
; LDSByteSize: 0 bytes/workgroup (compile time only)
; SGPRBlocks: 0
; VGPRBlocks: 0
; NumSGPRsForWavesPerEU: 18
; NumVGPRsForWavesPerEU: 11
; NamedBarCnt: 0
; Occupancy: 16
; WaveLimiterHint : 0
; COMPUTE_PGM_RSRC2:SCRATCH_EN: 0
; COMPUTE_PGM_RSRC2:USER_SGPR: 2
; COMPUTE_PGM_RSRC2:TRAP_HANDLER: 0
; COMPUTE_PGM_RSRC2:TGID_X_EN: 1
; COMPUTE_PGM_RSRC2:TGID_Y_EN: 0
; COMPUTE_PGM_RSRC2:TGID_Z_EN: 0
; COMPUTE_PGM_RSRC2:TIDIG_COMP_CNT: 0
	.section	.text._ZN2at6native12_GLOBAL__N_135GammaBetaBackwardCUDAKernelTemplateIN3c104HalfEfLj64ELj1ELj32ELb1ELb1ELb1EEEvllPKT_S7_PKT0_SA_PS5_SB_,"axG",@progbits,_ZN2at6native12_GLOBAL__N_135GammaBetaBackwardCUDAKernelTemplateIN3c104HalfEfLj64ELj1ELj32ELb1ELb1ELb1EEEvllPKT_S7_PKT0_SA_PS5_SB_,comdat
	.globl	_ZN2at6native12_GLOBAL__N_135GammaBetaBackwardCUDAKernelTemplateIN3c104HalfEfLj64ELj1ELj32ELb1ELb1ELb1EEEvllPKT_S7_PKT0_SA_PS5_SB_ ; -- Begin function _ZN2at6native12_GLOBAL__N_135GammaBetaBackwardCUDAKernelTemplateIN3c104HalfEfLj64ELj1ELj32ELb1ELb1ELb1EEEvllPKT_S7_PKT0_SA_PS5_SB_
	.p2align	8
	.type	_ZN2at6native12_GLOBAL__N_135GammaBetaBackwardCUDAKernelTemplateIN3c104HalfEfLj64ELj1ELj32ELb1ELb1ELb1EEEvllPKT_S7_PKT0_SA_PS5_SB_,@function
_ZN2at6native12_GLOBAL__N_135GammaBetaBackwardCUDAKernelTemplateIN3c104HalfEfLj64ELj1ELj32ELb1ELb1ELb1EEEvllPKT_S7_PKT0_SA_PS5_SB_: ; @_ZN2at6native12_GLOBAL__N_135GammaBetaBackwardCUDAKernelTemplateIN3c104HalfEfLj64ELj1ELj32ELb1ELb1ELb1EEEvllPKT_S7_PKT0_SA_PS5_SB_
; %bb.0:
	s_load_b128 s[4:7], s[0:1], 0x0
	s_bfe_u32 s2, ttmp6, 0x40010
	s_bfe_u32 s3, ttmp6, 0x40004
	s_add_co_i32 s2, s2, 1
	s_getreg_b32 s20, hwreg(HW_REG_IB_STS2, 6, 4)
	s_mul_i32 s2, ttmp7, s2
	v_mov_b32_e32 v1, 0
	s_add_co_i32 s3, s3, s2
	s_cmp_eq_u32 s20, 0
	v_bfe_u32 v2, v0, 10, 10
	s_cselect_b32 s21, ttmp7, s3
	s_mov_b32 s3, 0
	s_lshl_b32 s2, s21, 5
	v_and_b32_e32 v10, 0x3ff, v0
	s_wait_kmcnt 0x0
	v_cmp_le_i64_e64 s8, s[4:5], s[2:3]
	s_and_b32 vcc_lo, exec_lo, s8
	s_cbranch_vccnz .LBB165_6
; %bb.1:
	v_dual_mov_b32 v1, 0 :: v_dual_lshlrev_b32 v0, 5, v2
	s_clause 0x3
	s_load_b32 s12, s[0:1], 0x4c
	s_load_b32 s13, s[0:1], 0x44
	s_load_b128 s[8:11], s[0:1], 0x10
	s_load_b64 s[14:15], s[0:1], 0x28
	s_bfe_u32 s17, ttmp6, 0x4000c
	s_and_b32 s16, ttmp6, 15
	s_add_co_i32 s17, s17, 1
	v_add_nc_u64_e32 v[4:5], s[2:3], v[0:1]
	s_mul_i32 s17, ttmp9, s17
	v_dual_mov_b32 v16, 28 :: v_dual_mov_b32 v7, v1
	s_add_co_i32 s16, s16, s17
	v_dual_mov_b32 v3, 4 :: v_dual_mov_b32 v11, 8
	s_delay_alu instid0(VALU_DEP_3)
	v_mul_u64_e32 v[8:9], s[6:7], v[4:5]
	v_dual_mov_b32 v12, 12 :: v_dual_mov_b32 v13, 16
	v_dual_mov_b32 v14, 20 :: v_dual_mov_b32 v15, 24
	;; [unrolled: 1-line block ×3, first 2 shown]
	s_wait_kmcnt 0x0
	s_and_b32 s12, s12, 0xffff
	s_cmp_eq_u32 s20, 0
	v_mad_u32_u24 v0, v2, s12, v10
	s_cselect_b32 s12, ttmp9, s16
	v_mov_b32_e32 v39, v1
	v_lshl_or_b32 v38, s12, 6, v10
	s_lshl_b32 s12, s13, 5
	v_and_b32_e32 v6, 31, v0
	s_mov_b32 s13, s3
	v_dual_mov_b32 v0, 32 :: v_dual_mov_b32 v17, 36
	v_lshlrev_b64_e32 v[40:41], 1, v[38:39]
	s_delay_alu instid0(VALU_DEP_3)
	v_add_nc_u64_e32 v[4:5], v[4:5], v[6:7]
	v_dual_mov_b32 v20, 48 :: v_dual_mov_b32 v21, 52
	v_dual_mov_b32 v22, 56 :: v_dual_mov_b32 v23, 60
	;; [unrolled: 1-line block ×3, first 2 shown]
	v_mov_b32_e32 v26, 0x48
	v_mov_b32_e32 v27, 0x4c
	;; [unrolled: 1-line block ×14, first 2 shown]
	v_lshl_add_u64 v[6:7], v[8:9], 1, v[40:41]
	v_lshl_add_u64 v[8:9], v[4:5], 2, s[14:15]
	v_mov_b32_e32 v41, 0
	s_mul_u64 s[16:17], s[6:7], s[12:13]
	s_lshl_b64 s[18:19], s[6:7], 1
	s_lshl_b64 s[14:15], s[16:17], 1
	;; [unrolled: 1-line block ×3, first 2 shown]
	s_branch .LBB165_3
.LBB165_2:                              ;   in Loop: Header=BB165_3 Depth=1
	s_wait_xcnt 0x0
	s_or_b32 exec_lo, exec_lo, s22
	v_add_nc_u64_e32 v[42:43], s[8:9], v[6:7]
	v_add_nc_u64_e32 v[44:45], s[10:11], v[6:7]
	s_wait_loadcnt 0x0
	ds_bpermute_b32 v56, v1, v40
	ds_bpermute_b32 v59, v3, v40
	s_add_nc_u64 s[2:3], s[2:3], s[12:13]
	v_add_nc_u64_e32 v[6:7], s[14:15], v[6:7]
	v_cmp_lt_i64_e64 s22, s[2:3], s[4:5]
	global_load_u16 v46, v[42:43], off
	global_load_u16 v47, v[44:45], off
	s_wait_xcnt 0x1
	v_add_nc_u64_e32 v[42:43], s[18:19], v[42:43]
	s_wait_xcnt 0x0
	v_add_nc_u64_e32 v[44:45], s[18:19], v[44:45]
	v_add_nc_u64_e32 v[8:9], s[16:17], v[8:9]
	;; [unrolled: 1-line block ×3, first 2 shown]
	global_load_u16 v48, v[42:43], off
	global_load_u16 v49, v[44:45], off
	s_wait_xcnt 0x1
	v_add_nc_u64_e32 v[42:43], s[18:19], v[42:43]
	s_wait_xcnt 0x0
	v_add_nc_u64_e32 v[44:45], s[18:19], v[44:45]
	s_and_b32 vcc_lo, exec_lo, s22
	global_load_u16 v50, v[42:43], off
	global_load_u16 v51, v[44:45], off
	s_wait_xcnt 0x1
	v_add_nc_u64_e32 v[42:43], s[18:19], v[42:43]
	s_wait_xcnt 0x0
	v_add_nc_u64_e32 v[44:45], s[18:19], v[44:45]
	global_load_u16 v52, v[42:43], off
	global_load_u16 v53, v[44:45], off
	s_wait_xcnt 0x1
	v_add_nc_u64_e32 v[42:43], s[18:19], v[42:43]
	s_wait_xcnt 0x0
	v_add_nc_u64_e32 v[44:45], s[18:19], v[44:45]
	;; [unrolled: 6-line block ×4, first 2 shown]
	global_load_u16 v60, v[42:43], off
	s_wait_xcnt 0x0
	v_add_nc_u64_e32 v[42:43], s[18:19], v[42:43]
	s_wait_loadcnt 0xc
	v_cvt_f32_f16_e32 v46, v46
	s_wait_loadcnt 0xb
	v_cvt_f32_f16_e32 v47, v47
	;; [unrolled: 2-line block ×4, first 2 shown]
	v_mul_f32_e32 v46, v46, v47
	global_load_u16 v47, v[44:45], off
	s_wait_xcnt 0x0
	v_add_nc_u64_e32 v[44:45], s[18:19], v[44:45]
	v_mul_f32_e32 v48, v48, v49
	ds_bpermute_b32 v49, v11, v40
	s_wait_loadcnt 0x9
	v_cvt_f32_f16_e32 v50, v50
	s_wait_loadcnt 0x8
	v_cvt_f32_f16_e32 v51, v51
	;; [unrolled: 2-line block ×4, first 2 shown]
	s_wait_dscnt 0x2
	v_fmac_f32_e32 v41, v46, v56
	global_load_u16 v46, v[42:43], off
	global_load_u16 v56, v[44:45], off
	s_wait_xcnt 0x1
	v_add_nc_u64_e32 v[42:43], s[18:19], v[42:43]
	s_wait_xcnt 0x0
	v_add_nc_u64_e32 v[44:45], s[18:19], v[44:45]
	v_mul_f32_e32 v52, v52, v53
	ds_bpermute_b32 v53, v13, v40
	s_wait_loadcnt 0x7
	v_cvt_f32_f16_e32 v54, v54
	s_wait_loadcnt 0x6
	v_cvt_f32_f16_e32 v55, v55
	s_delay_alu instid0(VALU_DEP_1)
	v_mul_f32_e32 v54, v54, v55
	s_wait_loadcnt 0x5
	v_cvt_f32_f16_e32 v57, v57
	s_wait_loadcnt 0x4
	v_cvt_f32_f16_e32 v58, v58
	s_wait_dscnt 0x2
	v_fmac_f32_e32 v41, v48, v59
	global_load_u16 v48, v[42:43], off
	global_load_u16 v59, v[44:45], off
	s_wait_xcnt 0x1
	v_add_nc_u64_e32 v[42:43], s[18:19], v[42:43]
	s_wait_xcnt 0x0
	v_add_nc_u64_e32 v[44:45], s[18:19], v[44:45]
	v_mul_f32_e32 v57, v57, v58
	s_wait_loadcnt 0x5
	v_cvt_f32_f16_e32 v60, v60
	s_wait_loadcnt 0x4
	v_cvt_f32_f16_e32 v47, v47
	s_delay_alu instid0(VALU_DEP_1)
	v_mul_f32_e32 v47, v60, v47
	v_mul_f32_e32 v50, v50, v51
	global_load_u16 v51, v[42:43], off
	s_wait_xcnt 0x0
	v_add_nc_u64_e32 v[42:43], s[18:19], v[42:43]
	s_wait_loadcnt 0x4
	v_cvt_f32_f16_e32 v46, v46
	s_wait_loadcnt 0x3
	v_cvt_f32_f16_e32 v56, v56
	s_delay_alu instid0(VALU_DEP_1)
	v_mul_f32_e32 v46, v46, v56
	s_wait_loadcnt 0x2
	v_cvt_f32_f16_e32 v48, v48
	s_wait_loadcnt 0x1
	v_cvt_f32_f16_e32 v59, v59
	s_wait_dscnt 0x1
	v_fmac_f32_e32 v41, v50, v49
	ds_bpermute_b32 v50, v12, v40
	global_load_u16 v49, v[44:45], off
	s_wait_xcnt 0x0
	v_add_nc_u64_e32 v[44:45], s[18:19], v[44:45]
	global_load_u16 v55, v[44:45], off
	s_wait_xcnt 0x0
	v_add_nc_u64_e32 v[44:45], s[18:19], v[44:45]
	;; [unrolled: 3-line block ×3, first 2 shown]
	s_wait_dscnt 0x0
	v_fmac_f32_e32 v41, v52, v50
	ds_bpermute_b32 v50, v14, v40
	global_load_u16 v52, v[42:43], off
	s_wait_xcnt 0x0
	v_add_nc_u64_e32 v[42:43], s[18:19], v[42:43]
	v_fmac_f32_e32 v41, v54, v53
	ds_bpermute_b32 v53, v15, v40
	global_load_u16 v60, v[44:45], off
	s_wait_xcnt 0x0
	v_add_nc_u64_e32 v[44:45], s[18:19], v[44:45]
	global_load_u16 v54, v[42:43], off
	s_wait_xcnt 0x0
	v_add_nc_u64_e32 v[42:43], s[18:19], v[42:43]
	;; [unrolled: 3-line block ×3, first 2 shown]
	s_wait_dscnt 0x1
	v_fmac_f32_e32 v41, v57, v50
	ds_bpermute_b32 v50, v16, v40
	global_load_u16 v57, v[42:43], off
	s_wait_xcnt 0x0
	v_add_nc_u64_e32 v[42:43], s[18:19], v[42:43]
	s_wait_dscnt 0x1
	v_fmac_f32_e32 v41, v47, v53
	ds_bpermute_b32 v47, v0, v40
	global_load_u16 v53, v[42:43], off
	s_wait_xcnt 0x0
	v_add_nc_u64_e32 v[42:43], s[18:19], v[42:43]
	s_wait_dscnt 0x1
	v_fmac_f32_e32 v41, v46, v50
	global_load_u16 v50, v[42:43], off
	global_load_u16 v61, v[44:45], off
	s_wait_xcnt 0x1
	v_add_nc_u64_e32 v[42:43], s[18:19], v[42:43]
	s_wait_xcnt 0x0
	v_add_nc_u64_e32 v[44:45], s[18:19], v[44:45]
	v_mul_f32_e32 v46, v48, v59
	ds_bpermute_b32 v48, v17, v40
	global_load_u16 v59, v[42:43], off
	s_wait_xcnt 0x0
	v_add_nc_u64_e32 v[42:43], s[18:19], v[42:43]
	s_wait_dscnt 0x1
	v_fmac_f32_e32 v41, v46, v47
	global_load_u16 v62, v[42:43], off
	s_wait_xcnt 0x0
	v_add_nc_u64_e32 v[42:43], s[18:19], v[42:43]
	s_wait_loadcnt 0xd
	v_cvt_f32_f16_e32 v46, v51
	global_load_u16 v51, v[44:45], off
	s_wait_xcnt 0x0
	v_add_nc_u64_e32 v[44:45], s[18:19], v[44:45]
	global_load_u16 v63, v[44:45], off
	s_wait_xcnt 0x0
	v_add_nc_u64_e32 v[44:45], s[18:19], v[44:45]
	s_wait_loadcnt 0xe
	v_cvt_f32_f16_e32 v47, v49
	s_delay_alu instid0(VALU_DEP_1) | instskip(SKIP_1) | instid1(VALU_DEP_1)
	v_mul_f32_e32 v46, v46, v47
	s_wait_dscnt 0x0
	v_fmac_f32_e32 v41, v46, v48
	ds_bpermute_b32 v46, v18, v40
	s_wait_loadcnt 0xd
	v_cvt_f32_f16_e32 v48, v55
	ds_bpermute_b32 v55, v22, v40
	s_wait_loadcnt 0xb
	v_cvt_f32_f16_e32 v47, v52
	v_cvt_f32_f16_e32 v52, v58
	ds_bpermute_b32 v58, v23, v40
	v_mul_f32_e32 v47, v47, v48
	ds_bpermute_b32 v48, v19, v40
	s_wait_loadcnt 0x9
	v_cvt_f32_f16_e32 v49, v54
	global_load_u16 v54, v[44:45], off
	s_wait_dscnt 0x3
	v_fmac_f32_e32 v41, v47, v46
	ds_bpermute_b32 v46, v20, v40
	s_wait_xcnt 0x0
	v_add_nc_u64_e32 v[44:45], s[18:19], v[44:45]
	v_mul_f32_e32 v47, v49, v52
	global_load_u16 v52, v[42:43], off
	s_wait_xcnt 0x0
	v_add_nc_u64_e32 v[42:43], s[18:19], v[42:43]
	ds_bpermute_b32 v49, v21, v40
	s_wait_dscnt 0x2
	v_fmac_f32_e32 v41, v47, v48
	s_wait_loadcnt 0x9
	v_cvt_f32_f16_e32 v47, v57
	v_cvt_f32_f16_e32 v48, v60
	global_load_u16 v57, v[44:45], off
	v_mul_f32_e32 v47, v47, v48
	s_wait_loadcnt 0x9
	v_cvt_f32_f16_e32 v48, v53
	v_cvt_f32_f16_e32 v53, v56
	global_load_u16 v56, v[42:43], off
	s_wait_xcnt 0x0
	v_add_nc_u64_e32 v[42:43], s[18:19], v[42:43]
	v_mul_f32_e32 v48, v48, v53
	s_wait_loadcnt 0x9
	v_cvt_f32_f16_e32 v50, v50
	s_wait_loadcnt 0x8
	v_cvt_f32_f16_e32 v53, v61
	s_wait_dscnt 0x1
	v_fmac_f32_e32 v41, v47, v46
	v_add_nc_u64_e32 v[46:47], s[18:19], v[44:45]
	v_add_nc_u64_e32 v[44:45], s[18:19], v[42:43]
	v_mul_f32_e32 v50, v50, v53
	s_wait_dscnt 0x0
	v_fmac_f32_e32 v41, v48, v49
	global_load_u16 v53, v[42:43], off
	global_load_u16 v60, v[46:47], off
	;; [unrolled: 1-line block ×3, first 2 shown]
	v_add_nc_u64_e32 v[48:49], s[18:19], v[46:47]
	s_wait_xcnt 0x2
	v_add_nc_u64_e32 v[42:43], s[18:19], v[44:45]
	s_wait_loadcnt 0xa
	s_wait_xcnt 0x1
	v_cvt_f32_f16_e32 v46, v59
	s_wait_xcnt 0x0
	v_add_nc_u64_e32 v[44:45], s[18:19], v[48:49]
	s_wait_loadcnt 0x8
	v_cvt_f32_f16_e32 v47, v51
	s_delay_alu instid0(VALU_DEP_1)
	v_mul_f32_e32 v46, v46, v47
	v_cvt_f32_f16_e32 v47, v62
	v_fmac_f32_e32 v41, v50, v55
	global_load_u16 v51, v[48:49], off
	global_load_u16 v55, v[42:43], off
	;; [unrolled: 1-line block ×3, first 2 shown]
	s_wait_xcnt 0x0
	v_add_nc_u64_e32 v[44:45], s[18:19], v[44:45]
	v_add_nc_u64_e32 v[42:43], s[18:19], v[42:43]
	s_wait_loadcnt 0xa
	v_cvt_f32_f16_e32 v48, v63
	ds_bpermute_b32 v50, v24, v40
	v_dual_mul_f32 v48, v47, v48 :: v_dual_fmac_f32 v41, v46, v58
	v_add_nc_u64_e32 v[46:47], s[18:19], v[44:45]
	global_load_u16 v58, v[42:43], off
	s_wait_xcnt 0x0
	v_add_nc_u64_e32 v[42:43], s[18:19], v[42:43]
	global_load_u16 v62, v[44:45], off
	global_load_u16 v63, v[42:43], off
	global_load_u16 v64, v[46:47], off
	s_wait_xcnt 0x2
	ds_bpermute_b32 v44, v25, v40
	s_wait_xcnt 0x1
	v_add_nc_u64_e32 v[42:43], s[18:19], v[42:43]
	s_wait_loadcnt 0xc
	v_cvt_f32_f16_e32 v45, v52
	s_wait_loadcnt 0xb
	v_cvt_f32_f16_e32 v52, v57
	;; [unrolled: 2-line block ×3, first 2 shown]
	s_wait_dscnt 0x1
	v_fmac_f32_e32 v41, v48, v50
	v_cvt_f32_f16_e32 v48, v54
	ds_bpermute_b32 v50, v27, v40
	global_load_u16 v54, v[42:43], off
	s_wait_xcnt 0x0
	v_add_nc_u64_e32 v[42:43], s[18:19], v[42:43]
	v_mul_f32_e32 v45, v45, v48
	ds_bpermute_b32 v48, v26, v40
	s_wait_dscnt 0x2
	v_fmac_f32_e32 v41, v45, v44
	v_add_nc_u64_e32 v[44:45], s[18:19], v[46:47]
	v_mul_f32_e32 v46, v49, v52
	s_wait_loadcnt 0xa
	v_cvt_f32_f16_e32 v49, v53
	s_wait_loadcnt 0x9
	v_cvt_f32_f16_e32 v52, v60
	global_load_u16 v56, v[44:45], off
	global_load_u16 v57, v[42:43], off
	s_wait_xcnt 0x0
	v_add_nc_u64_e32 v[42:43], s[18:19], v[42:43]
	v_mul_f32_e32 v52, v49, v52
	ds_bpermute_b32 v49, v29, v40
	s_wait_dscnt 0x1
	v_fmac_f32_e32 v41, v46, v48
	v_add_nc_u64_e32 v[46:47], s[18:19], v[44:45]
	ds_bpermute_b32 v48, v28, v40
	v_fmac_f32_e32 v41, v52, v50
	global_load_u16 v60, v[46:47], off
	v_add_nc_u64_e32 v[44:45], s[18:19], v[46:47]
	s_wait_loadcnt 0xb
	s_wait_xcnt 0x0
	v_cvt_f32_f16_e32 v46, v61
	s_wait_loadcnt 0xa
	v_cvt_f32_f16_e32 v50, v51
	s_wait_loadcnt 0x9
	v_cvt_f32_f16_e32 v47, v55
	global_load_u16 v55, v[42:43], off
	s_wait_xcnt 0x0
	v_add_nc_u64_e32 v[42:43], s[18:19], v[42:43]
	s_wait_loadcnt 0x9
	v_cvt_f32_f16_e32 v51, v59
	global_load_u16 v59, v[44:45], off
	s_wait_xcnt 0x0
	v_add_nc_u64_e32 v[44:45], s[18:19], v[44:45]
	v_pk_mul_f32 v[46:47], v[46:47], v[50:51]
	s_wait_loadcnt 0x9
	v_cvt_f32_f16_e32 v50, v58
	global_load_u16 v58, v[42:43], off
	s_wait_xcnt 0x0
	v_add_nc_u64_e32 v[42:43], s[18:19], v[42:43]
	s_wait_dscnt 0x0
	v_pk_mul_f32 v[46:47], v[46:47], v[48:49]
	ds_bpermute_b32 v48, v30, v40
	ds_bpermute_b32 v49, v31, v40
	s_wait_loadcnt 0x9
	v_cvt_f32_f16_e32 v52, v62
	s_wait_loadcnt 0x8
	v_cvt_f32_f16_e32 v51, v63
	;; [unrolled: 2-line block ×3, first 2 shown]
	v_add_f32_e32 v41, v41, v46
	s_delay_alu instid0(VALU_DEP_2)
	v_pk_mul_f32 v[50:51], v[50:51], v[52:53]
	global_load_u16 v52, v[44:45], off
	s_wait_xcnt 0x0
	v_add_nc_u64_e32 v[44:45], s[18:19], v[44:45]
	global_load_u16 v53, v[42:43], off
	s_wait_xcnt 0x0
	v_add_nc_u64_e32 v[42:43], s[18:19], v[42:43]
	v_add_f32_e32 v41, v41, v47
	global_load_u16 v61, v[44:45], off
	s_wait_xcnt 0x0
	v_add_nc_u64_e32 v[44:45], s[18:19], v[44:45]
	global_load_u16 v62, v[42:43], off
	s_wait_xcnt 0x0
	v_add_nc_u64_e32 v[42:43], s[18:19], v[42:43]
	global_load_u16 v63, v[44:45], off
	global_load_u16 v64, v[42:43], off
	s_wait_xcnt 0x0
	v_add_nc_u64_e32 v[42:43], s[18:19], v[42:43]
	v_add_nc_u64_e32 v[44:45], s[18:19], v[44:45]
	global_load_u16 v65, v[42:43], off
	global_load_u16 v66, v[44:45], off
	s_wait_xcnt 0x1
	v_add_nc_u64_e32 v[42:43], s[18:19], v[44:45]
	s_wait_dscnt 0x0
	v_pk_mul_f32 v[46:47], v[50:51], v[48:49]
	ds_bpermute_b32 v50, v36, v40
	ds_bpermute_b32 v51, v37, v40
	v_add_f32_e32 v41, v41, v46
	global_load_u16 v67, v[42:43], off
	ds_bpermute_b32 v46, v34, v40
	v_add_f32_e32 v41, v41, v47
	ds_bpermute_b32 v47, v35, v40
	s_wait_loadcnt 0xf
	s_wait_xcnt 0x0
	v_cvt_f32_f16_e32 v42, v54
	s_wait_loadcnt 0xe
	v_cvt_f32_f16_e32 v44, v56
	s_wait_loadcnt 0xd
	;; [unrolled: 2-line block ×3, first 2 shown]
	v_cvt_f32_f16_e32 v45, v60
	s_delay_alu instid0(VALU_DEP_1) | instskip(SKIP_4) | instid1(VALU_DEP_1)
	v_pk_mul_f32 v[42:43], v[42:43], v[44:45]
	ds_bpermute_b32 v44, v32, v40
	ds_bpermute_b32 v45, v33, v40
	s_wait_dscnt 0x0
	v_pk_mul_f32 v[42:43], v[42:43], v[44:45]
	v_add_f32_e32 v41, v41, v42
	ds_bpermute_b32 v42, v38, v40
	v_add_f32_e32 v41, v41, v43
	ds_bpermute_b32 v43, v39, v40
	s_wait_loadcnt 0xb
	v_cvt_f32_f16_e32 v48, v55
	s_wait_loadcnt 0xa
	v_cvt_f32_f16_e32 v44, v59
	;; [unrolled: 2-line block ×4, first 2 shown]
	s_delay_alu instid0(VALU_DEP_1) | instskip(SKIP_2) | instid1(VALU_DEP_2)
	v_pk_mul_f32 v[44:45], v[48:49], v[44:45]
	s_wait_loadcnt 0x7
	v_cvt_f32_f16_e32 v48, v53
	v_pk_mul_f32 v[44:45], v[44:45], v[46:47]
	s_wait_loadcnt 0x6
	v_cvt_f32_f16_e32 v46, v61
	s_wait_loadcnt 0x5
	v_cvt_f32_f16_e32 v49, v62
	v_add_f32_e32 v44, v41, v44
	s_wait_loadcnt 0x4
	v_cvt_f32_f16_e32 v47, v63
	s_delay_alu instid0(VALU_DEP_1) | instskip(NEXT) | instid1(VALU_DEP_3)
	v_pk_mul_f32 v[40:41], v[48:49], v[46:47]
	v_add_f32_e32 v48, v44, v45
	s_wait_loadcnt 0x3
	v_cvt_f32_f16_e32 v44, v64
	s_wait_loadcnt 0x2
	v_cvt_f32_f16_e32 v45, v65
	s_wait_loadcnt 0x1
	v_cvt_f32_f16_e32 v46, v66
	v_pk_mul_f32 v[40:41], v[40:41], v[50:51]
	s_delay_alu instid0(VALU_DEP_1) | instskip(SKIP_2) | instid1(VALU_DEP_1)
	v_add_f32_e32 v40, v48, v40
	s_wait_loadcnt 0x0
	v_cvt_f32_f16_e32 v47, v67
	v_pk_mul_f32 v[44:45], v[44:45], v[46:47]
	s_delay_alu instid0(VALU_DEP_3) | instskip(SKIP_1) | instid1(VALU_DEP_2)
	v_add_f32_e32 v46, v40, v41
	s_wait_dscnt 0x0
	v_pk_mul_f32 v[40:41], v[44:45], v[42:43]
	s_delay_alu instid0(VALU_DEP_1) | instskip(NEXT) | instid1(VALU_DEP_1)
	v_add_f32_e32 v40, v46, v40
	v_add_f32_e32 v41, v40, v41
	s_cbranch_vccz .LBB165_5
.LBB165_3:                              ; =>This Inner Loop Header: Depth=1
	v_mov_b32_e32 v40, 0
	s_mov_b32 s22, exec_lo
	v_cmpx_gt_i64_e64 s[4:5], v[4:5]
	s_cbranch_execz .LBB165_2
; %bb.4:                                ;   in Loop: Header=BB165_3 Depth=1
	global_load_b32 v40, v[8:9], off
	s_branch .LBB165_2
.LBB165_5:
	s_delay_alu instid0(VALU_DEP_1)
	v_cvt_f16_f32_e32 v1, v41
.LBB165_6:
	s_load_b64 s[2:3], s[0:1], 0x30
	s_wait_kmcnt 0x0
	s_cmp_eq_u64 s[2:3], 0
	s_cbranch_scc1 .LBB165_8
; %bb.7:
	s_load_u16 s0, s[0:1], 0x4e
	v_mov_b32_e32 v3, 0
	s_and_b32 s4, ttmp6, 15
	s_wait_xcnt 0x0
	s_mov_b32 s1, 0
	s_wait_kmcnt 0x0
	v_mad_nc_u64_u32 v[4:5], s0, s21, v[2:3]
	s_bfe_u32 s0, ttmp6, 0x4000c
	v_lshlrev_b32_e32 v2, 1, v10
	s_add_co_i32 s0, s0, 1
	s_delay_alu instid0(SALU_CYCLE_1) | instskip(NEXT) | instid1(SALU_CYCLE_1)
	s_mul_i32 s0, ttmp9, s0
	s_add_co_i32 s4, s4, s0
	s_cmp_eq_u32 s20, 0
	s_cselect_b32 s0, ttmp9, s4
	s_delay_alu instid0(VALU_DEP_2) | instskip(SKIP_1) | instid1(VALU_DEP_1)
	v_mul_u64_e32 v[4:5], s[6:7], v[4:5]
	s_lshl_b64 s[0:1], s[0:1], 7
	v_lshl_add_u64 v[4:5], v[4:5], 1, s[2:3]
	s_delay_alu instid0(VALU_DEP_1) | instskip(NEXT) | instid1(VALU_DEP_1)
	v_add_nc_u64_e32 v[4:5], s[0:1], v[4:5]
	v_add_nc_u64_e32 v[2:3], v[4:5], v[2:3]
	global_store_b16 v[2:3], v1, off
.LBB165_8:
	s_sendmsg sendmsg(MSG_DEALLOC_VGPRS)
	s_endpgm
	.section	.rodata,"a",@progbits
	.p2align	6, 0x0
	.amdhsa_kernel _ZN2at6native12_GLOBAL__N_135GammaBetaBackwardCUDAKernelTemplateIN3c104HalfEfLj64ELj1ELj32ELb1ELb1ELb1EEEvllPKT_S7_PKT0_SA_PS5_SB_
		.amdhsa_group_segment_fixed_size 0
		.amdhsa_private_segment_fixed_size 0
		.amdhsa_kernarg_size 320
		.amdhsa_user_sgpr_count 2
		.amdhsa_user_sgpr_dispatch_ptr 0
		.amdhsa_user_sgpr_queue_ptr 0
		.amdhsa_user_sgpr_kernarg_segment_ptr 1
		.amdhsa_user_sgpr_dispatch_id 0
		.amdhsa_user_sgpr_kernarg_preload_length 0
		.amdhsa_user_sgpr_kernarg_preload_offset 0
		.amdhsa_user_sgpr_private_segment_size 0
		.amdhsa_wavefront_size32 1
		.amdhsa_uses_dynamic_stack 0
		.amdhsa_enable_private_segment 0
		.amdhsa_system_sgpr_workgroup_id_x 1
		.amdhsa_system_sgpr_workgroup_id_y 1
		.amdhsa_system_sgpr_workgroup_id_z 0
		.amdhsa_system_sgpr_workgroup_info 0
		.amdhsa_system_vgpr_workitem_id 1
		.amdhsa_next_free_vgpr 68
		.amdhsa_next_free_sgpr 23
		.amdhsa_named_barrier_count 0
		.amdhsa_reserve_vcc 1
		.amdhsa_float_round_mode_32 0
		.amdhsa_float_round_mode_16_64 0
		.amdhsa_float_denorm_mode_32 3
		.amdhsa_float_denorm_mode_16_64 3
		.amdhsa_fp16_overflow 0
		.amdhsa_memory_ordered 1
		.amdhsa_forward_progress 1
		.amdhsa_inst_pref_size 25
		.amdhsa_round_robin_scheduling 0
		.amdhsa_exception_fp_ieee_invalid_op 0
		.amdhsa_exception_fp_denorm_src 0
		.amdhsa_exception_fp_ieee_div_zero 0
		.amdhsa_exception_fp_ieee_overflow 0
		.amdhsa_exception_fp_ieee_underflow 0
		.amdhsa_exception_fp_ieee_inexact 0
		.amdhsa_exception_int_div_zero 0
	.end_amdhsa_kernel
	.section	.text._ZN2at6native12_GLOBAL__N_135GammaBetaBackwardCUDAKernelTemplateIN3c104HalfEfLj64ELj1ELj32ELb1ELb1ELb1EEEvllPKT_S7_PKT0_SA_PS5_SB_,"axG",@progbits,_ZN2at6native12_GLOBAL__N_135GammaBetaBackwardCUDAKernelTemplateIN3c104HalfEfLj64ELj1ELj32ELb1ELb1ELb1EEEvllPKT_S7_PKT0_SA_PS5_SB_,comdat
.Lfunc_end165:
	.size	_ZN2at6native12_GLOBAL__N_135GammaBetaBackwardCUDAKernelTemplateIN3c104HalfEfLj64ELj1ELj32ELb1ELb1ELb1EEEvllPKT_S7_PKT0_SA_PS5_SB_, .Lfunc_end165-_ZN2at6native12_GLOBAL__N_135GammaBetaBackwardCUDAKernelTemplateIN3c104HalfEfLj64ELj1ELj32ELb1ELb1ELb1EEEvllPKT_S7_PKT0_SA_PS5_SB_
                                        ; -- End function
	.set _ZN2at6native12_GLOBAL__N_135GammaBetaBackwardCUDAKernelTemplateIN3c104HalfEfLj64ELj1ELj32ELb1ELb1ELb1EEEvllPKT_S7_PKT0_SA_PS5_SB_.num_vgpr, 68
	.set _ZN2at6native12_GLOBAL__N_135GammaBetaBackwardCUDAKernelTemplateIN3c104HalfEfLj64ELj1ELj32ELb1ELb1ELb1EEEvllPKT_S7_PKT0_SA_PS5_SB_.num_agpr, 0
	.set _ZN2at6native12_GLOBAL__N_135GammaBetaBackwardCUDAKernelTemplateIN3c104HalfEfLj64ELj1ELj32ELb1ELb1ELb1EEEvllPKT_S7_PKT0_SA_PS5_SB_.numbered_sgpr, 23
	.set _ZN2at6native12_GLOBAL__N_135GammaBetaBackwardCUDAKernelTemplateIN3c104HalfEfLj64ELj1ELj32ELb1ELb1ELb1EEEvllPKT_S7_PKT0_SA_PS5_SB_.num_named_barrier, 0
	.set _ZN2at6native12_GLOBAL__N_135GammaBetaBackwardCUDAKernelTemplateIN3c104HalfEfLj64ELj1ELj32ELb1ELb1ELb1EEEvllPKT_S7_PKT0_SA_PS5_SB_.private_seg_size, 0
	.set _ZN2at6native12_GLOBAL__N_135GammaBetaBackwardCUDAKernelTemplateIN3c104HalfEfLj64ELj1ELj32ELb1ELb1ELb1EEEvllPKT_S7_PKT0_SA_PS5_SB_.uses_vcc, 1
	.set _ZN2at6native12_GLOBAL__N_135GammaBetaBackwardCUDAKernelTemplateIN3c104HalfEfLj64ELj1ELj32ELb1ELb1ELb1EEEvllPKT_S7_PKT0_SA_PS5_SB_.uses_flat_scratch, 0
	.set _ZN2at6native12_GLOBAL__N_135GammaBetaBackwardCUDAKernelTemplateIN3c104HalfEfLj64ELj1ELj32ELb1ELb1ELb1EEEvllPKT_S7_PKT0_SA_PS5_SB_.has_dyn_sized_stack, 0
	.set _ZN2at6native12_GLOBAL__N_135GammaBetaBackwardCUDAKernelTemplateIN3c104HalfEfLj64ELj1ELj32ELb1ELb1ELb1EEEvllPKT_S7_PKT0_SA_PS5_SB_.has_recursion, 0
	.set _ZN2at6native12_GLOBAL__N_135GammaBetaBackwardCUDAKernelTemplateIN3c104HalfEfLj64ELj1ELj32ELb1ELb1ELb1EEEvllPKT_S7_PKT0_SA_PS5_SB_.has_indirect_call, 0
	.section	.AMDGPU.csdata,"",@progbits
; Kernel info:
; codeLenInByte = 3136
; TotalNumSgprs: 25
; NumVgprs: 68
; ScratchSize: 0
; MemoryBound: 0
; FloatMode: 240
; IeeeMode: 1
; LDSByteSize: 0 bytes/workgroup (compile time only)
; SGPRBlocks: 0
; VGPRBlocks: 4
; NumSGPRsForWavesPerEU: 25
; NumVGPRsForWavesPerEU: 68
; NamedBarCnt: 0
; Occupancy: 12
; WaveLimiterHint : 0
; COMPUTE_PGM_RSRC2:SCRATCH_EN: 0
; COMPUTE_PGM_RSRC2:USER_SGPR: 2
; COMPUTE_PGM_RSRC2:TRAP_HANDLER: 0
; COMPUTE_PGM_RSRC2:TGID_X_EN: 1
; COMPUTE_PGM_RSRC2:TGID_Y_EN: 1
; COMPUTE_PGM_RSRC2:TGID_Z_EN: 0
; COMPUTE_PGM_RSRC2:TIDIG_COMP_CNT: 1
	.section	.text._ZN2at6native12_GLOBAL__N_135GammaBetaBackwardCUDAKernelTemplateIN3c104HalfEfLj64ELj1ELj32ELb1ELb0ELb1EEEvllPKT_S7_PKT0_SA_PS5_SB_,"axG",@progbits,_ZN2at6native12_GLOBAL__N_135GammaBetaBackwardCUDAKernelTemplateIN3c104HalfEfLj64ELj1ELj32ELb1ELb0ELb1EEEvllPKT_S7_PKT0_SA_PS5_SB_,comdat
	.globl	_ZN2at6native12_GLOBAL__N_135GammaBetaBackwardCUDAKernelTemplateIN3c104HalfEfLj64ELj1ELj32ELb1ELb0ELb1EEEvllPKT_S7_PKT0_SA_PS5_SB_ ; -- Begin function _ZN2at6native12_GLOBAL__N_135GammaBetaBackwardCUDAKernelTemplateIN3c104HalfEfLj64ELj1ELj32ELb1ELb0ELb1EEEvllPKT_S7_PKT0_SA_PS5_SB_
	.p2align	8
	.type	_ZN2at6native12_GLOBAL__N_135GammaBetaBackwardCUDAKernelTemplateIN3c104HalfEfLj64ELj1ELj32ELb1ELb0ELb1EEEvllPKT_S7_PKT0_SA_PS5_SB_,@function
_ZN2at6native12_GLOBAL__N_135GammaBetaBackwardCUDAKernelTemplateIN3c104HalfEfLj64ELj1ELj32ELb1ELb0ELb1EEEvllPKT_S7_PKT0_SA_PS5_SB_: ; @_ZN2at6native12_GLOBAL__N_135GammaBetaBackwardCUDAKernelTemplateIN3c104HalfEfLj64ELj1ELj32ELb1ELb0ELb1EEEvllPKT_S7_PKT0_SA_PS5_SB_
; %bb.0:
	s_load_b256 s[4:11], s[0:1], 0x0
	s_bfe_u32 s3, ttmp6, 0x4000c
	s_bfe_u32 s12, ttmp6, 0x40010
	s_add_co_i32 s3, s3, 1
	s_add_co_i32 s12, s12, 1
	s_and_b32 s2, ttmp6, 15
	s_bfe_u32 s13, ttmp6, 0x40004
	s_mul_i32 s3, ttmp9, s3
	s_mul_i32 s12, ttmp7, s12
	s_getreg_b32 s14, hwreg(HW_REG_IB_STS2, 6, 4)
	s_add_co_i32 s2, s2, s3
	s_add_co_i32 s13, s13, s12
	s_cmp_eq_u32 s14, 0
	s_mov_b32 s17, 0
	s_cselect_b32 s12, ttmp9, s2
	s_cselect_b32 s30, ttmp7, s13
	s_lshl_b32 s13, s12, 6
	s_load_b64 s[14:15], s[0:1], 0x28
	s_or_b32 s16, s13, 63
	s_wait_kmcnt 0x0
	v_cmp_le_i64_e64 s2, s[6:7], s[16:17]
	s_lshl_b32 s16, s30, 5
	s_delay_alu instid0(SALU_CYCLE_1) | instskip(SKIP_2) | instid1(VALU_DEP_1)
	v_cmp_gt_i64_e64 s31, s[4:5], s[16:17]
	s_and_b32 vcc_lo, exec_lo, s2
	v_cndmask_b32_e64 v1, 0, 1, s31
	v_cmp_ne_u32_e64 s2, 1, v1
	s_cbranch_vccz .LBB166_141
; %bb.1:
	s_set_vgpr_msb 64                       ;  msbs: dst=1 src0=0 src1=0 src2=0
	v_mov_b32_e32 v38 /*v294*/, 0
	s_and_b32 vcc_lo, exec_lo, s2
	s_set_vgpr_msb 0                        ;  msbs: dst=0 src0=0 src1=0 src2=0
	s_cbranch_vccnz .LBB166_142
; %bb.2:
	v_bfe_u32 v1, v0, 10, 10
	v_mov_b32_e32 v2, 0
	v_and_b32_e32 v182, 0x3ff, v0
	s_load_b32 s3, s[0:1], 0x44
	s_mov_b32 s19, 0
	s_delay_alu instid0(VALU_DEP_2) | instskip(NEXT) | instid1(VALU_DEP_2)
	v_dual_mov_b32 v37, v2 :: v_dual_lshlrev_b32 v36, 5, v1
	v_dual_mov_b32 v9, v2 :: v_dual_add_nc_u32 v8, s13, v182
	v_mov_b32_e32 v183, 0
	s_mov_b32 s23, s19
	s_delay_alu instid0(VALU_DEP_3)
	v_add_nc_u64_e32 v[4:5], s[16:17], v[36:37]
	s_add_nc_u64 s[20:21], s[0:1], 64
	v_cmp_gt_i64_e64 s2, s[6:7], v[8:9]
	v_lshlrev_b64_e32 v[38:39], 1, v[8:9]
	s_mov_b64 s[26:27], 31
	s_mov_b64 s[28:29], s[16:17]
	v_add_nc_u64_e32 v[10:11], 31, v[4:5]
	v_add_nc_u64_e32 v[14:15], 29, v[4:5]
	;; [unrolled: 1-line block ×7, first 2 shown]
	v_mul_u64_e32 v[10:11], s[6:7], v[10:11]
	v_mul_u64_e32 v[14:15], s[6:7], v[14:15]
	;; [unrolled: 1-line block ×6, first 2 shown]
	v_add_nc_u64_e32 v[18:19], 27, v[4:5]
	v_add_nc_u64_e32 v[22:23], 25, v[4:5]
	;; [unrolled: 1-line block ×3, first 2 shown]
	v_mul_u64_e32 v[24:25], s[6:7], v[24:25]
	v_add_nc_u64_e32 v[30:31], 20, v[4:5]
	v_add_nc_u64_e32 v[32:33], 19, v[4:5]
	;; [unrolled: 1-line block ×3, first 2 shown]
	v_mul_u64_e32 v[18:19], s[6:7], v[18:19]
	v_mul_u64_e32 v[22:23], s[6:7], v[22:23]
	;; [unrolled: 1-line block ×3, first 2 shown]
	v_add_nc_u64_e32 v[20:21], 26, v[4:5]
	v_mul_u64_e32 v[30:31], s[6:7], v[30:31]
	v_mul_u64_e32 v[32:33], s[6:7], v[32:33]
	;; [unrolled: 1-line block ×4, first 2 shown]
	s_wait_kmcnt 0x0
	s_lshl_b32 s22, s3, 5
	v_mul_u64_e32 v[20:21], s[6:7], v[20:21]
	s_mul_u64 s[24:25], s[6:7], s[22:23]
	s_delay_alu instid0(SALU_CYCLE_1)
	s_lshl_b64 s[24:25], s[24:25], 1
	v_lshlrev_b64_e32 v[10:11], 1, v[10:11]
	v_lshlrev_b64_e32 v[14:15], 1, v[14:15]
	v_lshlrev_b64_e32 v[16:17], 1, v[16:17]
	v_lshlrev_b64_e32 v[8:9], 1, v[8:9]
	v_lshlrev_b64_e32 v[12:13], 1, v[12:13]
	v_add_nc_u64_e32 v[44:45], s[8:9], v[10:11]
	v_add_nc_u64_e32 v[46:47], s[10:11], v[10:11]
	;; [unrolled: 1-line block ×8, first 2 shown]
	v_lshlrev_b64_e32 v[16:17], 1, v[26:27]
	v_mul_u64_e32 v[10:11], s[6:7], v[10:11]
	v_add_nc_u64_e32 v[76:77], s[8:9], v[8:9]
	v_add_nc_u64_e32 v[78:79], s[10:11], v[8:9]
	;; [unrolled: 1-line block ×4, first 2 shown]
	v_mul_u64_e32 v[8:9], s[6:7], v[14:15]
	v_add_nc_u64_e32 v[80:81], s[8:9], v[16:17]
	v_add_nc_u64_e32 v[82:83], s[10:11], v[16:17]
	;; [unrolled: 1-line block ×3, first 2 shown]
	v_lshlrev_b64_e32 v[12:13], 1, v[24:25]
	v_lshlrev_b64_e32 v[18:19], 1, v[18:19]
	;; [unrolled: 1-line block ×3, first 2 shown]
	v_add_nc_u64_e32 v[14:15], 15, v[4:5]
	v_add_nc_u64_e32 v[24:25], 11, v[4:5]
	;; [unrolled: 1-line block ×3, first 2 shown]
	v_mul_u64_e32 v[16:17], s[6:7], v[16:17]
	v_add_nc_u64_e32 v[72:73], s[8:9], v[12:13]
	v_add_nc_u64_e32 v[74:75], s[10:11], v[12:13]
	v_lshlrev_b64_e32 v[12:13], 1, v[28:29]
	v_add_nc_u64_e32 v[60:61], s[8:9], v[18:19]
	v_add_nc_u64_e32 v[62:63], s[10:11], v[18:19]
	;; [unrolled: 1-line block ×4, first 2 shown]
	v_lshlrev_b64_e32 v[18:19], 1, v[30:31]
	v_lshlrev_b64_e32 v[22:23], 1, v[34:35]
	v_add_nc_u64_e32 v[84:85], s[8:9], v[12:13]
	v_add_nc_u64_e32 v[86:87], s[10:11], v[12:13]
	v_lshlrev_b64_e32 v[12:13], 1, v[32:33]
	v_lshlrev_b64_e32 v[20:21], 1, v[20:21]
	v_mul_u64_e32 v[14:15], s[6:7], v[14:15]
	v_add_nc_u64_e32 v[88:89], s[8:9], v[18:19]
	v_add_nc_u64_e32 v[90:91], s[10:11], v[18:19]
	;; [unrolled: 1-line block ×7, first 2 shown]
	v_mul_u64_e32 v[24:25], s[6:7], v[24:25]
	v_lshlrev_b64_e32 v[10:11], 1, v[10:11]
	v_add_nc_u64_e32 v[28:29], 8, v[4:5]
	v_add_nc_u64_e32 v[98:99], s[10:11], v[22:23]
	v_mul_u64_e32 v[22:23], s[6:7], v[26:27]
	v_add_nc_u64_e32 v[26:27], 6, v[4:5]
	v_add_nc_u64_e32 v[64:65], s[8:9], v[20:21]
	;; [unrolled: 1-line block ×4, first 2 shown]
	v_mul_u64_e32 v[18:19], s[6:7], v[18:19]
	v_mul_u64_e32 v[12:13], s[6:7], v[12:13]
	v_add_nc_u64_e32 v[30:31], 7, v[4:5]
	v_lshlrev_b64_e32 v[8:9], 1, v[8:9]
	v_mul_u64_e32 v[28:29], s[6:7], v[28:29]
	v_add_nc_u64_e32 v[100:101], s[8:9], v[10:11]
	v_add_nc_u64_e32 v[32:33], 5, v[4:5]
	;; [unrolled: 1-line block ×3, first 2 shown]
	v_mul_u64_e32 v[10:11], s[6:7], v[26:27]
	v_add_nc_u64_e32 v[26:27], 4, v[4:5]
	v_add_nc_u64_e32 v[34:35], 3, v[4:5]
	;; [unrolled: 1-line block ×3, first 2 shown]
	v_mul_u64_e32 v[20:21], s[6:7], v[20:21]
	v_mul_u64_e32 v[30:31], s[6:7], v[30:31]
	v_add_nc_u64_e32 v[104:105], s[8:9], v[8:9]
	v_mul_u64_e32 v[32:33], s[6:7], v[32:33]
	v_add_nc_u64_e32 v[106:107], s[10:11], v[8:9]
	v_lshlrev_b64_e32 v[8:9], 1, v[16:17]
	v_mul_u64_e32 v[16:17], s[6:7], v[26:27]
	v_mul_u64_e32 v[26:27], s[6:7], v[34:35]
	;; [unrolled: 1-line block ×3, first 2 shown]
	v_lshlrev_b64_e32 v[14:15], 1, v[14:15]
	v_lshlrev_b64_e32 v[42:43], 1, v[6:7]
	v_add_nc_u64_e32 v[6:7], s[6:7], v[6:7]
	v_add_nc_u64_e32 v[112:113], s[8:9], v[8:9]
	v_add_nc_u64_e32 v[114:115], s[10:11], v[8:9]
	v_lshlrev_b64_e32 v[8:9], 1, v[24:25]
	v_add_nc_u64_e32 v[108:109], s[8:9], v[14:15]
	v_add_nc_u64_e32 v[110:111], s[10:11], v[14:15]
	v_lshlrev_b64_e32 v[6:7], 1, v[6:7]
	v_add_nc_u64_e32 v[40:41], s[8:9], v[42:43]
	v_lshlrev_b64_e32 v[14:15], 1, v[18:19]
	v_lshlrev_b64_e32 v[12:13], 1, v[12:13]
	v_add_nc_u64_e32 v[124:125], s[8:9], v[8:9]
	v_add_nc_u64_e32 v[126:127], s[10:11], v[8:9]
	v_lshlrev_b64_e32 v[8:9], 1, v[28:29]
	v_add_nc_u64_e32 v[42:43], s[10:11], v[42:43]
	v_add_nc_u64_e32 v[164:165], s[8:9], v[6:7]
	;; [unrolled: 1-line block ×3, first 2 shown]
	v_lshlrev_b64_e32 v[10:11], 1, v[10:11]
	v_add_nc_u64_e32 v[122:123], s[10:11], v[14:15]
	v_lshlrev_b64_e32 v[14:15], 1, v[22:23]
	v_add_nc_u64_e32 v[128:129], s[8:9], v[12:13]
	v_lshlrev_b64_e32 v[20:21], 1, v[20:21]
	v_lshlrev_b64_e32 v[18:19], 1, v[30:31]
	v_add_nc_u64_e32 v[130:131], s[10:11], v[12:13]
	v_add_nc_u64_e32 v[136:137], s[8:9], v[8:9]
	;; [unrolled: 1-line block ×3, first 2 shown]
	v_lshlrev_b64_e32 v[8:9], 1, v[32:33]
	v_add_nc_u64_e32 v[144:145], s[8:9], v[10:11]
	v_lshlrev_b64_e32 v[12:13], 1, v[16:17]
	v_add_nc_u64_e32 v[146:147], s[10:11], v[10:11]
	v_lshlrev_b64_e32 v[10:11], 1, v[26:27]
	v_lshlrev_b64_e32 v[4:5], 1, v[4:5]
	v_add_nc_u64_e32 v[116:117], s[8:9], v[20:21]
	v_add_nc_u64_e32 v[118:119], s[10:11], v[20:21]
	v_add_nc_u64_e32 v[132:133], s[8:9], v[14:15]
	v_add_nc_u64_e32 v[134:135], s[10:11], v[14:15]
	v_add_nc_u64_e32 v[140:141], s[8:9], v[18:19]
	v_add_nc_u64_e32 v[142:143], s[10:11], v[18:19]
	v_add_nc_u64_e32 v[148:149], s[8:9], v[8:9]
	v_add_nc_u64_e32 v[150:151], s[10:11], v[8:9]
	v_add_nc_u64_e32 v[152:153], s[8:9], v[12:13]
	v_add_nc_u64_e32 v[154:155], s[10:11], v[12:13]
	v_add_nc_u64_e32 v[156:157], s[8:9], v[10:11]
	v_add_nc_u64_e32 v[158:159], s[10:11], v[10:11]
	v_add_nc_u64_e32 v[160:161], s[8:9], v[4:5]
	v_add_nc_u64_e32 v[162:163], s[10:11], v[4:5]
	v_add_nc_u64_e32 v[166:167], s[10:11], v[6:7]
.LBB166_3:                              ; =>This Inner Loop Header: Depth=1
	s_add_nc_u64 s[34:35], s[16:17], s[26:27]
	v_add_nc_u64_e32 v[168:169], s[16:17], v[36:37]
	v_cmp_ge_i64_e64 s3, s[34:35], s[4:5]
                                        ; implicit-def: $vgpr294
                                        ; implicit-def: $vgpr203
                                        ; implicit-def: $vgpr4_vgpr5_vgpr6_vgpr7_vgpr8_vgpr9_vgpr10_vgpr11_vgpr12_vgpr13_vgpr14_vgpr15_vgpr16_vgpr17_vgpr18_vgpr19_vgpr20_vgpr21_vgpr22_vgpr23_vgpr24_vgpr25_vgpr26_vgpr27_vgpr28_vgpr29_vgpr30_vgpr31_vgpr32_vgpr33_vgpr34_vgpr35
                                        ; implicit-def: $vgpr3
	s_and_b32 vcc_lo, exec_lo, s3
	s_mov_b32 s3, -1
	s_cbranch_vccz .LBB166_71
; %bb.4:                                ;   in Loop: Header=BB166_3 Depth=1
	s_load_b32 s3, s[20:21], 0xc
	v_dual_mov_b32 v185, 0 :: v_dual_mov_b32 v184, 0
	v_mov_b32_e32 v5, v2
	s_wait_kmcnt 0x0
	s_and_b32 s3, s3, 0xffff
	s_delay_alu instid0(SALU_CYCLE_1) | instskip(SKIP_1) | instid1(VALU_DEP_1)
	v_mad_u32_u24 v3, v1, s3, v182
	s_mov_b32 s3, exec_lo
	v_and_b32_e32 v4, 31, v3
	s_delay_alu instid0(VALU_DEP_1) | instskip(NEXT) | instid1(VALU_DEP_1)
	v_add_nc_u64_e32 v[4:5], v[168:169], v[4:5]
	v_cmpx_gt_i64_e64 s[4:5], v[4:5]
	s_cbranch_execz .LBB166_6
; %bb.5:                                ;   in Loop: Header=BB166_3 Depth=1
	v_lshl_add_u64 v[4:5], v[4:5], 2, s[14:15]
	global_load_b32 v184, v[4:5], off
.LBB166_6:                              ;   in Loop: Header=BB166_3 Depth=1
	s_wait_xcnt 0x0
	s_or_b32 exec_lo, exec_lo, s3
	v_dual_mov_b32 v31, v2 :: v_dual_mov_b32 v32, v2
	v_dual_mov_b32 v33, v2 :: v_dual_mov_b32 v3, v2
	;; [unrolled: 1-line block ×15, first 2 shown]
	v_mov_b32_e32 v30, v2
	v_cmp_gt_i64_e32 vcc_lo, s[4:5], v[168:169]
	v_mov_b64_e32 v[34:35], v[32:33]
	s_delay_alu instid0(VALU_DEP_3)
	v_mov_b64_e32 v[32:33], v[30:31]
	v_mov_b64_e32 v[30:31], v[28:29]
	;; [unrolled: 1-line block ×15, first 2 shown]
	s_and_b32 s18, s2, vcc_lo
	s_delay_alu instid0(SALU_CYCLE_1)
	s_and_saveexec_b32 s3, s18
	s_cbranch_execz .LBB166_8
; %bb.7:                                ;   in Loop: Header=BB166_3 Depth=1
	v_add_nc_u64_e32 v[4:5], v[40:41], v[38:39]
	v_add_nc_u64_e32 v[6:7], v[42:43], v[38:39]
	v_dual_mov_b32 v9, v2 :: v_dual_mov_b32 v10, v2
	v_dual_mov_b32 v11, v2 :: v_dual_mov_b32 v12, v2
	;; [unrolled: 1-line block ×3, first 2 shown]
	global_load_u16 v3, v[4:5], off
	global_load_u16 v170, v[6:7], off
	s_wait_xcnt 0x0
	v_dual_mov_b32 v5, v2 :: v_dual_mov_b32 v6, v2
	v_dual_mov_b32 v7, v2 :: v_dual_mov_b32 v8, v2
	;; [unrolled: 1-line block ×12, first 2 shown]
	v_mov_b32_e32 v35, v2
	s_wait_loadcnt 0x1
	v_cvt_f32_f16_e32 v4, v3
	s_wait_loadcnt 0x0
	v_cvt_f32_f16_e64 v185, v170
.LBB166_8:                              ;   in Loop: Header=BB166_3 Depth=1
	s_or_b32 exec_lo, exec_lo, s3
	v_add_nc_u64_e32 v[170:171], 1, v[168:169]
	v_dual_mov_b32 v3, 0 :: v_dual_mov_b32 v186, 0
	s_delay_alu instid0(VALU_DEP_2) | instskip(SKIP_1) | instid1(SALU_CYCLE_1)
	v_cmp_gt_i64_e32 vcc_lo, s[4:5], v[170:171]
	s_and_b32 s18, s2, vcc_lo
	s_and_saveexec_b32 s3, s18
	s_cbranch_execz .LBB166_10
; %bb.9:                                ;   in Loop: Header=BB166_3 Depth=1
	v_add_nc_u64_e32 v[170:171], v[164:165], v[38:39]
	v_add_nc_u64_e32 v[172:173], v[166:167], v[38:39]
	global_load_u16 v5, v[170:171], off
	global_load_u16 v174, v[172:173], off
	s_wait_loadcnt 0x1
	v_cvt_f32_f16_e32 v5, v5
	s_wait_loadcnt 0x0
	v_cvt_f32_f16_e64 v186, v174
.LBB166_10:                             ;   in Loop: Header=BB166_3 Depth=1
	s_or_b32 exec_lo, exec_lo, s3
	v_add_nc_u64_e32 v[170:171], 2, v[168:169]
	s_delay_alu instid0(VALU_DEP_1) | instskip(SKIP_1) | instid1(SALU_CYCLE_1)
	v_cmp_gt_i64_e32 vcc_lo, s[4:5], v[170:171]
	s_and_b32 s18, s2, vcc_lo
	s_and_saveexec_b32 s3, s18
	s_cbranch_execz .LBB166_12
; %bb.11:                               ;   in Loop: Header=BB166_3 Depth=1
	v_add_nc_u64_e32 v[170:171], v[160:161], v[38:39]
	v_add_nc_u64_e32 v[172:173], v[162:163], v[38:39]
	global_load_u16 v3, v[170:171], off
	global_load_u16 v174, v[172:173], off
	s_wait_loadcnt 0x1
	v_cvt_f32_f16_e32 v6, v3
	s_wait_loadcnt 0x0
	v_cvt_f32_f16_e64 v3, v174
.LBB166_12:                             ;   in Loop: Header=BB166_3 Depth=1
	s_or_b32 exec_lo, exec_lo, s3
	v_add_nc_u64_e32 v[170:171], 3, v[168:169]
	v_dual_mov_b32 v187, 0 :: v_dual_mov_b32 v188, 0
	s_delay_alu instid0(VALU_DEP_2) | instskip(SKIP_1) | instid1(SALU_CYCLE_1)
	v_cmp_gt_i64_e32 vcc_lo, s[4:5], v[170:171]
	s_and_b32 s18, s2, vcc_lo
	s_and_saveexec_b32 s3, s18
	s_cbranch_execz .LBB166_14
; %bb.13:                               ;   in Loop: Header=BB166_3 Depth=1
	v_add_nc_u64_e32 v[170:171], v[156:157], v[38:39]
	v_add_nc_u64_e32 v[172:173], v[158:159], v[38:39]
	global_load_u16 v7, v[170:171], off
	global_load_u16 v174, v[172:173], off
	s_wait_loadcnt 0x1
	v_cvt_f32_f16_e32 v7, v7
	s_wait_loadcnt 0x0
	v_cvt_f32_f16_e64 v188, v174
.LBB166_14:                             ;   in Loop: Header=BB166_3 Depth=1
	s_or_b32 exec_lo, exec_lo, s3
	v_add_nc_u64_e32 v[170:171], 4, v[168:169]
	s_delay_alu instid0(VALU_DEP_1) | instskip(SKIP_1) | instid1(SALU_CYCLE_1)
	v_cmp_gt_i64_e32 vcc_lo, s[4:5], v[170:171]
	s_and_b32 s18, s2, vcc_lo
	s_and_saveexec_b32 s3, s18
	s_cbranch_execz .LBB166_16
; %bb.15:                               ;   in Loop: Header=BB166_3 Depth=1
	v_add_nc_u64_e32 v[170:171], v[152:153], v[38:39]
	v_add_nc_u64_e32 v[172:173], v[154:155], v[38:39]
	global_load_u16 v8, v[170:171], off
	global_load_u16 v174, v[172:173], off
	s_wait_loadcnt 0x1
	v_cvt_f32_f16_e32 v8, v8
	s_wait_loadcnt 0x0
	v_cvt_f32_f16_e64 v187, v174
.LBB166_16:                             ;   in Loop: Header=BB166_3 Depth=1
	s_or_b32 exec_lo, exec_lo, s3
	v_add_nc_u64_e32 v[170:171], 5, v[168:169]
	v_dual_mov_b32 v189, 0 :: v_dual_mov_b32 v190, 0
	s_delay_alu instid0(VALU_DEP_2) | instskip(SKIP_1) | instid1(SALU_CYCLE_1)
	v_cmp_gt_i64_e32 vcc_lo, s[4:5], v[170:171]
	s_and_b32 s18, s2, vcc_lo
	s_and_saveexec_b32 s3, s18
	s_cbranch_execz .LBB166_18
; %bb.17:                               ;   in Loop: Header=BB166_3 Depth=1
	v_add_nc_u64_e32 v[170:171], v[148:149], v[38:39]
	v_add_nc_u64_e32 v[172:173], v[150:151], v[38:39]
	global_load_u16 v9, v[170:171], off
	global_load_u16 v174, v[172:173], off
	s_wait_loadcnt 0x1
	v_cvt_f32_f16_e32 v9, v9
	s_wait_loadcnt 0x0
	v_cvt_f32_f16_e64 v190, v174
.LBB166_18:                             ;   in Loop: Header=BB166_3 Depth=1
	;; [unrolled: 35-line block ×8, first 2 shown]
	s_or_b32 exec_lo, exec_lo, s3
	v_add_nc_u64_e32 v[170:171], 18, v[168:169]
	s_delay_alu instid0(VALU_DEP_1) | instskip(SKIP_1) | instid1(SALU_CYCLE_1)
	v_cmp_gt_i64_e32 vcc_lo, s[4:5], v[170:171]
	s_and_b32 s18, s2, vcc_lo
	s_and_saveexec_b32 s3, s18
	s_cbranch_execz .LBB166_44
; %bb.43:                               ;   in Loop: Header=BB166_3 Depth=1
	v_add_nc_u64_e32 v[170:171], v[96:97], v[38:39]
	v_add_nc_u64_e32 v[172:173], v[98:99], v[38:39]
	global_load_u16 v22, v[170:171], off
	global_load_u16 v174, v[172:173], off
	s_wait_loadcnt 0x1
	v_cvt_f32_f16_e32 v22, v22
	s_wait_loadcnt 0x0
	v_cvt_f32_f16_e64 v201, v174
.LBB166_44:                             ;   in Loop: Header=BB166_3 Depth=1
	s_or_b32 exec_lo, exec_lo, s3
	v_add_nc_u64_e32 v[170:171], 19, v[168:169]
	s_delay_alu instid0(VALU_DEP_1) | instskip(SKIP_2) | instid1(SALU_CYCLE_1)
	v_cmp_gt_i64_e32 vcc_lo, s[4:5], v[170:171]
	v_dual_mov_b32 v171, 0 :: v_dual_mov_b32 v170, 0
	s_and_b32 s18, s2, vcc_lo
	s_and_saveexec_b32 s3, s18
	s_cbranch_execz .LBB166_46
; %bb.45:                               ;   in Loop: Header=BB166_3 Depth=1
	v_add_nc_u64_e32 v[172:173], v[92:93], v[38:39]
	v_add_nc_u64_e32 v[174:175], v[94:95], v[38:39]
	global_load_u16 v23, v[172:173], off
	global_load_u16 v170, v[174:175], off
	s_wait_loadcnt 0x1
	v_cvt_f32_f16_e32 v23, v23
	s_wait_loadcnt 0x0
	v_cvt_f32_f16_e64 v170, v170
.LBB166_46:                             ;   in Loop: Header=BB166_3 Depth=1
	s_or_b32 exec_lo, exec_lo, s3
	v_add_nc_u64_e32 v[172:173], 20, v[168:169]
	s_delay_alu instid0(VALU_DEP_1) | instskip(SKIP_1) | instid1(SALU_CYCLE_1)
	v_cmp_gt_i64_e32 vcc_lo, s[4:5], v[172:173]
	s_and_b32 s18, s2, vcc_lo
	s_and_saveexec_b32 s3, s18
	s_cbranch_execz .LBB166_48
; %bb.47:                               ;   in Loop: Header=BB166_3 Depth=1
	v_add_nc_u64_e32 v[172:173], v[88:89], v[38:39]
	v_add_nc_u64_e32 v[174:175], v[90:91], v[38:39]
	global_load_u16 v24, v[172:173], off
	global_load_u16 v171, v[174:175], off
	s_wait_loadcnt 0x1
	v_cvt_f32_f16_e32 v24, v24
	s_wait_loadcnt 0x0
	v_cvt_f32_f16_e64 v171, v171
.LBB166_48:                             ;   in Loop: Header=BB166_3 Depth=1
	s_or_b32 exec_lo, exec_lo, s3
	v_add_nc_u64_e32 v[172:173], 21, v[168:169]
	s_delay_alu instid0(VALU_DEP_1) | instskip(SKIP_2) | instid1(SALU_CYCLE_1)
	v_cmp_gt_i64_e32 vcc_lo, s[4:5], v[172:173]
	v_dual_mov_b32 v173, 0 :: v_dual_mov_b32 v172, 0
	s_and_b32 s18, s2, vcc_lo
	s_and_saveexec_b32 s3, s18
	s_cbranch_execz .LBB166_50
; %bb.49:                               ;   in Loop: Header=BB166_3 Depth=1
	v_add_nc_u64_e32 v[174:175], v[84:85], v[38:39]
	v_add_nc_u64_e32 v[176:177], v[86:87], v[38:39]
	global_load_u16 v25, v[174:175], off
	global_load_u16 v172, v[176:177], off
	s_wait_loadcnt 0x1
	v_cvt_f32_f16_e32 v25, v25
	s_wait_loadcnt 0x0
	v_cvt_f32_f16_e64 v172, v172
.LBB166_50:                             ;   in Loop: Header=BB166_3 Depth=1
	;; [unrolled: 35-line block ×6, first 2 shown]
	s_or_b32 exec_lo, exec_lo, s3
	v_add_nc_u64_e32 v[204:205], 30, v[168:169]
	s_delay_alu instid0(VALU_DEP_1) | instskip(SKIP_1) | instid1(SALU_CYCLE_1)
	v_cmp_gt_i64_e32 vcc_lo, s[4:5], v[204:205]
	s_and_b32 s18, s2, vcc_lo
	s_and_saveexec_b32 s3, s18
	s_cbranch_execz .LBB166_68
; %bb.67:                               ;   in Loop: Header=BB166_3 Depth=1
	v_add_nc_u64_e32 v[204:205], v[48:49], v[38:39]
	v_add_nc_u64_e32 v[206:207], v[50:51], v[38:39]
	global_load_u16 v34, v[204:205], off
	global_load_u16 v181, v[206:207], off
	s_wait_loadcnt 0x1
	v_cvt_f32_f16_e32 v34, v34
	s_wait_loadcnt 0x0
	v_cvt_f32_f16_e64 v181, v181
.LBB166_68:                             ;   in Loop: Header=BB166_3 Depth=1
	s_or_b32 exec_lo, exec_lo, s3
	v_add_nc_u64_e32 v[204:205], 31, v[168:169]
	v_mov_b32_e32 v203, 0
	s_delay_alu instid0(VALU_DEP_2) | instskip(SKIP_1) | instid1(SALU_CYCLE_1)
	v_cmp_gt_i64_e32 vcc_lo, s[4:5], v[204:205]
	s_and_b32 s18, s2, vcc_lo
	s_and_saveexec_b32 s3, s18
	s_cbranch_execz .LBB166_70
; %bb.69:                               ;   in Loop: Header=BB166_3 Depth=1
	v_add_nc_u64_e32 v[204:205], v[44:45], v[38:39]
	v_add_nc_u64_e32 v[206:207], v[46:47], v[38:39]
	global_load_u16 v35, v[204:205], off
	global_load_u16 v203, v[206:207], off
	s_wait_loadcnt 0x1
	v_cvt_f32_f16_e32 v35, v35
	s_wait_loadcnt 0x0
	v_cvt_f32_f16_e64 v203, v203
.LBB166_70:                             ;   in Loop: Header=BB166_3 Depth=1
	s_or_b32 exec_lo, exec_lo, s3
	s_wait_loadcnt 0x0
	ds_bpermute_b32 v204, v2, v184
	ds_bpermute_b32 v205, v2, v184 offset:4
	ds_bpermute_b32 v206, v2, v184 offset:8
	v_dual_mul_f32 v4, v185, v4 :: v_dual_mul_f32 v5, v186, v5
	ds_bpermute_b32 v185, v2, v184 offset:12
	ds_bpermute_b32 v186, v2, v184 offset:16
	s_mov_b32 s3, 0
	v_mul_f32_e32 v3, v3, v6
	ds_bpermute_b32 v6, v2, v184 offset:24
	s_wait_dscnt 0x5
	v_fma_f32 v204, v4, v204, v183
	ds_bpermute_b32 v4, v2, v184 offset:20
	s_wait_dscnt 0x5
	v_dual_fmac_f32 v204, v5, v205 :: v_dual_mul_f32 v5, v188, v7
	ds_bpermute_b32 v7, v2, v184 offset:28
	s_wait_dscnt 0x5
	v_fmac_f32_e32 v204, v3, v206
	v_mul_f32_e32 v3, v187, v8
	ds_bpermute_b32 v8, v2, v184 offset:32
	s_wait_dscnt 0x5
	v_fmac_f32_e32 v204, v5, v185
	v_mul_f32_e32 v5, v190, v9
	ds_bpermute_b32 v9, v2, v184 offset:36
	s_wait_dscnt 0x5
	v_fmac_f32_e32 v204, v3, v186
	s_wait_dscnt 0x3
	s_delay_alu instid0(VALU_DEP_1)
	v_dual_fmac_f32 v204, v5, v4 :: v_dual_mul_f32 v4, v192, v11
	v_mul_f32_e32 v3, v189, v10
	ds_bpermute_b32 v5, v2, v184 offset:40
	ds_bpermute_b32 v10, v2, v184 offset:60
	;; [unrolled: 1-line block ×3, first 2 shown]
	v_fmac_f32_e32 v204, v3, v6
	ds_bpermute_b32 v6, v2, v184 offset:44
	s_wait_dscnt 0x6
	v_dual_fmac_f32 v204, v4, v7 :: v_dual_mul_f32 v4, v194, v13
	v_mul_f32_e32 v3, v191, v12
	ds_bpermute_b32 v7, v2, v184 offset:48
	ds_bpermute_b32 v12, v2, v184 offset:68
	s_wait_dscnt 0x7
	v_dual_mul_f32 v13, v202, v21 :: v_dual_fmac_f32 v204, v3, v8
	v_mul_f32_e32 v3, v193, v14
	ds_bpermute_b32 v8, v2, v184 offset:52
	ds_bpermute_b32 v14, v2, v184 offset:72
	s_wait_dscnt 0x8
	v_fmac_f32_e32 v204, v4, v9
	v_mul_f32_e32 v4, v196, v15
	ds_bpermute_b32 v9, v2, v184 offset:56
	ds_bpermute_b32 v15, v2, v184 offset:104
	s_wait_dscnt 0x9
	v_fmac_f32_e32 v204, v3, v5
	v_mul_f32_e32 v3, v195, v16
	ds_bpermute_b32 v5, v2, v184 offset:80
	s_wait_dscnt 0x7
	v_dual_fmac_f32 v204, v4, v6 :: v_dual_mul_f32 v4, v198, v17
	s_wait_dscnt 0x6
	s_delay_alu instid0(VALU_DEP_1) | instskip(SKIP_2) | instid1(VALU_DEP_2)
	v_dual_fmac_f32 v204, v3, v7 :: v_dual_mul_f32 v3, v197, v18
	v_mov_b32_e32 v7, v24
	s_wait_dscnt 0x4
	v_fmac_f32_e32 v204, v4, v8
	v_mul_f32_e32 v6, v200, v19
	ds_bpermute_b32 v4, v2, v184 offset:76
	ds_bpermute_b32 v8, v2, v184 offset:84
	s_wait_dscnt 0x4
	v_fmac_f32_e32 v204, v3, v9
	v_mul_f32_e32 v3, v199, v20
	ds_bpermute_b32 v9, v2, v184 offset:88
	v_dual_fmac_f32 v204, v6, v10 :: v_dual_mov_b32 v6, v23
	s_delay_alu instid0(VALU_DEP_1) | instskip(SKIP_1) | instid1(VALU_DEP_3)
	v_dual_mov_b32 v10, v25 :: v_dual_fmac_f32 v204, v3, v11
	v_mul_f32_e32 v3, v201, v22
	v_pk_mul_f32 v[6:7], v[170:171], v[6:7]
	s_delay_alu instid0(VALU_DEP_3)
	v_dual_mov_b32 v11, v26 :: v_dual_fmac_f32 v204, v13, v12
	ds_bpermute_b32 v12, v2, v184 offset:92
	ds_bpermute_b32 v13, v2, v184 offset:96
	s_wait_dscnt 0x4
	v_pk_mul_f32 v[4:5], v[6:7], v[4:5]
	v_mov_b32_e32 v6, v27
	v_dual_fmac_f32 v204, v3, v14 :: v_dual_mov_b32 v7, v28
	v_pk_mul_f32 v[10:11], v[172:173], v[10:11]
	ds_bpermute_b32 v14, v2, v184 offset:100
	v_dual_add_f32 v3, v204, v4 :: v_dual_mov_b32 v4, v29
	s_wait_dscnt 0x3
	v_pk_mul_f32 v[8:9], v[10:11], v[8:9]
	ds_bpermute_b32 v10, v2, v184 offset:108
	ds_bpermute_b32 v11, v2, v184 offset:112
	v_dual_add_f32 v3, v3, v5 :: v_dual_mov_b32 v5, v30
	v_pk_mul_f32 v[6:7], v[174:175], v[6:7]
	s_delay_alu instid0(VALU_DEP_2) | instskip(SKIP_2) | instid1(VALU_DEP_3)
	v_add_f32_e32 v3, v3, v8
	v_mov_b32_e32 v8, v31
	s_wait_dscnt 0x3
	v_pk_mul_f32 v[6:7], v[6:7], v[12:13]
	v_pk_mul_f32 v[4:5], v[176:177], v[4:5]
	v_dual_add_f32 v3, v3, v9 :: v_dual_mov_b32 v9, v32
	s_wait_dscnt 0x2
	s_delay_alu instid0(VALU_DEP_2) | instskip(NEXT) | instid1(VALU_DEP_2)
	v_pk_mul_f32 v[4:5], v[4:5], v[14:15]
	v_add_f32_e32 v3, v3, v6
	s_delay_alu instid0(VALU_DEP_3)
	v_pk_mul_f32 v[8:9], v[178:179], v[8:9]
	ds_bpermute_b32 v6, v2, v184 offset:116
	s_wait_dscnt 0x1
	v_pk_mul_f32 v[8:9], v[8:9], v[10:11]
	v_add_f32_e32 v3, v3, v7
	ds_bpermute_b32 v7, v2, v184 offset:120
	v_dual_add_f32 v3, v3, v4 :: v_dual_mov_b32 v4, v33
	s_delay_alu instid0(VALU_DEP_1) | instskip(SKIP_3) | instid1(VALU_DEP_2)
	v_dual_add_f32 v10, v3, v5 :: v_dual_mov_b32 v5, v34
	ds_bpermute_b32 v3, v2, v184 offset:124
	v_add_f32_e32 v8, v10, v8
	v_pk_mul_f32 v[4:5], v[180:181], v[4:5]
	v_add_f32_e32 v8, v8, v9
	s_wait_dscnt 0x1
	s_delay_alu instid0(VALU_DEP_2) | instskip(NEXT) | instid1(VALU_DEP_1)
	v_pk_mul_f32 v[4:5], v[4:5], v[6:7]
	v_add_f32_e32 v4, v8, v4
	s_set_vgpr_msb 64                       ;  msbs: dst=1 src0=0 src1=0 src2=0
	s_delay_alu instid0(VALU_DEP_1)
	v_add_f32_e32 v38 /*v294*/, v4, v5
.LBB166_71:                             ;   in Loop: Header=BB166_3 Depth=1
	s_and_b32 vcc_lo, exec_lo, s3
	s_set_vgpr_msb 0                        ;  msbs: dst=0 src0=0 src1=0 src2=0
	s_cbranch_vccz .LBB166_137
; %bb.72:                               ;   in Loop: Header=BB166_3 Depth=1
	s_load_b32 s3, s[20:21], 0x0
	v_dual_mov_b32 v181, 0 :: v_dual_mov_b32 v180, 0
	v_mov_b32_e32 v5, v2
	s_wait_kmcnt 0x0
	s_cmp_lt_u32 s12, s3
	s_cselect_b32 s18, 12, 18
	s_delay_alu instid0(SALU_CYCLE_1)
	s_add_nc_u64 s[34:35], s[20:21], s[18:19]
	s_load_u16 s3, s[34:35], 0x0
	s_wait_dscnt 0x0
	s_wait_kmcnt 0x0
	v_mad_u32_u24 v3, v1, s3, v182
	s_mov_b32 s3, exec_lo
	s_delay_alu instid0(VALU_DEP_1) | instskip(NEXT) | instid1(VALU_DEP_1)
	v_and_b32_e32 v4, 31, v3
	v_add_nc_u64_e32 v[4:5], v[168:169], v[4:5]
	s_delay_alu instid0(VALU_DEP_1)
	v_cmpx_gt_i64_e64 s[4:5], v[4:5]
	s_cbranch_execz .LBB166_74
; %bb.73:                               ;   in Loop: Header=BB166_3 Depth=1
	v_lshl_add_u64 v[4:5], v[4:5], 2, s[14:15]
	global_load_b32 v180, v[4:5], off
.LBB166_74:                             ;   in Loop: Header=BB166_3 Depth=1
	s_wait_xcnt 0x0
	s_or_b32 exec_lo, exec_lo, s3
	v_dual_mov_b32 v31, v2 :: v_dual_mov_b32 v32, v2
	v_dual_mov_b32 v33, v2 :: v_dual_mov_b32 v3, v2
	;; [unrolled: 1-line block ×15, first 2 shown]
	v_mov_b32_e32 v30, v2
	v_mov_b64_e32 v[34:35], v[32:33]
	s_delay_alu instid0(VALU_DEP_2) | instskip(NEXT) | instid1(VALU_DEP_4)
	v_mov_b64_e32 v[32:33], v[30:31]
	v_mov_b64_e32 v[30:31], v[28:29]
	;; [unrolled: 1-line block ×15, first 2 shown]
	s_and_saveexec_b32 s3, s2
	s_cbranch_execz .LBB166_76
; %bb.75:                               ;   in Loop: Header=BB166_3 Depth=1
	v_add_nc_u64_e32 v[4:5], v[40:41], v[38:39]
	v_add_nc_u64_e32 v[6:7], v[42:43], v[38:39]
	v_dual_mov_b32 v9, v2 :: v_dual_mov_b32 v10, v2
	v_dual_mov_b32 v11, v2 :: v_dual_mov_b32 v12, v2
	;; [unrolled: 1-line block ×3, first 2 shown]
	global_load_u16 v3, v[4:5], off
	global_load_u16 v168, v[6:7], off
	s_wait_xcnt 0x0
	v_dual_mov_b32 v5, v2 :: v_dual_mov_b32 v6, v2
	v_dual_mov_b32 v7, v2 :: v_dual_mov_b32 v8, v2
	;; [unrolled: 1-line block ×12, first 2 shown]
	v_mov_b32_e32 v35, v2
	s_wait_loadcnt 0x1
	v_cvt_f32_f16_e32 v4, v3
	s_wait_loadcnt 0x0
	v_cvt_f32_f16_e64 v181, v168
.LBB166_76:                             ;   in Loop: Header=BB166_3 Depth=1
	s_or_b32 exec_lo, exec_lo, s3
	v_dual_mov_b32 v3, 0 :: v_dual_mov_b32 v184, 0
	s_and_saveexec_b32 s3, s2
	s_cbranch_execz .LBB166_78
; %bb.77:                               ;   in Loop: Header=BB166_3 Depth=1
	v_add_nc_u64_e32 v[168:169], v[164:165], v[38:39]
	v_add_nc_u64_e32 v[170:171], v[166:167], v[38:39]
	global_load_u16 v5, v[168:169], off
	global_load_u16 v172, v[170:171], off
	s_wait_loadcnt 0x1
	v_cvt_f32_f16_e32 v5, v5
	s_wait_loadcnt 0x0
	v_cvt_f32_f16_e64 v184, v172
.LBB166_78:                             ;   in Loop: Header=BB166_3 Depth=1
	s_or_b32 exec_lo, exec_lo, s3
	s_and_saveexec_b32 s3, s2
	s_cbranch_execz .LBB166_80
; %bb.79:                               ;   in Loop: Header=BB166_3 Depth=1
	v_add_nc_u64_e32 v[168:169], v[160:161], v[38:39]
	v_add_nc_u64_e32 v[170:171], v[162:163], v[38:39]
	global_load_u16 v3, v[168:169], off
	global_load_u16 v172, v[170:171], off
	s_wait_loadcnt 0x1
	v_cvt_f32_f16_e32 v6, v3
	s_wait_loadcnt 0x0
	v_cvt_f32_f16_e64 v3, v172
.LBB166_80:                             ;   in Loop: Header=BB166_3 Depth=1
	s_or_b32 exec_lo, exec_lo, s3
	v_dual_mov_b32 v185, 0 :: v_dual_mov_b32 v186, 0
	s_and_saveexec_b32 s3, s2
	s_cbranch_execz .LBB166_82
; %bb.81:                               ;   in Loop: Header=BB166_3 Depth=1
	v_add_nc_u64_e32 v[168:169], v[156:157], v[38:39]
	v_add_nc_u64_e32 v[170:171], v[158:159], v[38:39]
	global_load_u16 v7, v[168:169], off
	global_load_u16 v172, v[170:171], off
	s_wait_loadcnt 0x1
	v_cvt_f32_f16_e32 v7, v7
	s_wait_loadcnt 0x0
	v_cvt_f32_f16_e64 v186, v172
.LBB166_82:                             ;   in Loop: Header=BB166_3 Depth=1
	s_or_b32 exec_lo, exec_lo, s3
	s_and_saveexec_b32 s3, s2
	s_cbranch_execz .LBB166_84
; %bb.83:                               ;   in Loop: Header=BB166_3 Depth=1
	v_add_nc_u64_e32 v[168:169], v[152:153], v[38:39]
	v_add_nc_u64_e32 v[170:171], v[154:155], v[38:39]
	global_load_u16 v8, v[168:169], off
	global_load_u16 v172, v[170:171], off
	s_wait_loadcnt 0x1
	v_cvt_f32_f16_e32 v8, v8
	s_wait_loadcnt 0x0
	v_cvt_f32_f16_e64 v185, v172
.LBB166_84:                             ;   in Loop: Header=BB166_3 Depth=1
	;; [unrolled: 27-line block ×5, first 2 shown]
	s_or_b32 exec_lo, exec_lo, s3
	v_dual_mov_b32 v193, 0 :: v_dual_mov_b32 v194, 0
	s_and_saveexec_b32 s3, s2
	s_cbranch_execz .LBB166_98
; %bb.97:                               ;   in Loop: Header=BB166_3 Depth=1
	v_add_nc_u64_e32 v[168:169], v[124:125], v[38:39]
	v_add_nc_u64_e32 v[170:171], v[126:127], v[38:39]
	global_load_u16 v15, v[168:169], off
	global_load_u16 v172, v[170:171], off
	s_wait_loadcnt 0x1
	v_cvt_f32_f16_e32 v15, v15
	s_wait_loadcnt 0x0
	v_cvt_f32_f16_e64 v194, v172
.LBB166_98:                             ;   in Loop: Header=BB166_3 Depth=1
	s_or_b32 exec_lo, exec_lo, s3
	s_and_saveexec_b32 s3, s2
	s_cbranch_execz .LBB166_100
; %bb.99:                               ;   in Loop: Header=BB166_3 Depth=1
	v_add_nc_u64_e32 v[168:169], v[120:121], v[38:39]
	v_add_nc_u64_e32 v[170:171], v[122:123], v[38:39]
	global_load_u16 v16, v[168:169], off
	global_load_u16 v172, v[170:171], off
	s_wait_loadcnt 0x1
	v_cvt_f32_f16_e32 v16, v16
	s_wait_loadcnt 0x0
	v_cvt_f32_f16_e64 v193, v172
.LBB166_100:                            ;   in Loop: Header=BB166_3 Depth=1
	s_or_b32 exec_lo, exec_lo, s3
	v_dual_mov_b32 v195, 0 :: v_dual_mov_b32 v196, 0
	s_and_saveexec_b32 s3, s2
	s_cbranch_execz .LBB166_102
; %bb.101:                              ;   in Loop: Header=BB166_3 Depth=1
	v_add_nc_u64_e32 v[168:169], v[116:117], v[38:39]
	v_add_nc_u64_e32 v[170:171], v[118:119], v[38:39]
	global_load_u16 v17, v[168:169], off
	global_load_u16 v172, v[170:171], off
	s_wait_loadcnt 0x1
	v_cvt_f32_f16_e32 v17, v17
	s_wait_loadcnt 0x0
	v_cvt_f32_f16_e64 v196, v172
.LBB166_102:                            ;   in Loop: Header=BB166_3 Depth=1
	s_or_b32 exec_lo, exec_lo, s3
	s_and_saveexec_b32 s3, s2
	s_cbranch_execz .LBB166_104
; %bb.103:                              ;   in Loop: Header=BB166_3 Depth=1
	v_add_nc_u64_e32 v[168:169], v[112:113], v[38:39]
	v_add_nc_u64_e32 v[170:171], v[114:115], v[38:39]
	global_load_u16 v18, v[168:169], off
	global_load_u16 v172, v[170:171], off
	s_wait_loadcnt 0x1
	v_cvt_f32_f16_e32 v18, v18
	s_wait_loadcnt 0x0
	v_cvt_f32_f16_e64 v195, v172
.LBB166_104:                            ;   in Loop: Header=BB166_3 Depth=1
	s_or_b32 exec_lo, exec_lo, s3
	v_dual_mov_b32 v197, 0 :: v_dual_mov_b32 v198, 0
	s_and_saveexec_b32 s3, s2
	s_cbranch_execz .LBB166_106
; %bb.105:                              ;   in Loop: Header=BB166_3 Depth=1
	v_add_nc_u64_e32 v[168:169], v[108:109], v[38:39]
	v_add_nc_u64_e32 v[170:171], v[110:111], v[38:39]
	global_load_u16 v19, v[168:169], off
	global_load_u16 v172, v[170:171], off
	s_wait_loadcnt 0x1
	v_cvt_f32_f16_e32 v19, v19
	s_wait_loadcnt 0x0
	v_cvt_f32_f16_e64 v198, v172
.LBB166_106:                            ;   in Loop: Header=BB166_3 Depth=1
	s_or_b32 exec_lo, exec_lo, s3
	s_and_saveexec_b32 s3, s2
	s_cbranch_execz .LBB166_108
; %bb.107:                              ;   in Loop: Header=BB166_3 Depth=1
	v_add_nc_u64_e32 v[168:169], v[104:105], v[38:39]
	v_add_nc_u64_e32 v[170:171], v[106:107], v[38:39]
	global_load_u16 v20, v[168:169], off
	global_load_u16 v172, v[170:171], off
	s_wait_loadcnt 0x1
	v_cvt_f32_f16_e32 v20, v20
	s_wait_loadcnt 0x0
	v_cvt_f32_f16_e64 v197, v172
.LBB166_108:                            ;   in Loop: Header=BB166_3 Depth=1
	;; [unrolled: 27-line block ×8, first 2 shown]
	s_or_b32 exec_lo, exec_lo, s3
	v_dual_mov_b32 v179, 0 :: v_dual_mov_b32 v178, 0
	s_and_saveexec_b32 s3, s2
	s_cbranch_execnz .LBB166_139
; %bb.133:                              ;   in Loop: Header=BB166_3 Depth=1
	s_or_b32 exec_lo, exec_lo, s3
	s_and_saveexec_b32 s3, s2
	s_cbranch_execnz .LBB166_140
.LBB166_134:                            ;   in Loop: Header=BB166_3 Depth=1
	s_or_b32 exec_lo, exec_lo, s3
	v_mov_b32_e32 v203, 0
	s_and_saveexec_b32 s3, s2
	s_cbranch_execz .LBB166_136
.LBB166_135:                            ;   in Loop: Header=BB166_3 Depth=1
	v_add_nc_u64_e32 v[202:203], v[44:45], v[38:39]
	v_add_nc_u64_e32 v[204:205], v[46:47], v[38:39]
	global_load_u16 v35, v[202:203], off
	global_load_u16 v201, v[204:205], off
	s_wait_loadcnt 0x1
	v_cvt_f32_f16_e32 v35, v35
	s_wait_loadcnt 0x0
	v_cvt_f32_f16_e64 v203, v201
.LBB166_136:                            ;   in Loop: Header=BB166_3 Depth=1
	s_or_b32 exec_lo, exec_lo, s3
	s_wait_loadcnt 0x0
	ds_bpermute_b32 v201, v2, v180
	ds_bpermute_b32 v202, v2, v180 offset:4
	ds_bpermute_b32 v204, v2, v180 offset:8
	v_dual_mul_f32 v4, v181, v4 :: v_dual_mul_f32 v5, v184, v5
	ds_bpermute_b32 v181, v2, v180 offset:12
	ds_bpermute_b32 v184, v2, v180 offset:16
	v_mul_f32_e32 v3, v3, v6
	ds_bpermute_b32 v6, v2, v180 offset:24
	s_wait_dscnt 0x5
	v_fmac_f32_e32 v183, v4, v201
	ds_bpermute_b32 v4, v2, v180 offset:20
	s_wait_dscnt 0x5
	v_dual_fmac_f32 v183, v5, v202 :: v_dual_mul_f32 v5, v186, v7
	ds_bpermute_b32 v7, v2, v180 offset:28
	s_wait_dscnt 0x5
	v_fmac_f32_e32 v183, v3, v204
	v_mul_f32_e32 v3, v185, v8
	ds_bpermute_b32 v8, v2, v180 offset:32
	s_wait_dscnt 0x5
	v_fmac_f32_e32 v183, v5, v181
	v_mul_f32_e32 v5, v188, v9
	;; [unrolled: 4-line block ×3, first 2 shown]
	ds_bpermute_b32 v10, v2, v180 offset:60
	s_wait_dscnt 0x4
	v_dual_fmac_f32 v183, v5, v4 :: v_dual_mul_f32 v4, v190, v11
	ds_bpermute_b32 v5, v2, v180 offset:40
	ds_bpermute_b32 v11, v2, v180 offset:64
	v_dual_fmac_f32 v183, v3, v6 :: v_dual_mul_f32 v3, v189, v12
	ds_bpermute_b32 v6, v2, v180 offset:44
	ds_bpermute_b32 v12, v2, v180 offset:68
	s_wait_dscnt 0x7
	v_fmac_f32_e32 v183, v4, v7
	v_mul_f32_e32 v4, v192, v13
	ds_bpermute_b32 v7, v2, v180 offset:48
	s_wait_dscnt 0x7
	v_fmac_f32_e32 v183, v3, v8
	v_mul_f32_e32 v3, v191, v14
	ds_bpermute_b32 v8, v2, v180 offset:52
	ds_bpermute_b32 v14, v2, v180 offset:72
	s_wait_dscnt 0x8
	v_dual_fmac_f32 v183, v4, v9 :: v_dual_mul_f32 v4, v194, v15
	ds_bpermute_b32 v9, v2, v180 offset:56
	ds_bpermute_b32 v15, v2, v180 offset:104
	s_wait_dscnt 0x8
	v_dual_fmac_f32 v183, v3, v5 :: v_dual_mul_f32 v3, v193, v16
	ds_bpermute_b32 v5, v2, v180 offset:80
	s_wait_dscnt 0x7
	v_fmac_f32_e32 v183, v4, v6
	v_dual_mul_f32 v4, v196, v17 :: v_dual_mul_f32 v6, v198, v19
	s_wait_dscnt 0x5
	s_delay_alu instid0(VALU_DEP_2) | instskip(SKIP_2) | instid1(VALU_DEP_2)
	v_fmac_f32_e32 v183, v3, v7
	v_dual_mul_f32 v3, v195, v18 :: v_dual_mov_b32 v7, v24
	s_wait_dscnt 0x4
	v_fmac_f32_e32 v183, v4, v8
	ds_bpermute_b32 v4, v2, v180 offset:76
	ds_bpermute_b32 v8, v2, v180 offset:84
	s_wait_dscnt 0x4
	v_dual_fmac_f32 v183, v3, v9 :: v_dual_mul_f32 v3, v197, v20
	v_mul_f32_e32 v13, v200, v21
	ds_bpermute_b32 v9, v2, v180 offset:88
	v_dual_fmac_f32 v183, v6, v10 :: v_dual_mov_b32 v6, v23
	s_delay_alu instid0(VALU_DEP_1) | instskip(SKIP_1) | instid1(VALU_DEP_3)
	v_dual_mov_b32 v10, v25 :: v_dual_fmac_f32 v183, v3, v11
	v_mul_f32_e32 v3, v199, v22
	v_pk_mul_f32 v[6:7], v[168:169], v[6:7]
	s_delay_alu instid0(VALU_DEP_3)
	v_dual_fmac_f32 v183, v13, v12 :: v_dual_mov_b32 v11, v26
	ds_bpermute_b32 v12, v2, v180 offset:92
	ds_bpermute_b32 v13, v2, v180 offset:96
	s_wait_dscnt 0x4
	v_pk_mul_f32 v[4:5], v[6:7], v[4:5]
	v_fmac_f32_e32 v183, v3, v14
	v_pk_mul_f32 v[10:11], v[170:171], v[10:11]
	v_dual_mov_b32 v6, v27 :: v_dual_mov_b32 v7, v28
	ds_bpermute_b32 v14, v2, v180 offset:100
	v_dual_add_f32 v3, v183, v4 :: v_dual_mov_b32 v4, v29
	s_wait_dscnt 0x3
	v_pk_mul_f32 v[8:9], v[10:11], v[8:9]
	ds_bpermute_b32 v10, v2, v180 offset:108
	ds_bpermute_b32 v11, v2, v180 offset:112
	v_dual_add_f32 v3, v3, v5 :: v_dual_mov_b32 v5, v30
	v_pk_mul_f32 v[6:7], v[172:173], v[6:7]
	s_delay_alu instid0(VALU_DEP_2) | instskip(SKIP_1) | instid1(VALU_DEP_4)
	v_add_f32_e32 v3, v3, v8
	v_mov_b32_e32 v8, v31
	v_pk_mul_f32 v[4:5], v[174:175], v[4:5]
	s_wait_dscnt 0x3
	v_pk_mul_f32 v[6:7], v[6:7], v[12:13]
	v_dual_add_f32 v3, v3, v9 :: v_dual_mov_b32 v9, v32
	s_wait_dscnt 0x2
	v_pk_mul_f32 v[4:5], v[4:5], v[14:15]
	s_delay_alu instid0(VALU_DEP_2) | instskip(NEXT) | instid1(VALU_DEP_3)
	v_add_f32_e32 v3, v3, v6
	v_pk_mul_f32 v[8:9], v[176:177], v[8:9]
	ds_bpermute_b32 v6, v2, v180 offset:116
	s_wait_dscnt 0x1
	v_pk_mul_f32 v[8:9], v[8:9], v[10:11]
	v_add_f32_e32 v3, v3, v7
	ds_bpermute_b32 v7, v2, v180 offset:120
	v_dual_add_f32 v3, v3, v4 :: v_dual_mov_b32 v4, v33
	s_delay_alu instid0(VALU_DEP_1) | instskip(SKIP_3) | instid1(VALU_DEP_2)
	v_dual_add_f32 v10, v3, v5 :: v_dual_mov_b32 v5, v34
	ds_bpermute_b32 v3, v2, v180 offset:124
	v_add_f32_e32 v8, v10, v8
	v_pk_mul_f32 v[4:5], v[178:179], v[4:5]
	v_add_f32_e32 v8, v8, v9
	s_wait_dscnt 0x1
	s_delay_alu instid0(VALU_DEP_2) | instskip(NEXT) | instid1(VALU_DEP_1)
	v_pk_mul_f32 v[4:5], v[4:5], v[6:7]
	v_add_f32_e32 v4, v8, v4
	s_set_vgpr_msb 64                       ;  msbs: dst=1 src0=0 src1=0 src2=0
	s_delay_alu instid0(VALU_DEP_1)
	v_add_f32_e32 v38 /*v294*/, v4, v5
.LBB166_137:                            ;   in Loop: Header=BB166_3 Depth=1
	s_add_nc_u64 s[28:29], s[28:29], s[22:23]
	s_set_vgpr_msb 0                        ;  msbs: dst=0 src0=0 src1=0 src2=0
	v_mul_f32_e32 v4, v203, v35
	v_cmp_lt_i64_e64 s3, s[28:29], s[4:5]
	v_add_nc_u64_e32 v[40:41], s[24:25], v[40:41]
	v_add_nc_u64_e32 v[42:43], s[24:25], v[42:43]
	;; [unrolled: 1-line block ×65, first 2 shown]
	s_wait_dscnt 0x0
	s_set_vgpr_msb 64                       ;  msbs: dst=1 src0=0 src1=0 src2=0
	v_fmac_f32_e32 v38 /*v294*/, v4, v3
	s_and_b32 vcc_lo, exec_lo, s3
	s_add_nc_u64 s[26:27], s[26:27], s[22:23]
	s_set_vgpr_msb 0                        ;  msbs: dst=0 src0=0 src1=0 src2=0
	s_cbranch_vccz .LBB166_142
; %bb.138:                              ;   in Loop: Header=BB166_3 Depth=1
	s_set_vgpr_msb 1                        ;  msbs: dst=0 src0=1 src1=0 src2=0
	v_mov_b32_e32 v183, v38 /*v294*/
	s_set_vgpr_msb 0                        ;  msbs: dst=0 src0=0 src1=0 src2=0
	s_branch .LBB166_3
.LBB166_139:                            ;   in Loop: Header=BB166_3 Depth=1
	v_add_nc_u64_e32 v[202:203], v[52:53], v[38:39]
	v_add_nc_u64_e32 v[204:205], v[54:55], v[38:39]
	global_load_u16 v33, v[202:203], off
	global_load_u16 v178, v[204:205], off
	s_wait_loadcnt 0x1
	v_cvt_f32_f16_e32 v33, v33
	s_wait_loadcnt 0x0
	v_cvt_f32_f16_e64 v178, v178
	s_or_b32 exec_lo, exec_lo, s3
	s_and_saveexec_b32 s3, s2
	s_cbranch_execz .LBB166_134
.LBB166_140:                            ;   in Loop: Header=BB166_3 Depth=1
	v_add_nc_u64_e32 v[202:203], v[48:49], v[38:39]
	v_add_nc_u64_e32 v[204:205], v[50:51], v[38:39]
	global_load_u16 v34, v[202:203], off
	global_load_u16 v179, v[204:205], off
	s_wait_loadcnt 0x1
	v_cvt_f32_f16_e32 v34, v34
	s_wait_loadcnt 0x0
	v_cvt_f32_f16_e64 v179, v179
	s_or_b32 exec_lo, exec_lo, s3
	v_mov_b32_e32 v203, 0
	s_and_saveexec_b32 s3, s2
	s_cbranch_execnz .LBB166_135
	s_branch .LBB166_136
.LBB166_141:
                                        ; implicit-def: $vgpr294
	s_load_b64 s[2:3], s[0:1], 0x30
	s_branch .LBB166_143
.LBB166_142:
	s_load_b64 s[2:3], s[0:1], 0x30
	s_cbranch_execnz .LBB166_219
.LBB166_143:
	s_set_vgpr_msb 64                       ;  msbs: dst=1 src0=0 src1=0 src2=0
	v_mov_b32_e32 v38 /*v294*/, 0
	s_and_not1_b32 vcc_lo, exec_lo, s31
	s_set_vgpr_msb 0                        ;  msbs: dst=0 src0=0 src1=0 src2=0
	s_cbranch_vccnz .LBB166_219
; %bb.144:
	v_bfe_u32 v1, v0, 10, 10
	v_mov_b32_e32 v2, 0
	s_set_vgpr_msb 64                       ;  msbs: dst=1 src0=0 src1=0 src2=0
	v_and_b32_e32 v50 /*v306*/, 0x3ff, v0
	s_load_b32 s18, s[0:1], 0x44
	s_mov_b32 s19, 0
	s_set_vgpr_msb 0                        ;  msbs: dst=0 src0=0 src1=0 src2=0
	v_dual_mov_b32 v5, v2 :: v_dual_lshlrev_b32 v4, 6, v1
	v_dual_mov_b32 v147, v2 :: v_dual_lshlrev_b32 v146, 5, v1
	s_mov_b32 s21, s19
	s_set_vgpr_msb 64                       ;  msbs: dst=1 src0=0 src1=0 src2=0
	v_mov_b32_e32 v51 /*v307*/, 0
	s_set_vgpr_msb 0                        ;  msbs: dst=0 src0=0 src1=0 src2=0
	v_lshl_add_u64 v[4:5], s[16:17], 1, v[4:5]
	s_add_nc_u64 s[22:23], s[0:1], 64
	s_mov_b64 s[24:25], s[16:17]
	s_delay_alu instid0(VALU_DEP_1)
	v_add_nc_u64_e32 v[6:7], 2, v[4:5]
	v_add_nc_u64_e32 v[8:9], 4, v[4:5]
	;; [unrolled: 1-line block ×5, first 2 shown]
	s_wait_kmcnt 0x0
	s_lshl_b32 s20, s18, 5
	v_mad_nc_u64_u32 v[36:37], s6, v6, s[8:9]
	v_mul_lo_u32 v3, s6, v7
	v_mul_lo_u32 v7, s7, v6
	v_mad_nc_u64_u32 v[38:39], s6, v6, s[10:11]
	v_mad_nc_u64_u32 v[40:41], s6, v8, s[8:9]
	v_mul_lo_u32 v6, s6, v9
	v_mul_lo_u32 v9, s7, v8
	v_mad_nc_u64_u32 v[44:45], s6, v8, s[10:11]
	;; [unrolled: 4-line block ×5, first 2 shown]
	v_add3_u32 v37, v7, v37, v3
	v_add3_u32 v39, v7, v39, v3
	;; [unrolled: 1-line block ×4, first 2 shown]
	v_add_nc_u64_e32 v[6:7], 12, v[4:5]
	v_add3_u32 v43, v11, v43, v8
	v_add3_u32 v47, v11, v47, v8
	;; [unrolled: 1-line block ×6, first 2 shown]
	v_mul_lo_u32 v3, s6, v7
	v_mul_lo_u32 v12, s7, v6
	v_mad_nc_u64_u32 v[56:57], s6, v6, s[8:9]
	v_add_nc_u64_e32 v[10:11], 16, v[4:5]
	v_mad_nc_u64_u32 v[58:59], s6, v6, s[10:11]
	v_add_nc_u64_e32 v[6:7], 18, v[4:5]
	v_add_nc_u64_e32 v[8:9], 14, v[4:5]
	s_delay_alu instid0(VALU_DEP_4)
	v_mul_lo_u32 v11, s6, v11
	v_mul_lo_u32 v15, s7, v10
	v_mad_nc_u64_u32 v[64:65], s6, v10, s[8:9]
	v_mad_nc_u64_u32 v[66:67], s6, v10, s[10:11]
	v_mul_lo_u32 v10, s6, v7
	v_mul_lo_u32 v16, s7, v6
	v_mad_nc_u64_u32 v[68:69], s6, v6, s[8:9]
	v_mad_nc_u64_u32 v[70:71], s6, v6, s[10:11]
	v_add_nc_u64_e32 v[6:7], 22, v[4:5]
	v_mul_lo_u32 v13, s6, v9
	v_mul_lo_u32 v14, s7, v8
	v_mad_nc_u64_u32 v[60:61], s6, v8, s[8:9]
	v_mad_nc_u64_u32 v[62:63], s6, v8, s[10:11]
	v_add_nc_u64_e32 v[8:9], 20, v[4:5]
	v_add3_u32 v57, v12, v57, v3
	v_add3_u32 v59, v12, v59, v3
	;; [unrolled: 1-line block ×6, first 2 shown]
	v_mul_lo_u32 v3, s6, v7
	v_mul_lo_u32 v12, s7, v6
	v_mad_nc_u64_u32 v[76:77], s6, v6, s[8:9]
	v_add_nc_u64_e32 v[10:11], 26, v[4:5]
	v_mad_nc_u64_u32 v[78:79], s6, v6, s[10:11]
	v_add_nc_u64_e32 v[6:7], 28, v[4:5]
	v_mul_lo_u32 v17, s6, v9
	v_mul_lo_u32 v18, s7, v8
	v_mad_nc_u64_u32 v[72:73], s6, v8, s[8:9]
	v_mad_nc_u64_u32 v[74:75], s6, v8, s[10:11]
	v_add_nc_u64_e32 v[8:9], 24, v[4:5]
	v_mul_lo_u32 v11, s6, v11
	v_mul_lo_u32 v15, s7, v10
	v_mad_nc_u64_u32 v[84:85], s6, v10, s[8:9]
	v_mad_nc_u64_u32 v[86:87], s6, v10, s[10:11]
	v_mul_lo_u32 v10, s6, v7
	v_mul_lo_u32 v16, s7, v6
	v_mad_nc_u64_u32 v[88:89], s6, v6, s[8:9]
	v_mad_nc_u64_u32 v[90:91], s6, v6, s[10:11]
	v_add3_u32 v61, v14, v61, v13
	v_add3_u32 v63, v14, v63, v13
	v_mul_lo_u32 v13, s6, v9
	v_mul_lo_u32 v14, s7, v8
	v_mad_nc_u64_u32 v[80:81], s6, v8, s[8:9]
	v_mad_nc_u64_u32 v[82:83], s6, v8, s[10:11]
	v_add_nc_u64_e32 v[8:9], 30, v[4:5]
	v_add_nc_u64_e32 v[6:7], 32, v[4:5]
	v_add3_u32 v73, v18, v73, v17
	v_add3_u32 v75, v18, v75, v17
	;; [unrolled: 1-line block ×5, first 2 shown]
	v_mul_lo_u32 v17, s6, v9
	v_mul_lo_u32 v18, s7, v8
	v_mad_nc_u64_u32 v[92:93], s6, v8, s[8:9]
	v_mad_nc_u64_u32 v[94:95], s6, v8, s[10:11]
	v_add_nc_u64_e32 v[8:9], 34, v[4:5]
	v_add3_u32 v87, v15, v87, v11
	v_add3_u32 v89, v16, v89, v10
	;; [unrolled: 1-line block ×3, first 2 shown]
	v_mul_lo_u32 v3, s6, v7
	v_mul_lo_u32 v12, s7, v6
	v_mad_nc_u64_u32 v[96:97], s6, v6, s[8:9]
	v_add_nc_u64_e32 v[10:11], 36, v[4:5]
	v_mad_nc_u64_u32 v[98:99], s6, v6, s[10:11]
	v_add_nc_u64_e32 v[6:7], 38, v[4:5]
	v_add3_u32 v81, v14, v81, v13
	v_add3_u32 v83, v14, v83, v13
	v_mul_lo_u32 v13, s6, v9
	v_mul_lo_u32 v14, s7, v8
	v_mad_nc_u64_u32 v[100:101], s6, v8, s[8:9]
	v_mad_nc_u64_u32 v[102:103], s6, v8, s[10:11]
	v_add_nc_u64_e32 v[8:9], 40, v[4:5]
	v_mul_lo_u32 v15, s7, v10
	v_mad_nc_u64_u32 v[104:105], s6, v10, s[8:9]
	v_mad_nc_u64_u32 v[106:107], s6, v10, s[10:11]
	v_mul_lo_u32 v10, s6, v7
	v_mul_lo_u32 v16, s7, v6
	v_mad_nc_u64_u32 v[108:109], s6, v6, s[8:9]
	v_mad_nc_u64_u32 v[110:111], s6, v6, s[10:11]
	v_add_nc_u64_e32 v[6:7], 42, v[4:5]
	v_add3_u32 v93, v18, v93, v17
	v_add3_u32 v95, v18, v95, v17
	v_mul_lo_u32 v17, s6, v9
	v_mul_lo_u32 v18, s7, v8
	v_mad_nc_u64_u32 v[112:113], s6, v8, s[8:9]
	v_mad_nc_u64_u32 v[114:115], s6, v8, s[10:11]
	v_add_nc_u64_e32 v[8:9], 44, v[4:5]
	v_add3_u32 v97, v12, v97, v3
	v_add3_u32 v99, v12, v99, v3
	v_mul_lo_u32 v3, s6, v7
	v_mul_lo_u32 v12, s7, v6
	v_mad_nc_u64_u32 v[116:117], s6, v6, s[8:9]
	v_mad_nc_u64_u32 v[118:119], s6, v6, s[10:11]
	v_mul_lo_u32 v11, s6, v11
	v_add3_u32 v101, v14, v101, v13
	v_add3_u32 v103, v14, v103, v13
	v_mul_lo_u32 v13, s6, v9
	v_mul_lo_u32 v14, s7, v8
	v_mad_nc_u64_u32 v[120:121], s6, v8, s[8:9]
	v_mad_nc_u64_u32 v[122:123], s6, v8, s[10:11]
	v_add_nc_u64_e32 v[8:9], 50, v[4:5]
	v_add3_u32 v109, v16, v109, v10
	v_add3_u32 v117, v12, v117, v3
	;; [unrolled: 1-line block ×6, first 2 shown]
	v_mul_lo_u32 v3, s6, v9
	v_mul_lo_u32 v12, s7, v8
	v_mad_nc_u64_u32 v[132:133], s6, v8, s[8:9]
	v_mad_nc_u64_u32 v[134:135], s6, v8, s[10:11]
	v_add_nc_u64_e32 v[8:9], 54, v[4:5]
	v_add_nc_u64_e32 v[10:11], 46, v[4:5]
	;; [unrolled: 1-line block ×3, first 2 shown]
	v_add3_u32 v121, v14, v121, v13
	v_add3_u32 v123, v14, v123, v13
	;; [unrolled: 1-line block ×4, first 2 shown]
	v_mul_lo_u32 v13, s6, v9
	v_mul_lo_u32 v14, s7, v8
	v_mad_nc_u64_u32 v[140:141], s6, v8, s[8:9]
	v_mad_nc_u64_u32 v[142:143], s6, v8, s[10:11]
	v_mul_lo_u32 v11, s6, v11
	v_mul_lo_u32 v15, s7, v10
	v_mad_nc_u64_u32 v[124:125], s6, v10, s[8:9]
	v_mad_nc_u64_u32 v[126:127], s6, v10, s[10:11]
	;; [unrolled: 4-line block ×3, first 2 shown]
	v_add_nc_u64_e32 v[6:7], 52, v[4:5]
	v_add3_u32 v133, v12, v133, v3
	v_add3_u32 v135, v12, v135, v3
	v_add3_u32 v141, v14, v141, v13
	v_add3_u32 v143, v14, v143, v13
	v_add_nc_u64_e32 v[12:13], s[16:17], v[146:147]
	v_add3_u32 v125, v15, v125, v11
	v_add3_u32 v127, v15, v127, v11
	v_mul_lo_u32 v11, s7, v6
	v_add3_u32 v129, v16, v129, v10
	v_add3_u32 v131, v16, v131, v10
	v_mul_lo_u32 v10, s6, v7
	v_mad_nc_u64_u32 v[136:137], s6, v6, s[8:9]
	v_mad_nc_u64_u32 v[138:139], s6, v6, s[10:11]
	v_add_nc_u64_e32 v[6:7], 56, v[4:5]
	v_mul_u64_e32 v[14:15], s[6:7], v[12:13]
	v_add_nc_u64_e32 v[8:9], 58, v[4:5]
	v_add_nc_u64_e32 v[16:17], 28, v[12:13]
	;; [unrolled: 1-line block ×5, first 2 shown]
	v_mul_lo_u32 v3, s6, v7
	v_mul_lo_u32 v18, s7, v6
	v_mad_nc_u64_u32 v[144:145], s6, v6, s[8:9]
	v_mad_nc_u64_u32 v[148:149], s6, v6, s[10:11]
	v_add_nc_u64_e32 v[6:7], 31, v[12:13]
	v_add3_u32 v137, v11, v137, v10
	v_add3_u32 v139, v11, v139, v10
	v_add_nc_u64_e32 v[10:11], 60, v[4:5]
	v_mul_lo_u32 v19, s6, v9
	v_mul_lo_u32 v20, s7, v8
	v_mad_nc_u64_u32 v[150:151], s6, v8, s[8:9]
	v_mad_nc_u64_u32 v[152:153], s6, v8, s[10:11]
	v_add_nc_u64_e32 v[8:9], 30, v[12:13]
	v_mul_u64_e32 v[6:7], s[6:7], v[6:7]
	v_mul_lo_u32 v21, s6, v11
	v_add_nc_u64_e32 v[4:5], 62, v[4:5]
	v_mul_lo_u32 v22, s7, v10
	v_mad_nc_u64_u32 v[154:155], s6, v10, s[8:9]
	v_mad_nc_u64_u32 v[156:157], s6, v10, s[10:11]
	v_add_nc_u64_e32 v[10:11], 29, v[12:13]
	v_mul_u64_e32 v[8:9], s[6:7], v[8:9]
	v_add3_u32 v145, v18, v145, v3
	v_mul_lo_u32 v23, s6, v5
	v_mul_lo_u32 v24, s7, v4
	v_mad_nc_u64_u32 v[158:159], s6, v4, s[8:9]
	v_mad_nc_u64_u32 v[160:161], s6, v4, s[10:11]
	v_mul_u64_e32 v[4:5], s[6:7], v[10:11]
	v_mul_u64_e32 v[10:11], s[6:7], v[16:17]
	s_set_vgpr_msb 4                        ;  msbs: dst=0 src0=0 src1=1 src2=0
	v_dual_mov_b32 v17, v2 :: v_dual_add_nc_u32 v16, s13, v50 /*v306*/
	s_set_vgpr_msb 0                        ;  msbs: dst=0 src0=0 src1=0 src2=0
	v_add3_u32 v149, v18, v149, v3
	v_add3_u32 v151, v20, v151, v19
	;; [unrolled: 1-line block ×3, first 2 shown]
	v_add_nc_u64_e32 v[18:19], 27, v[12:13]
	v_lshlrev_b64_e32 v[162:163], 1, v[16:17]
	v_add_nc_u64_e32 v[16:17], 26, v[12:13]
	v_add3_u32 v155, v22, v155, v21
	v_add3_u32 v157, v22, v157, v21
	;; [unrolled: 1-line block ×4, first 2 shown]
	v_lshlrev_b64_e32 v[22:23], 1, v[14:15]
	v_mul_u64_e32 v[18:19], s[6:7], v[18:19]
	v_add_nc_u64_e32 v[24:25], 24, v[12:13]
	v_mul_u64_e32 v[16:17], s[6:7], v[16:17]
	v_add_nc_u64_e32 v[20:21], 25, v[12:13]
	v_lshlrev_b64_e32 v[6:7], 1, v[6:7]
	v_add_nc_u64_e32 v[30:31], 21, v[12:13]
	v_add_nc_u64_e32 v[164:165], s[8:9], v[22:23]
	;; [unrolled: 1-line block ×3, first 2 shown]
	v_mul_u64_e32 v[24:25], s[6:7], v[24:25]
	v_mul_u64_e32 v[22:23], s[6:7], v[26:27]
	;; [unrolled: 1-line block ×3, first 2 shown]
	v_add_nc_u64_e32 v[26:27], 20, v[12:13]
	v_lshlrev_b64_e32 v[8:9], 1, v[8:9]
	v_mul_u64_e32 v[28:29], s[6:7], v[28:29]
	v_add_nc_u64_e32 v[34:35], 18, v[12:13]
	v_add_nc_u64_e32 v[168:169], s[8:9], v[6:7]
	;; [unrolled: 1-line block ×4, first 2 shown]
	v_mul_u64_e32 v[26:27], s[6:7], v[26:27]
	v_mul_u64_e32 v[6:7], s[6:7], v[32:33]
	v_lshlrev_b64_e32 v[4:5], 1, v[4:5]
	v_lshlrev_b64_e32 v[10:11], 1, v[10:11]
	v_mul_u64_e32 v[30:31], s[6:7], v[30:31]
	v_add_nc_u64_e32 v[172:173], s[8:9], v[8:9]
	v_mul_u64_e32 v[32:33], s[6:7], v[34:35]
	v_add_nc_u64_e32 v[174:175], s[10:11], v[8:9]
	;; [unrolled: 2-line block ×3, first 2 shown]
	v_add_nc_u64_e32 v[178:179], s[10:11], v[4:5]
	v_add_nc_u64_e32 v[4:5], 16, v[12:13]
	;; [unrolled: 1-line block ×4, first 2 shown]
	v_lshlrev_b64_e32 v[18:19], 1, v[18:19]
	v_add_nc_u64_e32 v[34:35], 15, v[12:13]
	v_lshlrev_b64_e32 v[10:11], 1, v[16:17]
	v_mul_u64_e32 v[4:5], s[6:7], v[4:5]
	s_delay_alu instid0(VALU_DEP_4)
	v_add_nc_u64_e32 v[184:185], s[8:9], v[18:19]
	v_add_nc_u64_e32 v[186:187], s[10:11], v[18:19]
	v_lshlrev_b64_e32 v[18:19], 1, v[24:25]
	v_add_nc_u64_e32 v[188:189], s[8:9], v[10:11]
	v_add_nc_u64_e32 v[190:191], s[10:11], v[10:11]
	v_lshlrev_b64_e32 v[10:11], 1, v[22:23]
	;; [unrolled: 3-line block ×3, first 2 shown]
	v_add_nc_u64_e32 v[196:197], s[8:9], v[18:19]
	v_add_nc_u64_e32 v[198:199], s[10:11], v[18:19]
	v_mul_u64_e32 v[20:21], s[6:7], v[34:35]
	v_add_nc_u64_e32 v[200:201], s[8:9], v[10:11]
	v_mul_u64_e32 v[22:23], s[6:7], v[22:23]
	v_mul_u64_e32 v[24:25], s[6:7], v[24:25]
	v_add_nc_u64_e32 v[192:193], s[8:9], v[16:17]
	v_add_nc_u64_e32 v[194:195], s[10:11], v[16:17]
	v_lshlrev_b64_e32 v[16:17], 1, v[28:29]
	v_add_nc_u64_e32 v[202:203], s[10:11], v[10:11]
	v_lshlrev_b64_e32 v[10:11], 1, v[26:27]
	v_lshlrev_b64_e32 v[6:7], 1, v[6:7]
	v_add_nc_u64_e32 v[26:27], 11, v[12:13]
	v_lshlrev_b64_e32 v[18:19], 1, v[30:31]
	v_lshlrev_b64_e32 v[8:9], 1, v[8:9]
	v_add_nc_u64_e32 v[204:205], s[8:9], v[16:17]
	v_add_nc_u64_e32 v[206:207], s[10:11], v[16:17]
	v_lshlrev_b64_e32 v[16:17], 1, v[32:33]
	v_add_nc_u64_e32 v[212:213], s[8:9], v[10:11]
	v_add_nc_u64_e32 v[214:215], s[10:11], v[10:11]
	;; [unrolled: 1-line block ×4, first 2 shown]
	v_mul_u64_e32 v[26:27], s[6:7], v[26:27]
	v_add_nc_u64_e32 v[28:29], 9, v[12:13]
	v_add_nc_u64_e32 v[30:31], 8, v[12:13]
	;; [unrolled: 1-line block ×5, first 2 shown]
	v_mul_u64_e32 v[10:11], s[6:7], v[10:11]
	v_add_nc_u64_e32 v[222:223], s[10:11], v[16:17]
	v_mul_u64_e32 v[16:17], s[6:7], v[28:29]
	v_mul_u64_e32 v[28:29], s[6:7], v[30:31]
	v_add_nc_u64_e32 v[30:31], 6, v[12:13]
	v_mul_u64_e32 v[6:7], s[6:7], v[6:7]
	v_add_nc_u64_e32 v[32:33], 5, v[12:13]
	v_add_nc_u64_e32 v[224:225], s[8:9], v[8:9]
	;; [unrolled: 1-line block ×7, first 2 shown]
	v_lshlrev_b64_e32 v[4:5], 1, v[4:5]
	v_mul_u64_e32 v[30:31], s[6:7], v[30:31]
	v_mul_u64_e32 v[32:33], s[6:7], v[32:33]
	v_add_nc_u64_e32 v[34:35], 3, v[12:13]
	v_add_nc_u64_e32 v[12:13], 2, v[12:13]
	v_mul_u64_e32 v[8:9], s[6:7], v[8:9]
	v_mul_u64_e32 v[18:19], s[6:7], v[18:19]
	v_add_nc_u64_e32 v[228:229], s[8:9], v[4:5]
	v_add_nc_u64_e32 v[230:231], s[10:11], v[4:5]
	v_lshlrev_b64_e32 v[4:5], 1, v[22:23]
	v_lshlrev_b64_e32 v[22:23], 1, v[24:25]
	v_mul_u64_e32 v[24:25], s[6:7], v[34:35]
	v_mul_u64_e32 v[12:13], s[6:7], v[12:13]
	v_lshlrev_b64_e32 v[20:21], 1, v[20:21]
	v_add_nc_u64_e32 v[236:237], s[8:9], v[4:5]
	v_add_nc_u64_e32 v[238:239], s[10:11], v[4:5]
	v_lshlrev_b64_e32 v[4:5], 1, v[26:27]
	v_lshlrev_b64_e32 v[10:11], 1, v[10:11]
	v_add_nc_u64_e32 v[232:233], s[8:9], v[20:21]
	v_lshlrev_b64_e32 v[16:17], 1, v[16:17]
	v_add_nc_u64_e32 v[234:235], s[10:11], v[20:21]
	v_add_nc_u64_e32 v[240:241], s[8:9], v[22:23]
	v_lshlrev_b64_e32 v[6:7], 1, v[6:7]
	v_add_nc_u64_e32 v[248:249], s[8:9], v[4:5]
	v_add_nc_u64_e32 v[250:251], s[10:11], v[4:5]
	v_lshlrev_b64_e32 v[4:5], 1, v[28:29]
	v_add_nc_u64_e32 v[252:253], s[8:9], v[10:11]
	v_add_nc_u64_e32 v[254:255], s[10:11], v[10:11]
	v_add_nc_u64_e32 v[242:243], s[10:11], v[22:23]
	s_set_vgpr_msb 64                       ;  msbs: dst=1 src0=0 src1=0 src2=0
	v_add_nc_u64_e32 v[8:9] /*v[264:265]*/, s[8:9], v[6:7]
	v_add_nc_u64_e32 v[10:11] /*v[266:267]*/, s[10:11], v[6:7]
	s_set_vgpr_msb 0                        ;  msbs: dst=0 src0=0 src1=0 src2=0
	v_lshlrev_b64_e32 v[10:11], 1, v[30:31]
	s_set_vgpr_msb 64                       ;  msbs: dst=1 src0=0 src1=0 src2=0
	v_add_nc_u64_e32 v[4:5] /*v[260:261]*/, s[8:9], v[4:5]
	v_add_nc_u64_e32 v[6:7] /*v[262:263]*/, s[10:11], v[4:5]
	s_set_vgpr_msb 0                        ;  msbs: dst=0 src0=0 src1=0 src2=0
	v_lshlrev_b64_e32 v[4:5], 1, v[32:33]
	v_lshlrev_b64_e32 v[6:7], 1, v[8:9]
	v_add_nc_u64_e32 v[8:9], s[6:7], v[14:15]
	v_lshlrev_b64_e32 v[18:19], 1, v[18:19]
	s_set_vgpr_msb 64                       ;  msbs: dst=1 src0=0 src1=0 src2=0
	v_add_nc_u64_e32 v[12:13] /*v[268:269]*/, s[8:9], v[10:11]
	v_add_nc_u64_e32 v[14:15] /*v[270:271]*/, s[10:11], v[10:11]
	;; [unrolled: 1-line block ×3, first 2 shown]
	s_set_vgpr_msb 0                        ;  msbs: dst=0 src0=0 src1=0 src2=0
	v_lshlrev_b64_e32 v[10:11], 1, v[24:25]
	v_lshlrev_b64_e32 v[12:13], 1, v[12:13]
	s_set_vgpr_msb 64                       ;  msbs: dst=1 src0=0 src1=0 src2=0
	v_add_nc_u64_e32 v[16:17] /*v[272:273]*/, s[8:9], v[4:5]
	v_add_nc_u64_e32 v[18:19] /*v[274:275]*/, s[10:11], v[4:5]
	s_set_vgpr_msb 0                        ;  msbs: dst=0 src0=0 src1=0 src2=0
	v_lshlrev_b64_e32 v[4:5], 1, v[8:9]
	v_add_nc_u64_e32 v[244:245], s[8:9], v[18:19]
	v_add_nc_u64_e32 v[246:247], s[10:11], v[18:19]
	s_set_vgpr_msb 64                       ;  msbs: dst=1 src0=0 src1=0 src2=0
	v_add_nc_u64_e32 v[2:3] /*v[258:259]*/, s[10:11], v[16:17]
	v_add_nc_u64_e32 v[20:21] /*v[276:277]*/, s[8:9], v[6:7]
	;; [unrolled: 1-line block ×9, first 2 shown]
	s_mul_u64 s[8:9], s[6:7], s[20:21]
	s_mov_b64 s[10:11], 31
	s_lshl_b64 s[8:9], s[8:9], 1
.LBB166_145:                            ; =>This Inner Loop Header: Depth=1
	s_add_nc_u64 s[26:27], s[16:17], s[10:11]
	s_set_vgpr_msb 64                       ;  msbs: dst=1 src0=0 src1=0 src2=0
	v_add_nc_u64_e32 v[36:37] /*v[292:293]*/, s[16:17], v[146:147]
	v_cmp_ge_i64_e64 s13, s[26:27], s[4:5]
                                        ; implicit-def: $vgpr294
	s_and_b32 vcc_lo, exec_lo, s13
	s_mov_b32 s13, -1
	s_set_vgpr_msb 0                        ;  msbs: dst=0 src0=0 src1=0 src2=0
	s_cbranch_vccz .LBB166_213
; %bb.146:                              ;   in Loop: Header=BB166_145 Depth=1
	s_load_b32 s13, s[22:23], 0xc
	s_set_vgpr_msb 64                       ;  msbs: dst=1 src0=0 src1=0 src2=0
	v_dual_mov_b32 v53 /*v309*/, 0 :: v_dual_mov_b32 v52 /*v308*/, 0
	s_set_vgpr_msb 16                       ;  msbs: dst=0 src0=0 src1=0 src2=1
	v_mov_b32_e32 v5, v2
	s_wait_kmcnt 0x0
	s_and_b32 s13, s13, 0xffff
	s_delay_alu instid0(SALU_CYCLE_1) | instskip(SKIP_1) | instid1(VALU_DEP_1)
	v_mad_u32_u24 v3, v1, s13, v50 /*v306*/
	s_mov_b32 s13, exec_lo
	v_and_b32_e32 v4, 31, v3
	s_set_vgpr_msb 1                        ;  msbs: dst=0 src0=1 src1=0 src2=0
	s_delay_alu instid0(VALU_DEP_1) | instskip(NEXT) | instid1(VALU_DEP_1)
	v_add_nc_u64_e32 v[4:5], v[36:37] /*v[292:293]*/, v[4:5]
	v_cmpx_gt_i64_e64 s[4:5], v[4:5]
	s_set_vgpr_msb 0                        ;  msbs: dst=0 src0=0 src1=0 src2=0
	s_cbranch_execz .LBB166_148
; %bb.147:                              ;   in Loop: Header=BB166_145 Depth=1
	v_lshl_add_u64 v[4:5], v[4:5], 2, s[14:15]
	s_set_vgpr_msb 64                       ;  msbs: dst=1 src0=0 src1=0 src2=0
	global_load_b32 v52 /*v308*/, v[4:5], off
.LBB166_148:                            ;   in Loop: Header=BB166_145 Depth=1
	s_wait_xcnt 0x0
	s_or_b32 exec_lo, exec_lo, s13
	s_set_vgpr_msb 4                        ;  msbs: dst=0 src0=0 src1=1 src2=0
	v_dual_mov_b32 v31, v2 :: v_dual_mov_b32 v32, v2
	v_dual_mov_b32 v33, v2 :: v_dual_mov_b32 v3, v2
	;; [unrolled: 1-line block ×15, first 2 shown]
	v_mov_b32_e32 v30, v2
	v_mov_b64_e32 v[34:35], v[32:33]
	s_delay_alu instid0(VALU_DEP_2) | instskip(NEXT) | instid1(VALU_DEP_4)
	v_mov_b64_e32 v[32:33], v[30:31]
	v_mov_b64_e32 v[30:31], v[28:29]
	;; [unrolled: 1-line block ×15, first 2 shown]
	s_mov_b32 s13, exec_lo
	v_cmpx_gt_i64_e64 s[4:5], v[36:37] /*v[292:293]*/
	s_set_vgpr_msb 0                        ;  msbs: dst=0 src0=0 src1=0 src2=0
	s_cbranch_execz .LBB166_150
; %bb.149:                              ;   in Loop: Header=BB166_145 Depth=1
	v_add_nc_u64_e32 v[4:5], v[164:165], v[162:163]
	v_add_nc_u64_e32 v[6:7], v[166:167], v[162:163]
	v_dual_mov_b32 v9, v2 :: v_dual_mov_b32 v10, v2
	v_dual_mov_b32 v11, v2 :: v_dual_mov_b32 v12, v2
	;; [unrolled: 1-line block ×3, first 2 shown]
	global_load_u16 v3, v[4:5], off
	s_set_vgpr_msb 64                       ;  msbs: dst=1 src0=0 src1=0 src2=0
	global_load_u16 v38 /*v294*/, v[6:7], off
	s_wait_xcnt 0x0
	s_set_vgpr_msb 0                        ;  msbs: dst=0 src0=0 src1=0 src2=0
	v_dual_mov_b32 v5, v2 :: v_dual_mov_b32 v6, v2
	v_dual_mov_b32 v7, v2 :: v_dual_mov_b32 v8, v2
	;; [unrolled: 1-line block ×12, first 2 shown]
	v_mov_b32_e32 v35, v2
	s_wait_loadcnt 0x1
	v_cvt_f32_f16_e32 v4, v3
	s_wait_loadcnt 0x0
	s_set_vgpr_msb 0x41                     ;  msbs: dst=1 src0=1 src1=0 src2=0
	v_cvt_f32_f16_e64 v53 /*v309*/, v38 /*v294*/
.LBB166_150:                            ;   in Loop: Header=BB166_145 Depth=1
	s_or_b32 exec_lo, exec_lo, s13
	s_set_vgpr_msb 0x44                     ;  msbs: dst=1 src0=0 src1=1 src2=0
	v_add_nc_u64_e32 v[38:39] /*v[294:295]*/, 1, v[36:37] /*v[292:293]*/
	s_set_vgpr_msb 0                        ;  msbs: dst=0 src0=0 src1=0 src2=0
	v_mov_b32_e32 v3, 0
	s_set_vgpr_msb 64                       ;  msbs: dst=1 src0=0 src1=0 src2=0
	v_mov_b32_e32 v54 /*v310*/, 0
	s_mov_b32 s13, exec_lo
	s_set_vgpr_msb 4                        ;  msbs: dst=0 src0=0 src1=1 src2=0
	v_cmpx_gt_i64_e64 s[4:5], v[38:39] /*v[294:295]*/
	s_set_vgpr_msb 0                        ;  msbs: dst=0 src0=0 src1=0 src2=0
	s_cbranch_execz .LBB166_152
; %bb.151:                              ;   in Loop: Header=BB166_145 Depth=1
	s_set_vgpr_msb 0x41                     ;  msbs: dst=1 src0=1 src1=0 src2=0
	v_add_nc_u64_e32 v[38:39] /*v[294:295]*/, v[32:33] /*v[288:289]*/, v[162:163]
	v_add_nc_u64_e32 v[40:41] /*v[296:297]*/, v[34:35] /*v[290:291]*/, v[162:163]
	s_set_vgpr_msb 1                        ;  msbs: dst=0 src0=1 src1=0 src2=0
	global_load_u16 v5, v[38:39] /*v[294:295]*/, off
	s_set_vgpr_msb 0x41                     ;  msbs: dst=1 src0=1 src1=0 src2=0
	global_load_u16 v42 /*v298*/, v[40:41] /*v[296:297]*/, off
	s_wait_loadcnt 0x1
	s_set_vgpr_msb 0                        ;  msbs: dst=0 src0=0 src1=0 src2=0
	v_cvt_f32_f16_e32 v5, v5
	s_wait_loadcnt 0x0
	s_set_vgpr_msb 0x41                     ;  msbs: dst=1 src0=1 src1=0 src2=0
	v_cvt_f32_f16_e64 v54 /*v310*/, v42 /*v298*/
.LBB166_152:                            ;   in Loop: Header=BB166_145 Depth=1
	s_or_b32 exec_lo, exec_lo, s13
	s_set_vgpr_msb 0x44                     ;  msbs: dst=1 src0=0 src1=1 src2=0
	v_add_nc_u64_e32 v[38:39] /*v[294:295]*/, 2, v[36:37] /*v[292:293]*/
	s_mov_b32 s13, exec_lo
	s_delay_alu instid0(VALU_DEP_1)
	v_cmpx_gt_i64_e64 s[4:5], v[38:39] /*v[294:295]*/
	s_set_vgpr_msb 0                        ;  msbs: dst=0 src0=0 src1=0 src2=0
	s_cbranch_execz .LBB166_154
; %bb.153:                              ;   in Loop: Header=BB166_145 Depth=1
	s_set_vgpr_msb 0x41                     ;  msbs: dst=1 src0=1 src1=0 src2=0
	v_add_nc_u64_e32 v[38:39] /*v[294:295]*/, v[28:29] /*v[284:285]*/, v[162:163]
	v_add_nc_u64_e32 v[40:41] /*v[296:297]*/, v[30:31] /*v[286:287]*/, v[162:163]
	s_set_vgpr_msb 1                        ;  msbs: dst=0 src0=1 src1=0 src2=0
	global_load_u16 v3, v[38:39] /*v[294:295]*/, off
	s_set_vgpr_msb 0x41                     ;  msbs: dst=1 src0=1 src1=0 src2=0
	global_load_u16 v42 /*v298*/, v[40:41] /*v[296:297]*/, off
	s_wait_loadcnt 0x1
	s_set_vgpr_msb 0                        ;  msbs: dst=0 src0=0 src1=0 src2=0
	v_cvt_f32_f16_e32 v6, v3
	s_wait_loadcnt 0x0
	s_set_vgpr_msb 1                        ;  msbs: dst=0 src0=1 src1=0 src2=0
	v_cvt_f32_f16_e64 v3, v42 /*v298*/
.LBB166_154:                            ;   in Loop: Header=BB166_145 Depth=1
	s_or_b32 exec_lo, exec_lo, s13
	s_set_vgpr_msb 0x44                     ;  msbs: dst=1 src0=0 src1=1 src2=0
	v_add_nc_u64_e32 v[38:39] /*v[294:295]*/, 3, v[36:37] /*v[292:293]*/
	v_dual_mov_b32 v55 /*v311*/, 0 :: v_dual_mov_b32 v56 /*v312*/, 0
	s_mov_b32 s13, exec_lo
	s_delay_alu instid0(VALU_DEP_2)
	v_cmpx_gt_i64_e64 s[4:5], v[38:39] /*v[294:295]*/
	s_set_vgpr_msb 0                        ;  msbs: dst=0 src0=0 src1=0 src2=0
	s_cbranch_execz .LBB166_156
; %bb.155:                              ;   in Loop: Header=BB166_145 Depth=1
	s_set_vgpr_msb 0x41                     ;  msbs: dst=1 src0=1 src1=0 src2=0
	v_add_nc_u64_e32 v[38:39] /*v[294:295]*/, v[24:25] /*v[280:281]*/, v[162:163]
	v_add_nc_u64_e32 v[40:41] /*v[296:297]*/, v[26:27] /*v[282:283]*/, v[162:163]
	s_set_vgpr_msb 1                        ;  msbs: dst=0 src0=1 src1=0 src2=0
	global_load_u16 v7, v[38:39] /*v[294:295]*/, off
	s_set_vgpr_msb 0x41                     ;  msbs: dst=1 src0=1 src1=0 src2=0
	global_load_u16 v42 /*v298*/, v[40:41] /*v[296:297]*/, off
	s_wait_loadcnt 0x1
	s_set_vgpr_msb 0                        ;  msbs: dst=0 src0=0 src1=0 src2=0
	v_cvt_f32_f16_e32 v7, v7
	s_wait_loadcnt 0x0
	s_set_vgpr_msb 0x41                     ;  msbs: dst=1 src0=1 src1=0 src2=0
	v_cvt_f32_f16_e64 v56 /*v312*/, v42 /*v298*/
.LBB166_156:                            ;   in Loop: Header=BB166_145 Depth=1
	s_or_b32 exec_lo, exec_lo, s13
	s_set_vgpr_msb 0x44                     ;  msbs: dst=1 src0=0 src1=1 src2=0
	v_add_nc_u64_e32 v[38:39] /*v[294:295]*/, 4, v[36:37] /*v[292:293]*/
	s_mov_b32 s13, exec_lo
	s_delay_alu instid0(VALU_DEP_1)
	v_cmpx_gt_i64_e64 s[4:5], v[38:39] /*v[294:295]*/
	s_set_vgpr_msb 0                        ;  msbs: dst=0 src0=0 src1=0 src2=0
	s_cbranch_execz .LBB166_158
; %bb.157:                              ;   in Loop: Header=BB166_145 Depth=1
	s_set_vgpr_msb 0x41                     ;  msbs: dst=1 src0=1 src1=0 src2=0
	v_add_nc_u64_e32 v[38:39] /*v[294:295]*/, v[20:21] /*v[276:277]*/, v[162:163]
	v_add_nc_u64_e32 v[40:41] /*v[296:297]*/, v[22:23] /*v[278:279]*/, v[162:163]
	s_set_vgpr_msb 1                        ;  msbs: dst=0 src0=1 src1=0 src2=0
	global_load_u16 v8, v[38:39] /*v[294:295]*/, off
	s_set_vgpr_msb 0x41                     ;  msbs: dst=1 src0=1 src1=0 src2=0
	global_load_u16 v42 /*v298*/, v[40:41] /*v[296:297]*/, off
	s_wait_loadcnt 0x1
	s_set_vgpr_msb 0                        ;  msbs: dst=0 src0=0 src1=0 src2=0
	v_cvt_f32_f16_e32 v8, v8
	s_wait_loadcnt 0x0
	s_set_vgpr_msb 0x41                     ;  msbs: dst=1 src0=1 src1=0 src2=0
	v_cvt_f32_f16_e64 v55 /*v311*/, v42 /*v298*/
.LBB166_158:                            ;   in Loop: Header=BB166_145 Depth=1
	s_or_b32 exec_lo, exec_lo, s13
	s_set_vgpr_msb 0x44                     ;  msbs: dst=1 src0=0 src1=1 src2=0
	v_add_nc_u64_e32 v[38:39] /*v[294:295]*/, 5, v[36:37] /*v[292:293]*/
	v_dual_mov_b32 v57 /*v313*/, 0 :: v_dual_mov_b32 v58 /*v314*/, 0
	s_mov_b32 s13, exec_lo
	s_delay_alu instid0(VALU_DEP_2)
	v_cmpx_gt_i64_e64 s[4:5], v[38:39] /*v[294:295]*/
	s_set_vgpr_msb 0                        ;  msbs: dst=0 src0=0 src1=0 src2=0
	s_cbranch_execz .LBB166_160
; %bb.159:                              ;   in Loop: Header=BB166_145 Depth=1
	s_set_vgpr_msb 0x41                     ;  msbs: dst=1 src0=1 src1=0 src2=0
	v_add_nc_u64_e32 v[38:39] /*v[294:295]*/, v[16:17] /*v[272:273]*/, v[162:163]
	v_add_nc_u64_e32 v[40:41] /*v[296:297]*/, v[18:19] /*v[274:275]*/, v[162:163]
	s_set_vgpr_msb 1                        ;  msbs: dst=0 src0=1 src1=0 src2=0
	global_load_u16 v9, v[38:39] /*v[294:295]*/, off
	s_set_vgpr_msb 0x41                     ;  msbs: dst=1 src0=1 src1=0 src2=0
	global_load_u16 v42 /*v298*/, v[40:41] /*v[296:297]*/, off
	s_wait_loadcnt 0x1
	s_set_vgpr_msb 0                        ;  msbs: dst=0 src0=0 src1=0 src2=0
	v_cvt_f32_f16_e32 v9, v9
	s_wait_loadcnt 0x0
	s_set_vgpr_msb 0x41                     ;  msbs: dst=1 src0=1 src1=0 src2=0
	v_cvt_f32_f16_e64 v58 /*v314*/, v42 /*v298*/
.LBB166_160:                            ;   in Loop: Header=BB166_145 Depth=1
	s_or_b32 exec_lo, exec_lo, s13
	s_set_vgpr_msb 0x44                     ;  msbs: dst=1 src0=0 src1=1 src2=0
	v_add_nc_u64_e32 v[38:39] /*v[294:295]*/, 6, v[36:37] /*v[292:293]*/
	s_mov_b32 s13, exec_lo
	s_delay_alu instid0(VALU_DEP_1)
	v_cmpx_gt_i64_e64 s[4:5], v[38:39] /*v[294:295]*/
	s_set_vgpr_msb 0                        ;  msbs: dst=0 src0=0 src1=0 src2=0
	s_cbranch_execz .LBB166_162
; %bb.161:                              ;   in Loop: Header=BB166_145 Depth=1
	s_set_vgpr_msb 0x41                     ;  msbs: dst=1 src0=1 src1=0 src2=0
	v_add_nc_u64_e32 v[38:39] /*v[294:295]*/, v[12:13] /*v[268:269]*/, v[162:163]
	v_add_nc_u64_e32 v[40:41] /*v[296:297]*/, v[14:15] /*v[270:271]*/, v[162:163]
	s_set_vgpr_msb 1                        ;  msbs: dst=0 src0=1 src1=0 src2=0
	global_load_u16 v10, v[38:39] /*v[294:295]*/, off
	s_set_vgpr_msb 0x41                     ;  msbs: dst=1 src0=1 src1=0 src2=0
	global_load_u16 v42 /*v298*/, v[40:41] /*v[296:297]*/, off
	s_wait_loadcnt 0x1
	s_set_vgpr_msb 0                        ;  msbs: dst=0 src0=0 src1=0 src2=0
	v_cvt_f32_f16_e32 v10, v10
	s_wait_loadcnt 0x0
	s_set_vgpr_msb 0x41                     ;  msbs: dst=1 src0=1 src1=0 src2=0
	v_cvt_f32_f16_e64 v57 /*v313*/, v42 /*v298*/
.LBB166_162:                            ;   in Loop: Header=BB166_145 Depth=1
	;; [unrolled: 47-line block ×3, first 2 shown]
	s_or_b32 exec_lo, exec_lo, s13
	s_set_vgpr_msb 0x44                     ;  msbs: dst=1 src0=0 src1=1 src2=0
	v_add_nc_u64_e32 v[38:39] /*v[294:295]*/, 9, v[36:37] /*v[292:293]*/
	v_dual_mov_b32 v61 /*v317*/, 0 :: v_dual_mov_b32 v62 /*v318*/, 0
	s_mov_b32 s13, exec_lo
	s_delay_alu instid0(VALU_DEP_2)
	v_cmpx_gt_i64_e64 s[4:5], v[38:39] /*v[294:295]*/
	s_set_vgpr_msb 0                        ;  msbs: dst=0 src0=0 src1=0 src2=0
	s_cbranch_execz .LBB166_168
; %bb.167:                              ;   in Loop: Header=BB166_145 Depth=1
	s_set_vgpr_msb 0x41                     ;  msbs: dst=1 src0=1 src1=0 src2=0
	v_add_nc_u64_e32 v[38:39] /*v[294:295]*/, v[0:1] /*v[256:257]*/, v[162:163]
	v_add_nc_u64_e32 v[40:41] /*v[296:297]*/, v[2:3] /*v[258:259]*/, v[162:163]
	s_set_vgpr_msb 1                        ;  msbs: dst=0 src0=1 src1=0 src2=0
	global_load_u16 v13, v[38:39] /*v[294:295]*/, off
	s_set_vgpr_msb 0x41                     ;  msbs: dst=1 src0=1 src1=0 src2=0
	global_load_u16 v42 /*v298*/, v[40:41] /*v[296:297]*/, off
	s_wait_loadcnt 0x1
	s_set_vgpr_msb 0                        ;  msbs: dst=0 src0=0 src1=0 src2=0
	v_cvt_f32_f16_e32 v13, v13
	s_wait_loadcnt 0x0
	s_set_vgpr_msb 0x41                     ;  msbs: dst=1 src0=1 src1=0 src2=0
	v_cvt_f32_f16_e64 v62 /*v318*/, v42 /*v298*/
.LBB166_168:                            ;   in Loop: Header=BB166_145 Depth=1
	s_or_b32 exec_lo, exec_lo, s13
	s_set_vgpr_msb 0x44                     ;  msbs: dst=1 src0=0 src1=1 src2=0
	v_add_nc_u64_e32 v[38:39] /*v[294:295]*/, 10, v[36:37] /*v[292:293]*/
	s_mov_b32 s13, exec_lo
	s_delay_alu instid0(VALU_DEP_1)
	v_cmpx_gt_i64_e64 s[4:5], v[38:39] /*v[294:295]*/
	s_set_vgpr_msb 0                        ;  msbs: dst=0 src0=0 src1=0 src2=0
	s_cbranch_execz .LBB166_170
; %bb.169:                              ;   in Loop: Header=BB166_145 Depth=1
	s_set_vgpr_msb 64                       ;  msbs: dst=1 src0=0 src1=0 src2=0
	v_add_nc_u64_e32 v[38:39] /*v[294:295]*/, v[252:253], v[162:163]
	v_add_nc_u64_e32 v[40:41] /*v[296:297]*/, v[254:255], v[162:163]
	s_set_vgpr_msb 1                        ;  msbs: dst=0 src0=1 src1=0 src2=0
	global_load_u16 v14, v[38:39] /*v[294:295]*/, off
	s_set_vgpr_msb 0x41                     ;  msbs: dst=1 src0=1 src1=0 src2=0
	global_load_u16 v42 /*v298*/, v[40:41] /*v[296:297]*/, off
	s_wait_loadcnt 0x1
	s_set_vgpr_msb 0                        ;  msbs: dst=0 src0=0 src1=0 src2=0
	v_cvt_f32_f16_e32 v14, v14
	s_wait_loadcnt 0x0
	s_set_vgpr_msb 0x41                     ;  msbs: dst=1 src0=1 src1=0 src2=0
	v_cvt_f32_f16_e64 v61 /*v317*/, v42 /*v298*/
.LBB166_170:                            ;   in Loop: Header=BB166_145 Depth=1
	s_or_b32 exec_lo, exec_lo, s13
	s_set_vgpr_msb 0x44                     ;  msbs: dst=1 src0=0 src1=1 src2=0
	v_add_nc_u64_e32 v[38:39] /*v[294:295]*/, 11, v[36:37] /*v[292:293]*/
	v_dual_mov_b32 v63 /*v319*/, 0 :: v_dual_mov_b32 v64 /*v320*/, 0
	s_mov_b32 s13, exec_lo
	s_delay_alu instid0(VALU_DEP_2)
	v_cmpx_gt_i64_e64 s[4:5], v[38:39] /*v[294:295]*/
	s_set_vgpr_msb 0                        ;  msbs: dst=0 src0=0 src1=0 src2=0
	s_cbranch_execz .LBB166_172
; %bb.171:                              ;   in Loop: Header=BB166_145 Depth=1
	s_set_vgpr_msb 64                       ;  msbs: dst=1 src0=0 src1=0 src2=0
	v_add_nc_u64_e32 v[38:39] /*v[294:295]*/, v[248:249], v[162:163]
	v_add_nc_u64_e32 v[40:41] /*v[296:297]*/, v[250:251], v[162:163]
	s_set_vgpr_msb 1                        ;  msbs: dst=0 src0=1 src1=0 src2=0
	global_load_u16 v15, v[38:39] /*v[294:295]*/, off
	s_set_vgpr_msb 0x41                     ;  msbs: dst=1 src0=1 src1=0 src2=0
	global_load_u16 v42 /*v298*/, v[40:41] /*v[296:297]*/, off
	s_wait_loadcnt 0x1
	s_set_vgpr_msb 0                        ;  msbs: dst=0 src0=0 src1=0 src2=0
	v_cvt_f32_f16_e32 v15, v15
	s_wait_loadcnt 0x0
	s_set_vgpr_msb 0x41                     ;  msbs: dst=1 src0=1 src1=0 src2=0
	v_cvt_f32_f16_e64 v64 /*v320*/, v42 /*v298*/
.LBB166_172:                            ;   in Loop: Header=BB166_145 Depth=1
	s_or_b32 exec_lo, exec_lo, s13
	s_set_vgpr_msb 0x44                     ;  msbs: dst=1 src0=0 src1=1 src2=0
	v_add_nc_u64_e32 v[38:39] /*v[294:295]*/, 12, v[36:37] /*v[292:293]*/
	s_mov_b32 s13, exec_lo
	s_delay_alu instid0(VALU_DEP_1)
	v_cmpx_gt_i64_e64 s[4:5], v[38:39] /*v[294:295]*/
	s_set_vgpr_msb 0                        ;  msbs: dst=0 src0=0 src1=0 src2=0
	s_cbranch_execz .LBB166_174
; %bb.173:                              ;   in Loop: Header=BB166_145 Depth=1
	s_set_vgpr_msb 64                       ;  msbs: dst=1 src0=0 src1=0 src2=0
	v_add_nc_u64_e32 v[38:39] /*v[294:295]*/, v[244:245], v[162:163]
	v_add_nc_u64_e32 v[40:41] /*v[296:297]*/, v[246:247], v[162:163]
	s_set_vgpr_msb 1                        ;  msbs: dst=0 src0=1 src1=0 src2=0
	global_load_u16 v16, v[38:39] /*v[294:295]*/, off
	s_set_vgpr_msb 0x41                     ;  msbs: dst=1 src0=1 src1=0 src2=0
	global_load_u16 v42 /*v298*/, v[40:41] /*v[296:297]*/, off
	s_wait_loadcnt 0x1
	s_set_vgpr_msb 0                        ;  msbs: dst=0 src0=0 src1=0 src2=0
	v_cvt_f32_f16_e32 v16, v16
	s_wait_loadcnt 0x0
	s_set_vgpr_msb 0x41                     ;  msbs: dst=1 src0=1 src1=0 src2=0
	v_cvt_f32_f16_e64 v63 /*v319*/, v42 /*v298*/
.LBB166_174:                            ;   in Loop: Header=BB166_145 Depth=1
	s_or_b32 exec_lo, exec_lo, s13
	s_set_vgpr_msb 0x44                     ;  msbs: dst=1 src0=0 src1=1 src2=0
	v_add_nc_u64_e32 v[38:39] /*v[294:295]*/, 13, v[36:37] /*v[292:293]*/
	v_dual_mov_b32 v65 /*v321*/, 0 :: v_dual_mov_b32 v66 /*v322*/, 0
	s_mov_b32 s13, exec_lo
	s_delay_alu instid0(VALU_DEP_2)
	v_cmpx_gt_i64_e64 s[4:5], v[38:39] /*v[294:295]*/
	s_set_vgpr_msb 0                        ;  msbs: dst=0 src0=0 src1=0 src2=0
	s_cbranch_execz .LBB166_176
; %bb.175:                              ;   in Loop: Header=BB166_145 Depth=1
	s_set_vgpr_msb 64                       ;  msbs: dst=1 src0=0 src1=0 src2=0
	v_add_nc_u64_e32 v[38:39] /*v[294:295]*/, v[240:241], v[162:163]
	v_add_nc_u64_e32 v[40:41] /*v[296:297]*/, v[242:243], v[162:163]
	s_set_vgpr_msb 1                        ;  msbs: dst=0 src0=1 src1=0 src2=0
	global_load_u16 v17, v[38:39] /*v[294:295]*/, off
	s_set_vgpr_msb 0x41                     ;  msbs: dst=1 src0=1 src1=0 src2=0
	global_load_u16 v42 /*v298*/, v[40:41] /*v[296:297]*/, off
	s_wait_loadcnt 0x1
	s_set_vgpr_msb 0                        ;  msbs: dst=0 src0=0 src1=0 src2=0
	v_cvt_f32_f16_e32 v17, v17
	s_wait_loadcnt 0x0
	s_set_vgpr_msb 0x41                     ;  msbs: dst=1 src0=1 src1=0 src2=0
	v_cvt_f32_f16_e64 v66 /*v322*/, v42 /*v298*/
.LBB166_176:                            ;   in Loop: Header=BB166_145 Depth=1
	s_or_b32 exec_lo, exec_lo, s13
	s_set_vgpr_msb 0x44                     ;  msbs: dst=1 src0=0 src1=1 src2=0
	v_add_nc_u64_e32 v[38:39] /*v[294:295]*/, 14, v[36:37] /*v[292:293]*/
	s_mov_b32 s13, exec_lo
	s_delay_alu instid0(VALU_DEP_1)
	v_cmpx_gt_i64_e64 s[4:5], v[38:39] /*v[294:295]*/
	s_set_vgpr_msb 0                        ;  msbs: dst=0 src0=0 src1=0 src2=0
	s_cbranch_execz .LBB166_178
; %bb.177:                              ;   in Loop: Header=BB166_145 Depth=1
	s_set_vgpr_msb 64                       ;  msbs: dst=1 src0=0 src1=0 src2=0
	v_add_nc_u64_e32 v[38:39] /*v[294:295]*/, v[236:237], v[162:163]
	v_add_nc_u64_e32 v[40:41] /*v[296:297]*/, v[238:239], v[162:163]
	s_set_vgpr_msb 1                        ;  msbs: dst=0 src0=1 src1=0 src2=0
	global_load_u16 v18, v[38:39] /*v[294:295]*/, off
	s_set_vgpr_msb 0x41                     ;  msbs: dst=1 src0=1 src1=0 src2=0
	global_load_u16 v42 /*v298*/, v[40:41] /*v[296:297]*/, off
	s_wait_loadcnt 0x1
	s_set_vgpr_msb 0                        ;  msbs: dst=0 src0=0 src1=0 src2=0
	v_cvt_f32_f16_e32 v18, v18
	s_wait_loadcnt 0x0
	s_set_vgpr_msb 0x41                     ;  msbs: dst=1 src0=1 src1=0 src2=0
	v_cvt_f32_f16_e64 v65 /*v321*/, v42 /*v298*/
.LBB166_178:                            ;   in Loop: Header=BB166_145 Depth=1
	s_or_b32 exec_lo, exec_lo, s13
	s_set_vgpr_msb 0x44                     ;  msbs: dst=1 src0=0 src1=1 src2=0
	v_add_nc_u64_e32 v[38:39] /*v[294:295]*/, 15, v[36:37] /*v[292:293]*/
	v_dual_mov_b32 v67 /*v323*/, 0 :: v_dual_mov_b32 v68 /*v324*/, 0
	s_mov_b32 s13, exec_lo
	s_delay_alu instid0(VALU_DEP_2)
	v_cmpx_gt_i64_e64 s[4:5], v[38:39] /*v[294:295]*/
	s_set_vgpr_msb 0                        ;  msbs: dst=0 src0=0 src1=0 src2=0
	s_cbranch_execz .LBB166_180
; %bb.179:                              ;   in Loop: Header=BB166_145 Depth=1
	s_set_vgpr_msb 64                       ;  msbs: dst=1 src0=0 src1=0 src2=0
	v_add_nc_u64_e32 v[38:39] /*v[294:295]*/, v[232:233], v[162:163]
	v_add_nc_u64_e32 v[40:41] /*v[296:297]*/, v[234:235], v[162:163]
	s_set_vgpr_msb 1                        ;  msbs: dst=0 src0=1 src1=0 src2=0
	global_load_u16 v19, v[38:39] /*v[294:295]*/, off
	s_set_vgpr_msb 0x41                     ;  msbs: dst=1 src0=1 src1=0 src2=0
	global_load_u16 v42 /*v298*/, v[40:41] /*v[296:297]*/, off
	s_wait_loadcnt 0x1
	s_set_vgpr_msb 0                        ;  msbs: dst=0 src0=0 src1=0 src2=0
	v_cvt_f32_f16_e32 v19, v19
	s_wait_loadcnt 0x0
	s_set_vgpr_msb 0x41                     ;  msbs: dst=1 src0=1 src1=0 src2=0
	v_cvt_f32_f16_e64 v68 /*v324*/, v42 /*v298*/
.LBB166_180:                            ;   in Loop: Header=BB166_145 Depth=1
	s_or_b32 exec_lo, exec_lo, s13
	s_set_vgpr_msb 0x44                     ;  msbs: dst=1 src0=0 src1=1 src2=0
	v_add_nc_u64_e32 v[38:39] /*v[294:295]*/, 16, v[36:37] /*v[292:293]*/
	s_mov_b32 s13, exec_lo
	s_delay_alu instid0(VALU_DEP_1)
	v_cmpx_gt_i64_e64 s[4:5], v[38:39] /*v[294:295]*/
	s_set_vgpr_msb 0                        ;  msbs: dst=0 src0=0 src1=0 src2=0
	s_cbranch_execz .LBB166_182
; %bb.181:                              ;   in Loop: Header=BB166_145 Depth=1
	s_set_vgpr_msb 64                       ;  msbs: dst=1 src0=0 src1=0 src2=0
	v_add_nc_u64_e32 v[38:39] /*v[294:295]*/, v[228:229], v[162:163]
	v_add_nc_u64_e32 v[40:41] /*v[296:297]*/, v[230:231], v[162:163]
	s_set_vgpr_msb 1                        ;  msbs: dst=0 src0=1 src1=0 src2=0
	global_load_u16 v20, v[38:39] /*v[294:295]*/, off
	s_set_vgpr_msb 0x41                     ;  msbs: dst=1 src0=1 src1=0 src2=0
	global_load_u16 v42 /*v298*/, v[40:41] /*v[296:297]*/, off
	s_wait_loadcnt 0x1
	s_set_vgpr_msb 0                        ;  msbs: dst=0 src0=0 src1=0 src2=0
	v_cvt_f32_f16_e32 v20, v20
	s_wait_loadcnt 0x0
	s_set_vgpr_msb 0x41                     ;  msbs: dst=1 src0=1 src1=0 src2=0
	v_cvt_f32_f16_e64 v67 /*v323*/, v42 /*v298*/
.LBB166_182:                            ;   in Loop: Header=BB166_145 Depth=1
	s_or_b32 exec_lo, exec_lo, s13
	s_set_vgpr_msb 0x44                     ;  msbs: dst=1 src0=0 src1=1 src2=0
	v_add_nc_u64_e32 v[38:39] /*v[294:295]*/, 17, v[36:37] /*v[292:293]*/
	v_dual_mov_b32 v69 /*v325*/, 0 :: v_dual_mov_b32 v70 /*v326*/, 0
	s_mov_b32 s13, exec_lo
	s_delay_alu instid0(VALU_DEP_2)
	v_cmpx_gt_i64_e64 s[4:5], v[38:39] /*v[294:295]*/
	s_set_vgpr_msb 0                        ;  msbs: dst=0 src0=0 src1=0 src2=0
	s_cbranch_execz .LBB166_184
; %bb.183:                              ;   in Loop: Header=BB166_145 Depth=1
	s_set_vgpr_msb 64                       ;  msbs: dst=1 src0=0 src1=0 src2=0
	v_add_nc_u64_e32 v[38:39] /*v[294:295]*/, v[224:225], v[162:163]
	v_add_nc_u64_e32 v[40:41] /*v[296:297]*/, v[226:227], v[162:163]
	s_set_vgpr_msb 1                        ;  msbs: dst=0 src0=1 src1=0 src2=0
	global_load_u16 v21, v[38:39] /*v[294:295]*/, off
	s_set_vgpr_msb 0x41                     ;  msbs: dst=1 src0=1 src1=0 src2=0
	global_load_u16 v42 /*v298*/, v[40:41] /*v[296:297]*/, off
	s_wait_loadcnt 0x1
	s_set_vgpr_msb 0                        ;  msbs: dst=0 src0=0 src1=0 src2=0
	v_cvt_f32_f16_e32 v21, v21
	s_wait_loadcnt 0x0
	s_set_vgpr_msb 0x41                     ;  msbs: dst=1 src0=1 src1=0 src2=0
	v_cvt_f32_f16_e64 v70 /*v326*/, v42 /*v298*/
.LBB166_184:                            ;   in Loop: Header=BB166_145 Depth=1
	s_or_b32 exec_lo, exec_lo, s13
	s_set_vgpr_msb 0x44                     ;  msbs: dst=1 src0=0 src1=1 src2=0
	v_add_nc_u64_e32 v[38:39] /*v[294:295]*/, 18, v[36:37] /*v[292:293]*/
	s_mov_b32 s13, exec_lo
	s_delay_alu instid0(VALU_DEP_1)
	v_cmpx_gt_i64_e64 s[4:5], v[38:39] /*v[294:295]*/
	s_set_vgpr_msb 0                        ;  msbs: dst=0 src0=0 src1=0 src2=0
	s_cbranch_execz .LBB166_186
; %bb.185:                              ;   in Loop: Header=BB166_145 Depth=1
	s_set_vgpr_msb 64                       ;  msbs: dst=1 src0=0 src1=0 src2=0
	v_add_nc_u64_e32 v[38:39] /*v[294:295]*/, v[220:221], v[162:163]
	v_add_nc_u64_e32 v[40:41] /*v[296:297]*/, v[222:223], v[162:163]
	s_set_vgpr_msb 1                        ;  msbs: dst=0 src0=1 src1=0 src2=0
	global_load_u16 v22, v[38:39] /*v[294:295]*/, off
	s_set_vgpr_msb 0x41                     ;  msbs: dst=1 src0=1 src1=0 src2=0
	global_load_u16 v42 /*v298*/, v[40:41] /*v[296:297]*/, off
	s_wait_loadcnt 0x1
	s_set_vgpr_msb 0                        ;  msbs: dst=0 src0=0 src1=0 src2=0
	v_cvt_f32_f16_e32 v22, v22
	s_wait_loadcnt 0x0
	s_set_vgpr_msb 0x41                     ;  msbs: dst=1 src0=1 src1=0 src2=0
	v_cvt_f32_f16_e64 v69 /*v325*/, v42 /*v298*/
.LBB166_186:                            ;   in Loop: Header=BB166_145 Depth=1
	s_or_b32 exec_lo, exec_lo, s13
	s_set_vgpr_msb 0x44                     ;  msbs: dst=1 src0=0 src1=1 src2=0
	v_add_nc_u64_e32 v[38:39] /*v[294:295]*/, 19, v[36:37] /*v[292:293]*/
	v_mov_b32_e32 v71 /*v327*/, 0
	s_delay_alu instid0(VALU_DEP_2)
	v_cmp_gt_i64_e32 vcc_lo, s[4:5], v[38:39] /*v[294:295]*/
	v_mov_b32_e32 v38 /*v294*/, 0
	s_and_saveexec_b32 s13, vcc_lo
	s_set_vgpr_msb 0                        ;  msbs: dst=0 src0=0 src1=0 src2=0
	s_cbranch_execz .LBB166_188
; %bb.187:                              ;   in Loop: Header=BB166_145 Depth=1
	s_set_vgpr_msb 64                       ;  msbs: dst=1 src0=0 src1=0 src2=0
	v_add_nc_u64_e32 v[40:41] /*v[296:297]*/, v[216:217], v[162:163]
	v_add_nc_u64_e32 v[42:43] /*v[298:299]*/, v[218:219], v[162:163]
	s_set_vgpr_msb 1                        ;  msbs: dst=0 src0=1 src1=0 src2=0
	global_load_u16 v23, v[40:41] /*v[296:297]*/, off
	s_set_vgpr_msb 0x41                     ;  msbs: dst=1 src0=1 src1=0 src2=0
	global_load_u16 v39 /*v295*/, v[42:43] /*v[298:299]*/, off
	s_wait_loadcnt 0x1
	s_set_vgpr_msb 0                        ;  msbs: dst=0 src0=0 src1=0 src2=0
	v_cvt_f32_f16_e32 v23, v23
	s_wait_loadcnt 0x0
	s_set_vgpr_msb 0x41                     ;  msbs: dst=1 src0=1 src1=0 src2=0
	v_cvt_f32_f16_e64 v71 /*v327*/, v39 /*v295*/
.LBB166_188:                            ;   in Loop: Header=BB166_145 Depth=1
	s_or_b32 exec_lo, exec_lo, s13
	s_set_vgpr_msb 0x44                     ;  msbs: dst=1 src0=0 src1=1 src2=0
	v_add_nc_u64_e32 v[40:41] /*v[296:297]*/, 20, v[36:37] /*v[292:293]*/
	s_mov_b32 s13, exec_lo
	s_delay_alu instid0(VALU_DEP_1)
	v_cmpx_gt_i64_e64 s[4:5], v[40:41] /*v[296:297]*/
	s_set_vgpr_msb 0                        ;  msbs: dst=0 src0=0 src1=0 src2=0
	s_cbranch_execz .LBB166_190
; %bb.189:                              ;   in Loop: Header=BB166_145 Depth=1
	s_set_vgpr_msb 64                       ;  msbs: dst=1 src0=0 src1=0 src2=0
	v_add_nc_u64_e32 v[38:39] /*v[294:295]*/, v[212:213], v[162:163]
	v_add_nc_u64_e32 v[40:41] /*v[296:297]*/, v[214:215], v[162:163]
	s_set_vgpr_msb 1                        ;  msbs: dst=0 src0=1 src1=0 src2=0
	global_load_u16 v24, v[38:39] /*v[294:295]*/, off
	s_set_vgpr_msb 0x41                     ;  msbs: dst=1 src0=1 src1=0 src2=0
	global_load_u16 v42 /*v298*/, v[40:41] /*v[296:297]*/, off
	s_wait_loadcnt 0x1
	s_set_vgpr_msb 0                        ;  msbs: dst=0 src0=0 src1=0 src2=0
	v_cvt_f32_f16_e32 v24, v24
	s_wait_loadcnt 0x0
	s_set_vgpr_msb 0x41                     ;  msbs: dst=1 src0=1 src1=0 src2=0
	v_cvt_f32_f16_e64 v38 /*v294*/, v42 /*v298*/
.LBB166_190:                            ;   in Loop: Header=BB166_145 Depth=1
	s_or_b32 exec_lo, exec_lo, s13
	s_set_vgpr_msb 0x44                     ;  msbs: dst=1 src0=0 src1=1 src2=0
	v_add_nc_u64_e32 v[40:41] /*v[296:297]*/, 21, v[36:37] /*v[292:293]*/
	v_mov_b32_e32 v39 /*v295*/, 0
	s_delay_alu instid0(VALU_DEP_2)
	v_cmp_gt_i64_e32 vcc_lo, s[4:5], v[40:41] /*v[296:297]*/
	v_mov_b32_e32 v40 /*v296*/, 0
	s_and_saveexec_b32 s13, vcc_lo
	s_set_vgpr_msb 0                        ;  msbs: dst=0 src0=0 src1=0 src2=0
	s_cbranch_execz .LBB166_192
; %bb.191:                              ;   in Loop: Header=BB166_145 Depth=1
	s_set_vgpr_msb 64                       ;  msbs: dst=1 src0=0 src1=0 src2=0
	v_add_nc_u64_e32 v[42:43] /*v[298:299]*/, v[208:209], v[162:163]
	v_add_nc_u64_e32 v[44:45] /*v[300:301]*/, v[210:211], v[162:163]
	s_set_vgpr_msb 1                        ;  msbs: dst=0 src0=1 src1=0 src2=0
	global_load_u16 v25, v[42:43] /*v[298:299]*/, off
	s_set_vgpr_msb 0x41                     ;  msbs: dst=1 src0=1 src1=0 src2=0
	global_load_u16 v39 /*v295*/, v[44:45] /*v[300:301]*/, off
	s_wait_loadcnt 0x1
	s_set_vgpr_msb 0                        ;  msbs: dst=0 src0=0 src1=0 src2=0
	v_cvt_f32_f16_e32 v25, v25
	s_wait_loadcnt 0x0
	s_set_vgpr_msb 0x41                     ;  msbs: dst=1 src0=1 src1=0 src2=0
	v_cvt_f32_f16_e64 v39 /*v295*/, v39 /*v295*/
.LBB166_192:                            ;   in Loop: Header=BB166_145 Depth=1
	;; [unrolled: 48-line block ×6, first 2 shown]
	s_or_b32 exec_lo, exec_lo, s13
	s_set_vgpr_msb 0x44                     ;  msbs: dst=1 src0=0 src1=1 src2=0
	v_add_nc_u64_e32 v[72:73] /*v[328:329]*/, 30, v[36:37] /*v[292:293]*/
	s_mov_b32 s13, exec_lo
	s_delay_alu instid0(VALU_DEP_1)
	v_cmpx_gt_i64_e64 s[4:5], v[72:73] /*v[328:329]*/
	s_set_vgpr_msb 0                        ;  msbs: dst=0 src0=0 src1=0 src2=0
	s_cbranch_execz .LBB166_210
; %bb.209:                              ;   in Loop: Header=BB166_145 Depth=1
	s_set_vgpr_msb 64                       ;  msbs: dst=1 src0=0 src1=0 src2=0
	v_add_nc_u64_e32 v[48:49] /*v[304:305]*/, v[172:173], v[162:163]
	v_add_nc_u64_e32 v[72:73] /*v[328:329]*/, v[174:175], v[162:163]
	s_set_vgpr_msb 1                        ;  msbs: dst=0 src0=1 src1=0 src2=0
	global_load_u16 v34, v[48:49] /*v[304:305]*/, off
	s_set_vgpr_msb 0x41                     ;  msbs: dst=1 src0=1 src1=0 src2=0
	global_load_u16 v74 /*v330*/, v[72:73] /*v[328:329]*/, off
	s_wait_loadcnt 0x1
	s_set_vgpr_msb 0                        ;  msbs: dst=0 src0=0 src1=0 src2=0
	v_cvt_f32_f16_e32 v34, v34
	s_wait_loadcnt 0x0
	s_set_vgpr_msb 0x41                     ;  msbs: dst=1 src0=1 src1=0 src2=0
	v_cvt_f32_f16_e64 v48 /*v304*/, v74 /*v330*/
.LBB166_210:                            ;   in Loop: Header=BB166_145 Depth=1
	s_or_b32 exec_lo, exec_lo, s13
	s_set_vgpr_msb 0x44                     ;  msbs: dst=1 src0=0 src1=1 src2=0
	v_add_nc_u64_e32 v[72:73] /*v[328:329]*/, 31, v[36:37] /*v[292:293]*/
	v_mov_b32_e32 v49 /*v305*/, 0
	s_mov_b32 s13, exec_lo
	s_delay_alu instid0(VALU_DEP_2)
	v_cmpx_gt_i64_e64 s[4:5], v[72:73] /*v[328:329]*/
	s_set_vgpr_msb 0                        ;  msbs: dst=0 src0=0 src1=0 src2=0
	s_cbranch_execz .LBB166_212
; %bb.211:                              ;   in Loop: Header=BB166_145 Depth=1
	s_set_vgpr_msb 64                       ;  msbs: dst=1 src0=0 src1=0 src2=0
	v_add_nc_u64_e32 v[72:73] /*v[328:329]*/, v[168:169], v[162:163]
	v_add_nc_u64_e32 v[74:75] /*v[330:331]*/, v[170:171], v[162:163]
	s_set_vgpr_msb 1                        ;  msbs: dst=0 src0=1 src1=0 src2=0
	global_load_u16 v35, v[72:73] /*v[328:329]*/, off
	s_set_vgpr_msb 0x41                     ;  msbs: dst=1 src0=1 src1=0 src2=0
	global_load_u16 v49 /*v305*/, v[74:75] /*v[330:331]*/, off
	s_wait_loadcnt 0x1
	s_set_vgpr_msb 0                        ;  msbs: dst=0 src0=0 src1=0 src2=0
	v_cvt_f32_f16_e32 v35, v35
	s_wait_loadcnt 0x0
	s_set_vgpr_msb 0x41                     ;  msbs: dst=1 src0=1 src1=0 src2=0
	v_cvt_f32_f16_e64 v49 /*v305*/, v49 /*v305*/
.LBB166_212:                            ;   in Loop: Header=BB166_145 Depth=1
	s_or_b32 exec_lo, exec_lo, s13
	s_wait_loadcnt 0x0
	s_set_vgpr_msb 0x44                     ;  msbs: dst=1 src0=0 src1=1 src2=0
	ds_bpermute_b32 v72 /*v328*/, v2, v52 /*v308*/
	ds_bpermute_b32 v73 /*v329*/, v2, v52 /*v308*/ offset:4
	ds_bpermute_b32 v74 /*v330*/, v2, v52 /*v308*/ offset:8
	s_set_vgpr_msb 1                        ;  msbs: dst=0 src0=1 src1=0 src2=0
	v_dual_mul_f32 v4, v53 /*v309*/, v4 :: v_dual_mul_f32 v5, v54 /*v310*/, v5
	s_set_vgpr_msb 0x44                     ;  msbs: dst=1 src0=0 src1=1 src2=0
	ds_bpermute_b32 v53 /*v309*/, v2, v52 /*v308*/ offset:12
	ds_bpermute_b32 v54 /*v310*/, v2, v52 /*v308*/ offset:16
	s_set_vgpr_msb 0                        ;  msbs: dst=0 src0=0 src1=0 src2=0
	v_mul_f32_e32 v3, v3, v6
	s_set_vgpr_msb 4                        ;  msbs: dst=0 src0=0 src1=1 src2=0
	ds_bpermute_b32 v6, v2, v52 /*v308*/ offset:24
	s_mov_b32 s13, 0
	s_wait_dscnt 0x5
	s_set_vgpr_msb 0x54                     ;  msbs: dst=1 src0=0 src1=1 src2=1
	v_fma_f32 v72 /*v328*/, v4, v72 /*v328*/, v51 /*v307*/
	s_set_vgpr_msb 4                        ;  msbs: dst=0 src0=0 src1=1 src2=0
	ds_bpermute_b32 v4, v2, v52 /*v308*/ offset:20
	s_wait_dscnt 0x5
	s_set_vgpr_msb 0x44                     ;  msbs: dst=1 src0=0 src1=1 src2=0
	v_fmac_f32_e32 v72 /*v328*/, v5, v73 /*v329*/
	s_set_vgpr_msb 1                        ;  msbs: dst=0 src0=1 src1=0 src2=0
	v_mul_f32_e32 v5, v56 /*v312*/, v7
	s_set_vgpr_msb 4                        ;  msbs: dst=0 src0=0 src1=1 src2=0
	ds_bpermute_b32 v7, v2, v52 /*v308*/ offset:28
	s_wait_dscnt 0x5
	s_set_vgpr_msb 0x44                     ;  msbs: dst=1 src0=0 src1=1 src2=0
	v_fmac_f32_e32 v72 /*v328*/, v3, v74 /*v330*/
	s_set_vgpr_msb 1                        ;  msbs: dst=0 src0=1 src1=0 src2=0
	v_mul_f32_e32 v3, v55 /*v311*/, v8
	;; [unrolled: 7-line block ×4, first 2 shown]
	s_set_vgpr_msb 4                        ;  msbs: dst=0 src0=0 src1=1 src2=0
	ds_bpermute_b32 v10, v2, v52 /*v308*/ offset:60
	s_wait_dscnt 0x4
	s_set_vgpr_msb 64                       ;  msbs: dst=1 src0=0 src1=0 src2=0
	v_fmac_f32_e32 v72 /*v328*/, v5, v4
	s_set_vgpr_msb 1                        ;  msbs: dst=0 src0=1 src1=0 src2=0
	v_mul_f32_e32 v4, v60 /*v316*/, v11
	s_set_vgpr_msb 4                        ;  msbs: dst=0 src0=0 src1=1 src2=0
	ds_bpermute_b32 v5, v2, v52 /*v308*/ offset:40
	ds_bpermute_b32 v11, v2, v52 /*v308*/ offset:68
	s_set_vgpr_msb 64                       ;  msbs: dst=1 src0=0 src1=0 src2=0
	v_fmac_f32_e32 v72 /*v328*/, v3, v6
	s_set_vgpr_msb 1                        ;  msbs: dst=0 src0=1 src1=0 src2=0
	v_mul_f32_e32 v3, v59 /*v315*/, v12
	s_set_vgpr_msb 4                        ;  msbs: dst=0 src0=0 src1=1 src2=0
	ds_bpermute_b32 v6, v2, v52 /*v308*/ offset:44
	ds_bpermute_b32 v12, v2, v52 /*v308*/ offset:72
	s_wait_dscnt 0x7
	s_set_vgpr_msb 64                       ;  msbs: dst=1 src0=0 src1=0 src2=0
	v_fmac_f32_e32 v72 /*v328*/, v4, v7
	s_set_vgpr_msb 1                        ;  msbs: dst=0 src0=1 src1=0 src2=0
	v_mul_f32_e32 v4, v62 /*v318*/, v13
	s_set_vgpr_msb 4                        ;  msbs: dst=0 src0=0 src1=1 src2=0
	ds_bpermute_b32 v7, v2, v52 /*v308*/ offset:48
	ds_bpermute_b32 v13, v2, v52 /*v308*/ offset:76
	s_wait_dscnt 0x8
	s_set_vgpr_msb 64                       ;  msbs: dst=1 src0=0 src1=0 src2=0
	v_fmac_f32_e32 v72 /*v328*/, v3, v8
	s_set_vgpr_msb 1                        ;  msbs: dst=0 src0=1 src1=0 src2=0
	v_mul_f32_e32 v3, v61 /*v317*/, v14
	s_set_vgpr_msb 4                        ;  msbs: dst=0 src0=0 src1=1 src2=0
	ds_bpermute_b32 v8, v2, v52 /*v308*/ offset:52
	s_wait_dscnt 0x8
	s_set_vgpr_msb 64                       ;  msbs: dst=1 src0=0 src1=0 src2=0
	v_fmac_f32_e32 v72 /*v328*/, v4, v9
	s_set_vgpr_msb 1                        ;  msbs: dst=0 src0=1 src1=0 src2=0
	v_mul_f32_e32 v4, v64 /*v320*/, v15
	s_set_vgpr_msb 4                        ;  msbs: dst=0 src0=0 src1=1 src2=0
	;; [unrolled: 7-line block ×4, first 2 shown]
	ds_bpermute_b32 v6, v2, v52 /*v308*/ offset:64
	s_wait_dscnt 0x5
	s_set_vgpr_msb 64                       ;  msbs: dst=1 src0=0 src1=0 src2=0
	v_fmac_f32_e32 v72 /*v328*/, v3, v7
	s_set_vgpr_msb 1                        ;  msbs: dst=0 src0=1 src1=0 src2=0
	v_dual_mul_f32 v3, v65 /*v321*/, v18 :: v_dual_mul_f32 v7, v68 /*v324*/, v19
	s_wait_dscnt 0x3
	s_set_vgpr_msb 64                       ;  msbs: dst=1 src0=0 src1=0 src2=0
	v_fmac_f32_e32 v72 /*v328*/, v4, v8
	s_set_vgpr_msb 4                        ;  msbs: dst=0 src0=0 src1=1 src2=0
	ds_bpermute_b32 v4, v2, v52 /*v308*/ offset:80
	s_set_vgpr_msb 1                        ;  msbs: dst=0 src0=1 src1=0 src2=0
	v_mul_f32_e32 v8, v70 /*v326*/, v21
	s_wait_dscnt 0x3
	s_set_vgpr_msb 64                       ;  msbs: dst=1 src0=0 src1=0 src2=0
	v_fmac_f32_e32 v72 /*v328*/, v3, v9
	s_set_vgpr_msb 1                        ;  msbs: dst=0 src0=1 src1=0 src2=0
	v_mul_f32_e32 v3, v67 /*v323*/, v20
	s_set_vgpr_msb 64                       ;  msbs: dst=1 src0=0 src1=0 src2=0
	s_delay_alu instid0(VALU_DEP_2)
	v_fmac_f32_e32 v72 /*v328*/, v7, v10
	s_set_vgpr_msb 4                        ;  msbs: dst=0 src0=0 src1=1 src2=0
	ds_bpermute_b32 v7, v2, v52 /*v308*/ offset:92
	ds_bpermute_b32 v10, v2, v52 /*v308*/ offset:96
	s_wait_dscnt 0x3
	s_set_vgpr_msb 64                       ;  msbs: dst=1 src0=0 src1=0 src2=0
	v_fmac_f32_e32 v72 /*v328*/, v3, v6
	s_set_vgpr_msb 1                        ;  msbs: dst=0 src0=1 src1=0 src2=0
	v_mul_f32_e32 v3, v69 /*v325*/, v22
	s_set_vgpr_msb 4                        ;  msbs: dst=0 src0=0 src1=1 src2=0
	ds_bpermute_b32 v6, v2, v52 /*v308*/ offset:88
	s_set_vgpr_msb 64                       ;  msbs: dst=1 src0=0 src1=0 src2=0
	v_fmac_f32_e32 v72 /*v328*/, v8, v11
	s_set_vgpr_msb 1                        ;  msbs: dst=0 src0=1 src1=0 src2=0
	v_pk_mul_f32 v[8:9], v[38:39] /*v[294:295]*/, v[24:25]
	s_set_vgpr_msb 4                        ;  msbs: dst=0 src0=0 src1=1 src2=0
	ds_bpermute_b32 v11, v2, v52 /*v308*/ offset:100
	s_set_vgpr_msb 64                       ;  msbs: dst=1 src0=0 src1=0 src2=0
	v_fmac_f32_e32 v72 /*v328*/, v3, v12
	s_wait_dscnt 0x4
	s_set_vgpr_msb 0                        ;  msbs: dst=0 src0=0 src1=0 src2=0
	v_pk_mul_f32 v[4:5], v[8:9], v[4:5]
	s_set_vgpr_msb 1                        ;  msbs: dst=0 src0=1 src1=0 src2=0
	v_mul_f32_e32 v14, v71 /*v327*/, v23
	v_pk_mul_f32 v[8:9], v[40:41] /*v[296:297]*/, v[26:27]
	s_set_vgpr_msb 4                        ;  msbs: dst=0 src0=0 src1=1 src2=0
	ds_bpermute_b32 v12, v2, v52 /*v308*/ offset:104
	s_set_vgpr_msb 64                       ;  msbs: dst=1 src0=0 src1=0 src2=0
	v_fmac_f32_e32 v72 /*v328*/, v14, v13
	s_set_vgpr_msb 4                        ;  msbs: dst=0 src0=0 src1=1 src2=0
	ds_bpermute_b32 v13, v2, v52 /*v308*/ offset:108
	s_set_vgpr_msb 1                        ;  msbs: dst=0 src0=1 src1=0 src2=0
	v_add_f32_e32 v3, v72 /*v328*/, v4
	s_wait_dscnt 0x3
	s_set_vgpr_msb 0                        ;  msbs: dst=0 src0=0 src1=0 src2=0
	v_pk_mul_f32 v[6:7], v[8:9], v[6:7]
	s_set_vgpr_msb 4                        ;  msbs: dst=0 src0=0 src1=1 src2=0
	ds_bpermute_b32 v8, v2, v52 /*v308*/ offset:112
	ds_bpermute_b32 v9, v2, v52 /*v308*/ offset:116
	s_set_vgpr_msb 0                        ;  msbs: dst=0 src0=0 src1=0 src2=0
	v_add_f32_e32 v3, v3, v5
	s_set_vgpr_msb 1                        ;  msbs: dst=0 src0=1 src1=0 src2=0
	v_pk_mul_f32 v[4:5], v[42:43] /*v[298:299]*/, v[28:29]
	s_set_vgpr_msb 0                        ;  msbs: dst=0 src0=0 src1=0 src2=0
	s_delay_alu instid0(VALU_DEP_2) | instskip(SKIP_1) | instid1(VALU_DEP_2)
	v_add_f32_e32 v3, v3, v6
	s_wait_dscnt 0x4
	v_pk_mul_f32 v[4:5], v[4:5], v[10:11]
	s_set_vgpr_msb 1                        ;  msbs: dst=0 src0=1 src1=0 src2=0
	v_pk_mul_f32 v[10:11], v[46:47] /*v[302:303]*/, v[32:33]
	s_set_vgpr_msb 0                        ;  msbs: dst=0 src0=0 src1=0 src2=0
	v_add_f32_e32 v3, v3, v7
	s_set_vgpr_msb 1                        ;  msbs: dst=0 src0=1 src1=0 src2=0
	v_pk_mul_f32 v[6:7], v[44:45] /*v[300:301]*/, v[30:31]
	s_set_vgpr_msb 0                        ;  msbs: dst=0 src0=0 src1=0 src2=0
	s_delay_alu instid0(VALU_DEP_2)
	v_add_f32_e32 v3, v3, v4
	s_set_vgpr_msb 4                        ;  msbs: dst=0 src0=0 src1=1 src2=0
	ds_bpermute_b32 v4, v2, v52 /*v308*/ offset:120
	s_wait_dscnt 0x3
	s_set_vgpr_msb 0                        ;  msbs: dst=0 src0=0 src1=0 src2=0
	v_pk_mul_f32 v[6:7], v[6:7], v[12:13]
	s_wait_dscnt 0x1
	v_pk_mul_f32 v[8:9], v[10:11], v[8:9]
	v_add_f32_e32 v3, v3, v5
	s_set_vgpr_msb 4                        ;  msbs: dst=0 src0=0 src1=1 src2=0
	ds_bpermute_b32 v5, v2, v52 /*v308*/ offset:124
	s_set_vgpr_msb 0                        ;  msbs: dst=0 src0=0 src1=0 src2=0
	v_add_f32_e32 v3, v3, v6
	s_delay_alu instid0(VALU_DEP_1) | instskip(SKIP_3) | instid1(VALU_DEP_2)
	v_add_f32_e32 v3, v3, v7
	s_set_vgpr_msb 1                        ;  msbs: dst=0 src0=1 src1=0 src2=0
	v_pk_mul_f32 v[6:7], v[48:49] /*v[304:305]*/, v[34:35]
	s_set_vgpr_msb 0                        ;  msbs: dst=0 src0=0 src1=0 src2=0
	v_add_f32_e32 v3, v3, v8
	s_delay_alu instid0(VALU_DEP_1) | instskip(SKIP_2) | instid1(VALU_DEP_1)
	v_add_f32_e32 v3, v3, v9
	s_wait_dscnt 0x0
	v_pk_mul_f32 v[4:5], v[6:7], v[4:5]
	v_add_f32_e32 v3, v3, v4
	s_set_vgpr_msb 64                       ;  msbs: dst=1 src0=0 src1=0 src2=0
	s_delay_alu instid0(VALU_DEP_1)
	v_add_f32_e32 v38 /*v294*/, v3, v5
.LBB166_213:                            ;   in Loop: Header=BB166_145 Depth=1
	s_and_b32 vcc_lo, exec_lo, s13
	s_set_vgpr_msb 0                        ;  msbs: dst=0 src0=0 src1=0 src2=0
	s_cbranch_vccz .LBB166_217
; %bb.214:                              ;   in Loop: Header=BB166_145 Depth=1
	s_load_b32 s13, s[22:23], 0x0
	v_mov_b32_e32 v5, v2
	s_wait_kmcnt 0x0
	s_cmp_lt_u32 s12, s13
	s_cselect_b32 s18, 12, 18
	s_delay_alu instid0(SALU_CYCLE_1)
	s_add_nc_u64 s[26:27], s[22:23], s[18:19]
	s_load_u16 s13, s[26:27], 0x0
	s_wait_kmcnt 0x0
	s_set_vgpr_msb 16                       ;  msbs: dst=0 src0=0 src1=0 src2=1
	v_mad_u32_u24 v3, v1, s13, v50 /*v306*/
	s_mov_b32 s13, exec_lo
	s_delay_alu instid0(VALU_DEP_1) | instskip(SKIP_1) | instid1(VALU_DEP_1)
	v_dual_mov_b32 v3, 0 :: v_dual_bitop2_b32 v4, 31, v3 bitop3:0x40
	s_set_vgpr_msb 1                        ;  msbs: dst=0 src0=1 src1=0 src2=0
	v_add_nc_u64_e32 v[4:5], v[36:37] /*v[292:293]*/, v[4:5]
	s_delay_alu instid0(VALU_DEP_1)
	v_cmpx_gt_i64_e64 s[4:5], v[4:5]
	s_set_vgpr_msb 0                        ;  msbs: dst=0 src0=0 src1=0 src2=0
	s_cbranch_execz .LBB166_216
; %bb.215:                              ;   in Loop: Header=BB166_145 Depth=1
	v_lshl_add_u64 v[4:5], v[4:5], 2, s[14:15]
	global_load_b32 v3, v[4:5], off
.LBB166_216:                            ;   in Loop: Header=BB166_145 Depth=1
	s_wait_xcnt 0x0
	s_or_b32 exec_lo, exec_lo, s13
	v_add_nc_u64_e32 v[4:5], v[164:165], v[162:163]
	global_load_u16 v4, v[4:5], off
	s_wait_loadcnt 0x0
	v_cvt_f32_f16_e32 v6, v4
	v_add_nc_u64_e32 v[4:5], v[166:167], v[162:163]
	global_load_u16 v4, v[4:5], off
	s_wait_loadcnt 0x0
	v_cvt_f32_f16_e32 v7, v4
	;; [unrolled: 4-line block ×30, first 2 shown]
	v_add_nc_u64_e32 v[4:5], v[92:93], v[162:163]
	global_load_u16 v4, v[4:5], off
	s_wait_loadcnt 0x0
	s_set_vgpr_msb 64                       ;  msbs: dst=1 src0=0 src1=0 src2=0
	v_cvt_f32_f16_e64 v36 /*v292*/, v4
	s_set_vgpr_msb 0                        ;  msbs: dst=0 src0=0 src1=0 src2=0
	v_add_nc_u64_e32 v[4:5], v[94:95], v[162:163]
	global_load_u16 v4, v[4:5], off
	s_wait_loadcnt 0x0
	s_set_vgpr_msb 64                       ;  msbs: dst=1 src0=0 src1=0 src2=0
	v_cvt_f32_f16_e64 v37 /*v293*/, v4
	s_set_vgpr_msb 0                        ;  msbs: dst=0 src0=0 src1=0 src2=0
	;; [unrolled: 6-line block ×10, first 2 shown]
	v_add_nc_u64_e32 v[4:5], v[112:113], v[162:163]
	s_set_vgpr_msb 64                       ;  msbs: dst=1 src0=0 src1=0 src2=0
	global_load_u16 v46 /*v302*/, v[4:5], off
	s_wait_xcnt 0x0
	s_set_vgpr_msb 0                        ;  msbs: dst=0 src0=0 src1=0 src2=0
	v_add_nc_u64_e32 v[4:5], v[114:115], v[162:163]
	s_set_vgpr_msb 64                       ;  msbs: dst=1 src0=0 src1=0 src2=0
	global_load_u16 v47 /*v303*/, v[4:5], off
	s_wait_xcnt 0x0
	s_set_vgpr_msb 0                        ;  msbs: dst=0 src0=0 src1=0 src2=0
	;; [unrolled: 5-line block ×24, first 2 shown]
	ds_bpermute_b32 v4, v2, v3
	v_mul_f32_e32 v5, v6, v7
	s_wait_dscnt 0x0
	s_set_vgpr_msb 64                       ;  msbs: dst=1 src0=0 src1=0 src2=0
	s_delay_alu instid0(VALU_DEP_1)
	v_fmac_f32_e32 v51 /*v307*/, v5, v4
	s_set_vgpr_msb 0                        ;  msbs: dst=0 src0=0 src1=0 src2=0
	ds_bpermute_b32 v4, v2, v3 offset:4
	v_mul_f32_e32 v5, v8, v9
	s_wait_dscnt 0x0
	s_set_vgpr_msb 64                       ;  msbs: dst=1 src0=0 src1=0 src2=0
	s_delay_alu instid0(VALU_DEP_1)
	v_fmac_f32_e32 v51 /*v307*/, v5, v4
	s_set_vgpr_msb 0                        ;  msbs: dst=0 src0=0 src1=0 src2=0
	ds_bpermute_b32 v4, v2, v3 offset:8
	;; [unrolled: 7-line block ×6, first 2 shown]
	v_mul_f32_e32 v5, v18, v19
	s_wait_loadcnt 0x17
	s_set_vgpr_msb 1                        ;  msbs: dst=0 src0=1 src1=0 src2=0
	v_cvt_f32_f16_e64 v6, v46 /*v302*/
	s_wait_loadcnt 0x16
	v_cvt_f32_f16_e64 v8, v47 /*v303*/
	s_wait_dscnt 0x0
	s_set_vgpr_msb 64                       ;  msbs: dst=1 src0=0 src1=0 src2=0
	v_fmac_f32_e32 v51 /*v307*/, v5, v4
	s_set_vgpr_msb 0                        ;  msbs: dst=0 src0=0 src1=0 src2=0
	ds_bpermute_b32 v4, v2, v3 offset:28
	v_mul_f32_e32 v5, v20, v21
	s_wait_loadcnt 0x15
	s_set_vgpr_msb 1                        ;  msbs: dst=0 src0=1 src1=0 src2=0
	v_cvt_f32_f16_e64 v7, v48 /*v304*/
	s_wait_loadcnt 0x14
	v_cvt_f32_f16_e64 v9, v49 /*v305*/
	s_set_vgpr_msb 0                        ;  msbs: dst=0 src0=0 src1=0 src2=0
	s_delay_alu instid0(VALU_DEP_1)
	v_pk_mul_f32 v[6:7], v[6:7], v[8:9]
	s_wait_dscnt 0x0
	s_set_vgpr_msb 64                       ;  msbs: dst=1 src0=0 src1=0 src2=0
	v_fmac_f32_e32 v51 /*v307*/, v5, v4
	s_set_vgpr_msb 0                        ;  msbs: dst=0 src0=0 src1=0 src2=0
	ds_bpermute_b32 v4, v2, v3 offset:32
	v_mul_f32_e32 v5, v22, v23
	s_wait_loadcnt 0x12
	s_set_vgpr_msb 1                        ;  msbs: dst=0 src0=1 src1=0 src2=0
	v_cvt_f32_f16_e64 v8, v53 /*v309*/
	s_wait_dscnt 0x0
	s_set_vgpr_msb 64                       ;  msbs: dst=1 src0=0 src1=0 src2=0
	v_fmac_f32_e32 v51 /*v307*/, v5, v4
	s_set_vgpr_msb 0                        ;  msbs: dst=0 src0=0 src1=0 src2=0
	ds_bpermute_b32 v4, v2, v3 offset:36
	v_mul_f32_e32 v5, v24, v25
	s_wait_loadcnt 0x10
	s_set_vgpr_msb 1                        ;  msbs: dst=0 src0=1 src1=0 src2=0
	v_cvt_f32_f16_e64 v9, v55 /*v311*/
	s_wait_dscnt 0x0
	s_set_vgpr_msb 64                       ;  msbs: dst=1 src0=0 src1=0 src2=0
	v_fmac_f32_e32 v51 /*v307*/, v5, v4
	s_set_vgpr_msb 0                        ;  msbs: dst=0 src0=0 src1=0 src2=0
	ds_bpermute_b32 v4, v2, v3 offset:40
	v_mul_f32_e32 v5, v26, v27
	s_wait_dscnt 0x0
	s_set_vgpr_msb 64                       ;  msbs: dst=1 src0=0 src1=0 src2=0
	s_delay_alu instid0(VALU_DEP_1)
	v_fmac_f32_e32 v51 /*v307*/, v5, v4
	s_set_vgpr_msb 0                        ;  msbs: dst=0 src0=0 src1=0 src2=0
	ds_bpermute_b32 v4, v2, v3 offset:44
	v_mul_f32_e32 v5, v28, v29
	s_wait_dscnt 0x0
	s_set_vgpr_msb 64                       ;  msbs: dst=1 src0=0 src1=0 src2=0
	s_delay_alu instid0(VALU_DEP_1)
	;; [unrolled: 7-line block ×5, first 2 shown]
	v_fmac_f32_e32 v51 /*v307*/, v5, v4
	s_set_vgpr_msb 0                        ;  msbs: dst=0 src0=0 src1=0 src2=0
	ds_bpermute_b32 v4, v2, v3 offset:60
	s_set_vgpr_msb 5                        ;  msbs: dst=0 src0=1 src1=1 src2=0
	v_mul_f32_e32 v5, v36 /*v292*/, v37 /*v293*/
	s_wait_dscnt 0x0
	s_set_vgpr_msb 64                       ;  msbs: dst=1 src0=0 src1=0 src2=0
	s_delay_alu instid0(VALU_DEP_1)
	v_fmac_f32_e32 v51 /*v307*/, v5, v4
	s_set_vgpr_msb 0                        ;  msbs: dst=0 src0=0 src1=0 src2=0
	ds_bpermute_b32 v4, v2, v3 offset:64
	s_set_vgpr_msb 5                        ;  msbs: dst=0 src0=1 src1=1 src2=0
	v_mul_f32_e32 v5, v38 /*v294*/, v39 /*v295*/
	s_wait_dscnt 0x0
	s_set_vgpr_msb 64                       ;  msbs: dst=1 src0=0 src1=0 src2=0
	s_delay_alu instid0(VALU_DEP_1)
	;; [unrolled: 8-line block ×5, first 2 shown]
	v_fmac_f32_e32 v51 /*v307*/, v5, v4
	s_set_vgpr_msb 0                        ;  msbs: dst=0 src0=0 src1=0 src2=0
	ds_bpermute_b32 v4, v2, v3 offset:80
	ds_bpermute_b32 v5, v2, v3 offset:84
	s_wait_dscnt 0x0
	v_pk_mul_f32 v[4:5], v[6:7], v[4:5]
	s_set_vgpr_msb 1                        ;  msbs: dst=0 src0=1 src1=0 src2=0
	v_cvt_f32_f16_e64 v7, v54 /*v310*/
	v_cvt_f32_f16_e64 v6, v52 /*v308*/
	s_delay_alu instid0(VALU_DEP_3) | instskip(SKIP_1) | instid1(VALU_DEP_2)
	v_add_f32_e32 v4, v51 /*v307*/, v4
	s_set_vgpr_msb 0                        ;  msbs: dst=0 src0=0 src1=0 src2=0
	v_pk_mul_f32 v[6:7], v[6:7], v[8:9]
	s_wait_loadcnt 0xc
	s_set_vgpr_msb 1                        ;  msbs: dst=0 src0=1 src1=0 src2=0
	v_cvt_f32_f16_e64 v9, v59 /*v315*/
	v_cvt_f32_f16_e64 v8, v57 /*v313*/
	s_set_vgpr_msb 0                        ;  msbs: dst=0 src0=0 src1=0 src2=0
	v_add_f32_e32 v10, v4, v5
	ds_bpermute_b32 v4, v2, v3 offset:88
	ds_bpermute_b32 v5, v2, v3 offset:92
	s_wait_dscnt 0x0
	v_pk_mul_f32 v[4:5], v[6:7], v[4:5]
	s_set_vgpr_msb 1                        ;  msbs: dst=0 src0=1 src1=0 src2=0
	v_cvt_f32_f16_e64 v7, v58 /*v314*/
	v_cvt_f32_f16_e64 v6, v56 /*v312*/
	s_set_vgpr_msb 0                        ;  msbs: dst=0 src0=0 src1=0 src2=0
	v_add_f32_e32 v4, v10, v4
	s_delay_alu instid0(VALU_DEP_2)
	v_pk_mul_f32 v[6:7], v[6:7], v[8:9]
	s_wait_loadcnt 0x8
	s_set_vgpr_msb 1                        ;  msbs: dst=0 src0=1 src1=0 src2=0
	v_cvt_f32_f16_e64 v9, v63 /*v319*/
	v_cvt_f32_f16_e64 v8, v61 /*v317*/
	s_set_vgpr_msb 0                        ;  msbs: dst=0 src0=0 src1=0 src2=0
	v_add_f32_e32 v10, v4, v5
	ds_bpermute_b32 v4, v2, v3 offset:96
	ds_bpermute_b32 v5, v2, v3 offset:100
	s_wait_dscnt 0x0
	v_pk_mul_f32 v[4:5], v[6:7], v[4:5]
	s_set_vgpr_msb 1                        ;  msbs: dst=0 src0=1 src1=0 src2=0
	v_cvt_f32_f16_e64 v7, v62 /*v318*/
	v_cvt_f32_f16_e64 v6, v60 /*v316*/
	s_set_vgpr_msb 0                        ;  msbs: dst=0 src0=0 src1=0 src2=0
	v_add_f32_e32 v4, v10, v4
	s_delay_alu instid0(VALU_DEP_2)
	;; [unrolled: 17-line block ×3, first 2 shown]
	v_pk_mul_f32 v[6:7], v[6:7], v[8:9]
	s_wait_loadcnt 0x0
	s_set_vgpr_msb 1                        ;  msbs: dst=0 src0=1 src1=0 src2=0
	v_cvt_f32_f16_e64 v9, v71 /*v327*/
	v_cvt_f32_f16_e64 v8, v69 /*v325*/
	s_set_vgpr_msb 0                        ;  msbs: dst=0 src0=0 src1=0 src2=0
	v_add_f32_e32 v10, v4, v5
	ds_bpermute_b32 v4, v2, v3 offset:112
	ds_bpermute_b32 v5, v2, v3 offset:116
	s_wait_dscnt 0x0
	v_pk_mul_f32 v[4:5], v[6:7], v[4:5]
	s_set_vgpr_msb 1                        ;  msbs: dst=0 src0=1 src1=0 src2=0
	v_cvt_f32_f16_e64 v7, v70 /*v326*/
	v_cvt_f32_f16_e64 v6, v68 /*v324*/
	s_set_vgpr_msb 0                        ;  msbs: dst=0 src0=0 src1=0 src2=0
	v_add_f32_e32 v4, v10, v4
	s_delay_alu instid0(VALU_DEP_2) | instskip(NEXT) | instid1(VALU_DEP_2)
	v_pk_mul_f32 v[6:7], v[6:7], v[8:9]
	v_add_f32_e32 v10, v4, v5
	ds_bpermute_b32 v4, v2, v3 offset:120
	ds_bpermute_b32 v5, v2, v3 offset:124
	s_wait_dscnt 0x0
	v_pk_mul_f32 v[4:5], v[6:7], v[4:5]
	s_delay_alu instid0(VALU_DEP_1) | instskip(SKIP_1) | instid1(VALU_DEP_1)
	v_add_f32_e32 v3, v10, v4
	s_set_vgpr_msb 64                       ;  msbs: dst=1 src0=0 src1=0 src2=0
	v_add_f32_e32 v38 /*v294*/, v3, v5
.LBB166_217:                            ;   in Loop: Header=BB166_145 Depth=1
	s_add_nc_u64 s[24:25], s[24:25], s[20:21]
	s_set_vgpr_msb 0                        ;  msbs: dst=0 src0=0 src1=0 src2=0
	v_add_nc_u64_e32 v[164:165], s[8:9], v[164:165]
	v_cmp_ge_i64_e64 s13, s[24:25], s[4:5]
	v_add_nc_u64_e32 v[166:167], s[8:9], v[166:167]
	v_add_nc_u64_e32 v[36:37], s[8:9], v[36:37]
	;; [unrolled: 1-line block ×108, first 2 shown]
	s_set_vgpr_msb 0x44                     ;  msbs: dst=1 src0=0 src1=1 src2=0
	v_add_nc_u64_e32 v[0:1] /*v[256:257]*/, s[8:9], v[0:1] /*v[256:257]*/
	v_add_nc_u64_e32 v[2:3] /*v[258:259]*/, s[8:9], v[2:3] /*v[258:259]*/
	;; [unrolled: 1-line block ×18, first 2 shown]
	s_and_b32 vcc_lo, exec_lo, s13
	s_add_nc_u64 s[10:11], s[10:11], s[20:21]
	s_set_vgpr_msb 0                        ;  msbs: dst=0 src0=0 src1=0 src2=0
	s_cbranch_vccnz .LBB166_219
; %bb.218:                              ;   in Loop: Header=BB166_145 Depth=1
	s_set_vgpr_msb 0x41                     ;  msbs: dst=1 src0=1 src1=0 src2=0
	v_mov_b32_e32 v51 /*v307*/, v38 /*v294*/
	s_set_vgpr_msb 0                        ;  msbs: dst=0 src0=0 src1=0 src2=0
	s_branch .LBB166_145
.LBB166_219:
	s_mov_b32 s13, 0
	s_delay_alu instid0(SALU_CYCLE_1)
	s_lshl_b64 s[4:5], s[12:13], 6
	s_wait_kmcnt 0x0
	s_cmp_lg_u64 s[2:3], 0
	v_and_or_b32 v2, 0x3ff, v0, s4
	v_mov_b32_e32 v3, s5
	s_cselect_b32 s4, -1, 0
	s_delay_alu instid0(VALU_DEP_1) | instskip(SKIP_1) | instid1(SALU_CYCLE_1)
	v_cmp_gt_i64_e32 vcc_lo, s[6:7], v[2:3]
	s_and_b32 s4, vcc_lo, s4
	s_and_saveexec_b32 s5, s4
	s_cbranch_execz .LBB166_221
; %bb.220:
	s_load_u16 s0, s[0:1], 0x4e
	v_bfe_u32 v0, v0, 10, 10
	v_mov_b32_e32 v1, 0
	s_set_vgpr_msb 1                        ;  msbs: dst=0 src0=1 src1=0 src2=0
	v_cvt_f16_f32_e64 v4, v38 /*v294*/
	s_wait_kmcnt 0x0
	s_delay_alu instid0(VALU_DEP_2) | instskip(NEXT) | instid1(VALU_DEP_1)
	v_mad_nc_u64_u32 v[0:1], s0, s30, v[0:1]
	v_mul_u64_e32 v[0:1], s[6:7], v[0:1]
	s_set_vgpr_msb 0                        ;  msbs: dst=0 src0=0 src1=0 src2=0
	s_delay_alu instid0(VALU_DEP_1) | instskip(NEXT) | instid1(VALU_DEP_1)
	v_lshl_add_u64 v[0:1], v[0:1], 1, s[2:3]
	v_lshl_add_u64 v[0:1], v[2:3], 1, v[0:1]
	global_store_b16 v[0:1], v4, off
.LBB166_221:
	s_sendmsg sendmsg(MSG_DEALLOC_VGPRS)
	s_endpgm
	.section	.rodata,"a",@progbits
	.p2align	6, 0x0
	.amdhsa_kernel _ZN2at6native12_GLOBAL__N_135GammaBetaBackwardCUDAKernelTemplateIN3c104HalfEfLj64ELj1ELj32ELb1ELb0ELb1EEEvllPKT_S7_PKT0_SA_PS5_SB_
		.amdhsa_group_segment_fixed_size 0
		.amdhsa_private_segment_fixed_size 0
		.amdhsa_kernarg_size 320
		.amdhsa_user_sgpr_count 2
		.amdhsa_user_sgpr_dispatch_ptr 0
		.amdhsa_user_sgpr_queue_ptr 0
		.amdhsa_user_sgpr_kernarg_segment_ptr 1
		.amdhsa_user_sgpr_dispatch_id 0
		.amdhsa_user_sgpr_kernarg_preload_length 0
		.amdhsa_user_sgpr_kernarg_preload_offset 0
		.amdhsa_user_sgpr_private_segment_size 0
		.amdhsa_wavefront_size32 1
		.amdhsa_uses_dynamic_stack 0
		.amdhsa_enable_private_segment 0
		.amdhsa_system_sgpr_workgroup_id_x 1
		.amdhsa_system_sgpr_workgroup_id_y 1
		.amdhsa_system_sgpr_workgroup_id_z 0
		.amdhsa_system_sgpr_workgroup_info 0
		.amdhsa_system_vgpr_workitem_id 1
		.amdhsa_next_free_vgpr 332
		.amdhsa_next_free_sgpr 36
		.amdhsa_named_barrier_count 0
		.amdhsa_reserve_vcc 1
		.amdhsa_float_round_mode_32 0
		.amdhsa_float_round_mode_16_64 0
		.amdhsa_float_denorm_mode_32 3
		.amdhsa_float_denorm_mode_16_64 3
		.amdhsa_fp16_overflow 0
		.amdhsa_memory_ordered 1
		.amdhsa_forward_progress 1
		.amdhsa_inst_pref_size 156
		.amdhsa_round_robin_scheduling 0
		.amdhsa_exception_fp_ieee_invalid_op 0
		.amdhsa_exception_fp_denorm_src 0
		.amdhsa_exception_fp_ieee_div_zero 0
		.amdhsa_exception_fp_ieee_overflow 0
		.amdhsa_exception_fp_ieee_underflow 0
		.amdhsa_exception_fp_ieee_inexact 0
		.amdhsa_exception_int_div_zero 0
	.end_amdhsa_kernel
	.section	.text._ZN2at6native12_GLOBAL__N_135GammaBetaBackwardCUDAKernelTemplateIN3c104HalfEfLj64ELj1ELj32ELb1ELb0ELb1EEEvllPKT_S7_PKT0_SA_PS5_SB_,"axG",@progbits,_ZN2at6native12_GLOBAL__N_135GammaBetaBackwardCUDAKernelTemplateIN3c104HalfEfLj64ELj1ELj32ELb1ELb0ELb1EEEvllPKT_S7_PKT0_SA_PS5_SB_,comdat
.Lfunc_end166:
	.size	_ZN2at6native12_GLOBAL__N_135GammaBetaBackwardCUDAKernelTemplateIN3c104HalfEfLj64ELj1ELj32ELb1ELb0ELb1EEEvllPKT_S7_PKT0_SA_PS5_SB_, .Lfunc_end166-_ZN2at6native12_GLOBAL__N_135GammaBetaBackwardCUDAKernelTemplateIN3c104HalfEfLj64ELj1ELj32ELb1ELb0ELb1EEEvllPKT_S7_PKT0_SA_PS5_SB_
                                        ; -- End function
	.set _ZN2at6native12_GLOBAL__N_135GammaBetaBackwardCUDAKernelTemplateIN3c104HalfEfLj64ELj1ELj32ELb1ELb0ELb1EEEvllPKT_S7_PKT0_SA_PS5_SB_.num_vgpr, 332
	.set _ZN2at6native12_GLOBAL__N_135GammaBetaBackwardCUDAKernelTemplateIN3c104HalfEfLj64ELj1ELj32ELb1ELb0ELb1EEEvllPKT_S7_PKT0_SA_PS5_SB_.num_agpr, 0
	.set _ZN2at6native12_GLOBAL__N_135GammaBetaBackwardCUDAKernelTemplateIN3c104HalfEfLj64ELj1ELj32ELb1ELb0ELb1EEEvllPKT_S7_PKT0_SA_PS5_SB_.numbered_sgpr, 36
	.set _ZN2at6native12_GLOBAL__N_135GammaBetaBackwardCUDAKernelTemplateIN3c104HalfEfLj64ELj1ELj32ELb1ELb0ELb1EEEvllPKT_S7_PKT0_SA_PS5_SB_.num_named_barrier, 0
	.set _ZN2at6native12_GLOBAL__N_135GammaBetaBackwardCUDAKernelTemplateIN3c104HalfEfLj64ELj1ELj32ELb1ELb0ELb1EEEvllPKT_S7_PKT0_SA_PS5_SB_.private_seg_size, 0
	.set _ZN2at6native12_GLOBAL__N_135GammaBetaBackwardCUDAKernelTemplateIN3c104HalfEfLj64ELj1ELj32ELb1ELb0ELb1EEEvllPKT_S7_PKT0_SA_PS5_SB_.uses_vcc, 1
	.set _ZN2at6native12_GLOBAL__N_135GammaBetaBackwardCUDAKernelTemplateIN3c104HalfEfLj64ELj1ELj32ELb1ELb0ELb1EEEvllPKT_S7_PKT0_SA_PS5_SB_.uses_flat_scratch, 0
	.set _ZN2at6native12_GLOBAL__N_135GammaBetaBackwardCUDAKernelTemplateIN3c104HalfEfLj64ELj1ELj32ELb1ELb0ELb1EEEvllPKT_S7_PKT0_SA_PS5_SB_.has_dyn_sized_stack, 0
	.set _ZN2at6native12_GLOBAL__N_135GammaBetaBackwardCUDAKernelTemplateIN3c104HalfEfLj64ELj1ELj32ELb1ELb0ELb1EEEvllPKT_S7_PKT0_SA_PS5_SB_.has_recursion, 0
	.set _ZN2at6native12_GLOBAL__N_135GammaBetaBackwardCUDAKernelTemplateIN3c104HalfEfLj64ELj1ELj32ELb1ELb0ELb1EEEvllPKT_S7_PKT0_SA_PS5_SB_.has_indirect_call, 0
	.section	.AMDGPU.csdata,"",@progbits
; Kernel info:
; codeLenInByte = 19920
; TotalNumSgprs: 38
; NumVgprs: 332
; ScratchSize: 0
; MemoryBound: 0
; FloatMode: 240
; IeeeMode: 1
; LDSByteSize: 0 bytes/workgroup (compile time only)
; SGPRBlocks: 0
; VGPRBlocks: 20
; NumSGPRsForWavesPerEU: 38
; NumVGPRsForWavesPerEU: 332
; NamedBarCnt: 0
; Occupancy: 3
; WaveLimiterHint : 0
; COMPUTE_PGM_RSRC2:SCRATCH_EN: 0
; COMPUTE_PGM_RSRC2:USER_SGPR: 2
; COMPUTE_PGM_RSRC2:TRAP_HANDLER: 0
; COMPUTE_PGM_RSRC2:TGID_X_EN: 1
; COMPUTE_PGM_RSRC2:TGID_Y_EN: 1
; COMPUTE_PGM_RSRC2:TGID_Z_EN: 0
; COMPUTE_PGM_RSRC2:TIDIG_COMP_CNT: 1
	.section	.text._ZN2at6native12_GLOBAL__N_135GammaBetaBackwardCUDAKernelTemplateIN3c104HalfEfLj64ELj1ELj8ELb1ELb1ELb1EEEvllPKT_S7_PKT0_SA_PS5_SB_,"axG",@progbits,_ZN2at6native12_GLOBAL__N_135GammaBetaBackwardCUDAKernelTemplateIN3c104HalfEfLj64ELj1ELj8ELb1ELb1ELb1EEEvllPKT_S7_PKT0_SA_PS5_SB_,comdat
	.globl	_ZN2at6native12_GLOBAL__N_135GammaBetaBackwardCUDAKernelTemplateIN3c104HalfEfLj64ELj1ELj8ELb1ELb1ELb1EEEvllPKT_S7_PKT0_SA_PS5_SB_ ; -- Begin function _ZN2at6native12_GLOBAL__N_135GammaBetaBackwardCUDAKernelTemplateIN3c104HalfEfLj64ELj1ELj8ELb1ELb1ELb1EEEvllPKT_S7_PKT0_SA_PS5_SB_
	.p2align	8
	.type	_ZN2at6native12_GLOBAL__N_135GammaBetaBackwardCUDAKernelTemplateIN3c104HalfEfLj64ELj1ELj8ELb1ELb1ELb1EEEvllPKT_S7_PKT0_SA_PS5_SB_,@function
_ZN2at6native12_GLOBAL__N_135GammaBetaBackwardCUDAKernelTemplateIN3c104HalfEfLj64ELj1ELj8ELb1ELb1ELb1EEEvllPKT_S7_PKT0_SA_PS5_SB_: ; @_ZN2at6native12_GLOBAL__N_135GammaBetaBackwardCUDAKernelTemplateIN3c104HalfEfLj64ELj1ELj8ELb1ELb1ELb1EEEvllPKT_S7_PKT0_SA_PS5_SB_
; %bb.0:
	s_load_b128 s[4:7], s[0:1], 0x0
	s_bfe_u32 s2, ttmp6, 0x40010
	s_bfe_u32 s3, ttmp6, 0x40004
	s_add_co_i32 s2, s2, 1
	s_getreg_b32 s22, hwreg(HW_REG_IB_STS2, 6, 4)
	s_mul_i32 s2, ttmp7, s2
	s_mov_b32 s13, 0
	s_add_co_i32 s3, s3, s2
	s_cmp_eq_u32 s22, 0
	v_mov_b32_e32 v1, 0
	s_cselect_b32 s23, ttmp7, s3
	v_bfe_u32 v2, v0, 10, 10
	s_lshl_b32 s12, s23, 3
	v_and_b32_e32 v10, 0x3ff, v0
	s_wait_kmcnt 0x0
	v_cmp_le_i64_e64 s2, s[4:5], s[12:13]
	s_and_b32 vcc_lo, exec_lo, s2
	s_cbranch_vccnz .LBB167_8
; %bb.1:
	v_dual_mov_b32 v1, 0 :: v_dual_lshlrev_b32 v0, 3, v2
	s_load_b32 s2, s[0:1], 0x4c
	s_bfe_u32 s15, ttmp6, 0x4000c
	s_clause 0x2
	s_load_b32 s3, s[0:1], 0x44
	s_load_b128 s[8:11], s[0:1], 0x10
	s_load_b64 s[16:17], s[0:1], 0x28
	s_add_co_i32 s15, s15, 1
	v_add_nc_u64_e32 v[4:5], s[12:13], v[0:1]
	s_and_b32 s14, ttmp6, 15
	s_mul_i32 s15, ttmp9, s15
	v_dual_mov_b32 v11, 12 :: v_dual_mov_b32 v7, v1
	s_add_co_i32 s14, s14, s15
	s_mov_b32 s15, s13
	s_delay_alu instid0(VALU_DEP_2)
	v_mul_u64_e32 v[8:9], s[6:7], v[4:5]
	v_dual_mov_b32 v0, 8 :: v_dual_mov_b32 v3, 4
	v_dual_mov_b32 v12, 16 :: v_dual_mov_b32 v13, 20
	;; [unrolled: 1-line block ×3, first 2 shown]
	s_wait_kmcnt 0x0
	s_and_b32 s2, s2, 0xffff
	s_cmp_eq_u32 s22, 0
	v_mad_u32_u24 v6, v2, s2, v10
	s_cselect_b32 s2, ttmp9, s14
	v_mov_b32_e32 v17, v1
	v_lshl_or_b32 v16, s2, 6, v10
	s_lshl_b32 s14, s3, 3
	v_and_b32_e32 v6, 31, v6
	s_mul_u64 s[18:19], s[6:7], s[14:15]
	s_lshl_b64 s[20:21], s[6:7], 1
	v_lshlrev_b64_e32 v[16:17], 1, v[16:17]
	s_lshl_b64 s[18:19], s[18:19], 1
	v_add_nc_u64_e32 v[4:5], v[4:5], v[6:7]
	v_cmp_gt_u32_e64 s2, 8, v6
	s_delay_alu instid0(VALU_DEP_2)
	v_lshl_add_u64 v[6:7], v[4:5], 2, s[16:17]
	s_lshl_b64 s[16:17], s[14:15], 2
	v_lshl_add_u64 v[8:9], v[8:9], 1, v[16:17]
	v_mov_b32_e32 v16, 0
	s_branch .LBB167_4
.LBB167_2:                              ;   in Loop: Header=BB167_4 Depth=1
	s_wait_xcnt 0x0
	s_or_b32 exec_lo, exec_lo, s24
.LBB167_3:                              ;   in Loop: Header=BB167_4 Depth=1
	s_delay_alu instid0(SALU_CYCLE_1)
	s_or_b32 exec_lo, exec_lo, s3
	v_add_nc_u64_e32 v[18:19], s[8:9], v[8:9]
	v_add_nc_u64_e32 v[20:21], s[10:11], v[8:9]
	s_add_nc_u64 s[12:13], s[12:13], s[14:15]
	v_add_nc_u64_e32 v[6:7], s[16:17], v[6:7]
	v_cmp_lt_i64_e64 s3, s[12:13], s[4:5]
	v_add_nc_u64_e32 v[4:5], s[14:15], v[4:5]
	v_add_nc_u64_e32 v[8:9], s[18:19], v[8:9]
	;; [unrolled: 1-line block ×4, first 2 shown]
	global_load_u16 v30, v[18:19], off
	global_load_u16 v31, v[20:21], off
	;; [unrolled: 1-line block ×4, first 2 shown]
	s_and_b32 vcc_lo, exec_lo, s3
	v_add_nc_u64_e32 v[26:27], s[20:21], v[22:23]
	v_add_nc_u64_e32 v[28:29], s[20:21], v[24:25]
	global_load_u16 v34, v[26:27], off
	global_load_u16 v35, v[28:29], off
	s_wait_xcnt 0x5
	v_add_nc_u64_e32 v[18:19], s[20:21], v[26:27]
	s_wait_xcnt 0x4
	v_add_nc_u64_e32 v[20:21], s[20:21], v[28:29]
	global_load_u16 v27, v[18:19], off
	global_load_u16 v28, v[20:21], off
	v_add_nc_u64_e32 v[22:23], s[20:21], v[18:19]
	v_add_nc_u64_e32 v[24:25], s[20:21], v[20:21]
	global_load_u16 v29, v[22:23], off
	global_load_u16 v36, v[24:25], off
	s_wait_xcnt 0x3
	v_add_nc_u64_e32 v[18:19], s[20:21], v[22:23]
	s_wait_xcnt 0x2
	v_add_nc_u64_e32 v[20:21], s[20:21], v[24:25]
	global_load_u16 v37, v[18:19], off
	global_load_u16 v38, v[20:21], off
	s_wait_xcnt 0x3
	v_add_nc_u64_e32 v[22:23], s[20:21], v[18:19]
	s_wait_xcnt 0x2
	v_add_nc_u64_e32 v[24:25], s[20:21], v[20:21]
	s_wait_xcnt 0x1
	s_delay_alu instid0(VALU_DEP_2) | instskip(SKIP_1) | instid1(VALU_DEP_2)
	v_add_nc_u64_e32 v[18:19], s[20:21], v[22:23]
	s_wait_xcnt 0x0
	v_add_nc_u64_e32 v[20:21], s[20:21], v[24:25]
	global_load_u16 v39, v[22:23], off
	global_load_u16 v40, v[24:25], off
	;; [unrolled: 1-line block ×4, first 2 shown]
	s_wait_loadcnt 0x10
	s_wait_xcnt 0x1
	ds_bpermute_b32 v18, v1, v17
	ds_bpermute_b32 v19, v3, v17
	;; [unrolled: 1-line block ×4, first 2 shown]
	s_wait_loadcnt 0xf
	s_wait_xcnt 0x0
	v_cvt_f32_f16_e32 v20, v30
	s_wait_loadcnt 0xe
	v_cvt_f32_f16_e32 v22, v31
	s_wait_loadcnt 0xd
	;; [unrolled: 2-line block ×3, first 2 shown]
	v_cvt_f32_f16_e32 v23, v33
	s_delay_alu instid0(VALU_DEP_1)
	v_pk_mul_f32 v[20:21], v[20:21], v[22:23]
	s_wait_loadcnt 0xb
	v_cvt_f32_f16_e32 v22, v34
	s_wait_loadcnt 0xa
	v_cvt_f32_f16_e32 v26, v35
	s_wait_dscnt 0x2
	v_pk_mul_f32 v[18:19], v[20:21], v[18:19]
	ds_bpermute_b32 v20, v12, v17
	ds_bpermute_b32 v21, v13, v17
	s_wait_loadcnt 0x9
	v_cvt_f32_f16_e32 v23, v27
	s_wait_loadcnt 0x8
	v_cvt_f32_f16_e32 v27, v28
	s_delay_alu instid0(VALU_DEP_1) | instskip(SKIP_1) | instid1(VALU_DEP_1)
	v_pk_mul_f32 v[22:23], v[22:23], v[26:27]
	s_wait_dscnt 0x2
	v_pk_mul_f32 v[22:23], v[22:23], v[24:25]
	v_add_f32_e32 v18, v16, v18
	ds_bpermute_b32 v16, v14, v17
	s_wait_loadcnt 0x6
	v_cvt_f32_f16_e32 v24, v36
	ds_bpermute_b32 v17, v15, v17
	v_add_f32_e32 v26, v18, v19
	v_cvt_f32_f16_e32 v18, v29
	s_wait_loadcnt 0x5
	v_cvt_f32_f16_e32 v19, v37
	s_wait_loadcnt 0x4
	v_cvt_f32_f16_e32 v25, v38
	v_add_f32_e32 v22, v26, v22
	s_delay_alu instid0(VALU_DEP_2) | instskip(NEXT) | instid1(VALU_DEP_2)
	v_pk_mul_f32 v[18:19], v[18:19], v[24:25]
	v_add_f32_e32 v26, v22, v23
	s_wait_loadcnt 0x3
	v_cvt_f32_f16_e32 v22, v39
	s_wait_loadcnt 0x2
	v_cvt_f32_f16_e32 v24, v40
	s_wait_dscnt 0x2
	v_pk_mul_f32 v[18:19], v[18:19], v[20:21]
	s_wait_loadcnt 0x1
	v_cvt_f32_f16_e32 v23, v41
	s_wait_loadcnt 0x0
	v_cvt_f32_f16_e32 v25, v42
	v_add_f32_e32 v18, v26, v18
	s_delay_alu instid0(VALU_DEP_2) | instskip(NEXT) | instid1(VALU_DEP_2)
	v_pk_mul_f32 v[20:21], v[22:23], v[24:25]
	v_add_f32_e32 v18, v18, v19
	s_wait_dscnt 0x0
	s_delay_alu instid0(VALU_DEP_2) | instskip(NEXT) | instid1(VALU_DEP_1)
	v_pk_mul_f32 v[16:17], v[20:21], v[16:17]
	v_add_f32_e32 v16, v18, v16
	s_delay_alu instid0(VALU_DEP_1)
	v_add_f32_e32 v16, v16, v17
	s_cbranch_vccz .LBB167_7
.LBB167_4:                              ; =>This Inner Loop Header: Depth=1
	v_mov_b32_e32 v17, 0
	s_and_saveexec_b32 s3, s2
	s_cbranch_execz .LBB167_3
; %bb.5:                                ;   in Loop: Header=BB167_4 Depth=1
	v_mov_b32_e32 v17, 0
	s_mov_b32 s24, exec_lo
	v_cmpx_gt_i64_e64 s[4:5], v[4:5]
	s_cbranch_execz .LBB167_2
; %bb.6:                                ;   in Loop: Header=BB167_4 Depth=1
	global_load_b32 v17, v[6:7], off
	s_branch .LBB167_2
.LBB167_7:
	s_delay_alu instid0(VALU_DEP_1)
	v_cvt_f16_f32_e32 v1, v16
.LBB167_8:
	s_load_b64 s[2:3], s[0:1], 0x30
	s_wait_kmcnt 0x0
	s_cmp_eq_u64 s[2:3], 0
	s_cbranch_scc1 .LBB167_10
; %bb.9:
	s_load_u16 s0, s[0:1], 0x4e
	v_mov_b32_e32 v3, 0
	s_and_b32 s4, ttmp6, 15
	s_wait_xcnt 0x0
	s_mov_b32 s1, 0
	s_wait_kmcnt 0x0
	v_mad_nc_u64_u32 v[4:5], s0, s23, v[2:3]
	s_bfe_u32 s0, ttmp6, 0x4000c
	v_lshlrev_b32_e32 v2, 1, v10
	s_add_co_i32 s0, s0, 1
	s_delay_alu instid0(SALU_CYCLE_1) | instskip(NEXT) | instid1(SALU_CYCLE_1)
	s_mul_i32 s0, ttmp9, s0
	s_add_co_i32 s4, s4, s0
	s_cmp_eq_u32 s22, 0
	s_cselect_b32 s0, ttmp9, s4
	s_delay_alu instid0(VALU_DEP_2) | instskip(SKIP_1) | instid1(VALU_DEP_1)
	v_mul_u64_e32 v[4:5], s[6:7], v[4:5]
	s_lshl_b64 s[0:1], s[0:1], 7
	v_lshl_add_u64 v[4:5], v[4:5], 1, s[2:3]
	s_delay_alu instid0(VALU_DEP_1) | instskip(NEXT) | instid1(VALU_DEP_1)
	v_add_nc_u64_e32 v[4:5], s[0:1], v[4:5]
	v_add_nc_u64_e32 v[2:3], v[4:5], v[2:3]
	global_store_b16 v[2:3], v1, off
.LBB167_10:
	s_endpgm
	.section	.rodata,"a",@progbits
	.p2align	6, 0x0
	.amdhsa_kernel _ZN2at6native12_GLOBAL__N_135GammaBetaBackwardCUDAKernelTemplateIN3c104HalfEfLj64ELj1ELj8ELb1ELb1ELb1EEEvllPKT_S7_PKT0_SA_PS5_SB_
		.amdhsa_group_segment_fixed_size 0
		.amdhsa_private_segment_fixed_size 0
		.amdhsa_kernarg_size 320
		.amdhsa_user_sgpr_count 2
		.amdhsa_user_sgpr_dispatch_ptr 0
		.amdhsa_user_sgpr_queue_ptr 0
		.amdhsa_user_sgpr_kernarg_segment_ptr 1
		.amdhsa_user_sgpr_dispatch_id 0
		.amdhsa_user_sgpr_kernarg_preload_length 0
		.amdhsa_user_sgpr_kernarg_preload_offset 0
		.amdhsa_user_sgpr_private_segment_size 0
		.amdhsa_wavefront_size32 1
		.amdhsa_uses_dynamic_stack 0
		.amdhsa_enable_private_segment 0
		.amdhsa_system_sgpr_workgroup_id_x 1
		.amdhsa_system_sgpr_workgroup_id_y 1
		.amdhsa_system_sgpr_workgroup_id_z 0
		.amdhsa_system_sgpr_workgroup_info 0
		.amdhsa_system_vgpr_workitem_id 1
		.amdhsa_next_free_vgpr 43
		.amdhsa_next_free_sgpr 25
		.amdhsa_named_barrier_count 0
		.amdhsa_reserve_vcc 1
		.amdhsa_float_round_mode_32 0
		.amdhsa_float_round_mode_16_64 0
		.amdhsa_float_denorm_mode_32 3
		.amdhsa_float_denorm_mode_16_64 3
		.amdhsa_fp16_overflow 0
		.amdhsa_memory_ordered 1
		.amdhsa_forward_progress 1
		.amdhsa_inst_pref_size 10
		.amdhsa_round_robin_scheduling 0
		.amdhsa_exception_fp_ieee_invalid_op 0
		.amdhsa_exception_fp_denorm_src 0
		.amdhsa_exception_fp_ieee_div_zero 0
		.amdhsa_exception_fp_ieee_overflow 0
		.amdhsa_exception_fp_ieee_underflow 0
		.amdhsa_exception_fp_ieee_inexact 0
		.amdhsa_exception_int_div_zero 0
	.end_amdhsa_kernel
	.section	.text._ZN2at6native12_GLOBAL__N_135GammaBetaBackwardCUDAKernelTemplateIN3c104HalfEfLj64ELj1ELj8ELb1ELb1ELb1EEEvllPKT_S7_PKT0_SA_PS5_SB_,"axG",@progbits,_ZN2at6native12_GLOBAL__N_135GammaBetaBackwardCUDAKernelTemplateIN3c104HalfEfLj64ELj1ELj8ELb1ELb1ELb1EEEvllPKT_S7_PKT0_SA_PS5_SB_,comdat
.Lfunc_end167:
	.size	_ZN2at6native12_GLOBAL__N_135GammaBetaBackwardCUDAKernelTemplateIN3c104HalfEfLj64ELj1ELj8ELb1ELb1ELb1EEEvllPKT_S7_PKT0_SA_PS5_SB_, .Lfunc_end167-_ZN2at6native12_GLOBAL__N_135GammaBetaBackwardCUDAKernelTemplateIN3c104HalfEfLj64ELj1ELj8ELb1ELb1ELb1EEEvllPKT_S7_PKT0_SA_PS5_SB_
                                        ; -- End function
	.set _ZN2at6native12_GLOBAL__N_135GammaBetaBackwardCUDAKernelTemplateIN3c104HalfEfLj64ELj1ELj8ELb1ELb1ELb1EEEvllPKT_S7_PKT0_SA_PS5_SB_.num_vgpr, 43
	.set _ZN2at6native12_GLOBAL__N_135GammaBetaBackwardCUDAKernelTemplateIN3c104HalfEfLj64ELj1ELj8ELb1ELb1ELb1EEEvllPKT_S7_PKT0_SA_PS5_SB_.num_agpr, 0
	.set _ZN2at6native12_GLOBAL__N_135GammaBetaBackwardCUDAKernelTemplateIN3c104HalfEfLj64ELj1ELj8ELb1ELb1ELb1EEEvllPKT_S7_PKT0_SA_PS5_SB_.numbered_sgpr, 25
	.set _ZN2at6native12_GLOBAL__N_135GammaBetaBackwardCUDAKernelTemplateIN3c104HalfEfLj64ELj1ELj8ELb1ELb1ELb1EEEvllPKT_S7_PKT0_SA_PS5_SB_.num_named_barrier, 0
	.set _ZN2at6native12_GLOBAL__N_135GammaBetaBackwardCUDAKernelTemplateIN3c104HalfEfLj64ELj1ELj8ELb1ELb1ELb1EEEvllPKT_S7_PKT0_SA_PS5_SB_.private_seg_size, 0
	.set _ZN2at6native12_GLOBAL__N_135GammaBetaBackwardCUDAKernelTemplateIN3c104HalfEfLj64ELj1ELj8ELb1ELb1ELb1EEEvllPKT_S7_PKT0_SA_PS5_SB_.uses_vcc, 1
	.set _ZN2at6native12_GLOBAL__N_135GammaBetaBackwardCUDAKernelTemplateIN3c104HalfEfLj64ELj1ELj8ELb1ELb1ELb1EEEvllPKT_S7_PKT0_SA_PS5_SB_.uses_flat_scratch, 0
	.set _ZN2at6native12_GLOBAL__N_135GammaBetaBackwardCUDAKernelTemplateIN3c104HalfEfLj64ELj1ELj8ELb1ELb1ELb1EEEvllPKT_S7_PKT0_SA_PS5_SB_.has_dyn_sized_stack, 0
	.set _ZN2at6native12_GLOBAL__N_135GammaBetaBackwardCUDAKernelTemplateIN3c104HalfEfLj64ELj1ELj8ELb1ELb1ELb1EEEvllPKT_S7_PKT0_SA_PS5_SB_.has_recursion, 0
	.set _ZN2at6native12_GLOBAL__N_135GammaBetaBackwardCUDAKernelTemplateIN3c104HalfEfLj64ELj1ELj8ELb1ELb1ELb1EEEvllPKT_S7_PKT0_SA_PS5_SB_.has_indirect_call, 0
	.section	.AMDGPU.csdata,"",@progbits
; Kernel info:
; codeLenInByte = 1196
; TotalNumSgprs: 27
; NumVgprs: 43
; ScratchSize: 0
; MemoryBound: 0
; FloatMode: 240
; IeeeMode: 1
; LDSByteSize: 0 bytes/workgroup (compile time only)
; SGPRBlocks: 0
; VGPRBlocks: 2
; NumSGPRsForWavesPerEU: 27
; NumVGPRsForWavesPerEU: 43
; NamedBarCnt: 0
; Occupancy: 16
; WaveLimiterHint : 0
; COMPUTE_PGM_RSRC2:SCRATCH_EN: 0
; COMPUTE_PGM_RSRC2:USER_SGPR: 2
; COMPUTE_PGM_RSRC2:TRAP_HANDLER: 0
; COMPUTE_PGM_RSRC2:TGID_X_EN: 1
; COMPUTE_PGM_RSRC2:TGID_Y_EN: 1
; COMPUTE_PGM_RSRC2:TGID_Z_EN: 0
; COMPUTE_PGM_RSRC2:TIDIG_COMP_CNT: 1
	.section	.text._ZN2at6native12_GLOBAL__N_135GammaBetaBackwardCUDAKernelTemplateIN3c104HalfEfLj64ELj1ELj8ELb1ELb0ELb1EEEvllPKT_S7_PKT0_SA_PS5_SB_,"axG",@progbits,_ZN2at6native12_GLOBAL__N_135GammaBetaBackwardCUDAKernelTemplateIN3c104HalfEfLj64ELj1ELj8ELb1ELb0ELb1EEEvllPKT_S7_PKT0_SA_PS5_SB_,comdat
	.globl	_ZN2at6native12_GLOBAL__N_135GammaBetaBackwardCUDAKernelTemplateIN3c104HalfEfLj64ELj1ELj8ELb1ELb0ELb1EEEvllPKT_S7_PKT0_SA_PS5_SB_ ; -- Begin function _ZN2at6native12_GLOBAL__N_135GammaBetaBackwardCUDAKernelTemplateIN3c104HalfEfLj64ELj1ELj8ELb1ELb0ELb1EEEvllPKT_S7_PKT0_SA_PS5_SB_
	.p2align	8
	.type	_ZN2at6native12_GLOBAL__N_135GammaBetaBackwardCUDAKernelTemplateIN3c104HalfEfLj64ELj1ELj8ELb1ELb0ELb1EEEvllPKT_S7_PKT0_SA_PS5_SB_,@function
_ZN2at6native12_GLOBAL__N_135GammaBetaBackwardCUDAKernelTemplateIN3c104HalfEfLj64ELj1ELj8ELb1ELb0ELb1EEEvllPKT_S7_PKT0_SA_PS5_SB_: ; @_ZN2at6native12_GLOBAL__N_135GammaBetaBackwardCUDAKernelTemplateIN3c104HalfEfLj64ELj1ELj8ELb1ELb0ELb1EEEvllPKT_S7_PKT0_SA_PS5_SB_
; %bb.0:
	s_load_b256 s[4:11], s[0:1], 0x0
	s_bfe_u32 s3, ttmp6, 0x4000c
	s_bfe_u32 s12, ttmp6, 0x40010
	s_add_co_i32 s3, s3, 1
	s_add_co_i32 s12, s12, 1
	s_and_b32 s2, ttmp6, 15
	s_bfe_u32 s13, ttmp6, 0x40004
	s_mul_i32 s3, ttmp9, s3
	s_mul_i32 s12, ttmp7, s12
	s_getreg_b32 s14, hwreg(HW_REG_IB_STS2, 6, 4)
	s_add_co_i32 s2, s2, s3
	s_add_co_i32 s13, s13, s12
	s_cmp_eq_u32 s14, 0
	s_mov_b32 s17, 0
	s_cselect_b32 s12, ttmp9, s2
	s_cselect_b32 s30, ttmp7, s13
	s_lshl_b32 s13, s12, 6
	s_load_b64 s[14:15], s[0:1], 0x28
	s_or_b32 s16, s13, 63
	s_wait_kmcnt 0x0
	v_cmp_le_i64_e64 s2, s[6:7], s[16:17]
	s_lshl_b32 s16, s30, 3
	s_delay_alu instid0(SALU_CYCLE_1) | instskip(SKIP_2) | instid1(VALU_DEP_1)
	v_cmp_gt_i64_e64 s31, s[4:5], s[16:17]
	s_and_b32 vcc_lo, exec_lo, s2
	v_cndmask_b32_e64 v1, 0, 1, s31
	v_cmp_ne_u32_e64 s2, 1, v1
	s_cbranch_vccz .LBB168_49
; %bb.1:
	v_mov_b32_e32 v88, 0
	s_and_b32 vcc_lo, exec_lo, s2
	s_cbranch_vccnz .LBB168_50
; %bb.2:
	v_bfe_u32 v1, v0, 10, 10
	v_mov_b32_e32 v2, 0
	v_and_b32_e32 v58, 0x3ff, v0
	s_load_b32 s3, s[0:1], 0x44
	s_mov_b32 s19, 0
	s_delay_alu instid0(VALU_DEP_2) | instskip(NEXT) | instid1(VALU_DEP_2)
	v_dual_mov_b32 v21, v2 :: v_dual_lshlrev_b32 v20, 3, v1
	v_dual_mov_b32 v19, v2 :: v_dual_add_nc_u32 v18, s13, v58
	v_mov_b32_e32 v59, 0
	s_mov_b32 s23, s19
	s_delay_alu instid0(VALU_DEP_3)
	v_add_nc_u64_e32 v[4:5], s[16:17], v[20:21]
	s_add_nc_u64 s[20:21], s[0:1], 64
	v_cmp_gt_i64_e64 s2, s[6:7], v[18:19]
	v_lshlrev_b64_e32 v[22:23], 1, v[18:19]
	s_mov_b64 s[26:27], 7
	s_mov_b64 s[28:29], s[16:17]
	v_mul_u64_e32 v[6:7], s[6:7], v[4:5]
	v_add_nc_u64_e32 v[8:9], 7, v[4:5]
	v_add_nc_u64_e32 v[10:11], 6, v[4:5]
	;; [unrolled: 1-line block ×6, first 2 shown]
	s_wait_kmcnt 0x0
	s_lshl_b32 s22, s3, 3
	v_mul_u64_e32 v[8:9], s[6:7], v[8:9]
	v_mul_u64_e32 v[10:11], s[6:7], v[10:11]
	;; [unrolled: 1-line block ×6, first 2 shown]
	s_mul_u64 s[24:25], s[6:7], s[22:23]
	s_delay_alu instid0(SALU_CYCLE_1) | instskip(SKIP_2) | instid1(VALU_DEP_2)
	s_lshl_b64 s[24:25], s[24:25], 1
	v_lshlrev_b64_e32 v[26:27], 1, v[6:7]
	v_add_nc_u64_e32 v[6:7], s[6:7], v[6:7]
	v_add_nc_u64_e32 v[24:25], s[8:9], v[26:27]
	v_lshlrev_b64_e32 v[8:9], 1, v[8:9]
	v_lshlrev_b64_e32 v[10:11], 1, v[10:11]
	;; [unrolled: 1-line block ×7, first 2 shown]
	v_add_nc_u64_e32 v[26:27], s[10:11], v[26:27]
	v_add_nc_u64_e32 v[28:29], s[8:9], v[8:9]
	;; [unrolled: 1-line block ×15, first 2 shown]
.LBB168_3:                              ; =>This Inner Loop Header: Depth=1
	s_add_nc_u64 s[34:35], s[16:17], s[26:27]
	v_add_nc_u64_e32 v[56:57], s[16:17], v[20:21]
	v_cmp_ge_i64_e64 s3, s[34:35], s[4:5]
                                        ; implicit-def: $vgpr88
                                        ; implicit-def: $vgpr12_vgpr13_vgpr14_vgpr15_vgpr16_vgpr17_vgpr18_vgpr19
                                        ; implicit-def: $vgpr4_vgpr5_vgpr6_vgpr7_vgpr8_vgpr9_vgpr10_vgpr11
                                        ; implicit-def: $vgpr3
	s_and_b32 vcc_lo, exec_lo, s3
	s_mov_b32 s3, -1
	s_cbranch_vccz .LBB168_25
; %bb.4:                                ;   in Loop: Header=BB168_3 Depth=1
	s_load_b32 s3, s[20:21], 0xc
	v_mov_b32_e32 v60, 0
	s_wait_kmcnt 0x0
	s_and_b32 s3, s3, 0xffff
	s_delay_alu instid0(SALU_CYCLE_1) | instskip(SKIP_1) | instid1(VALU_DEP_1)
	v_mad_u32_u24 v3, v1, s3, v58
	s_mov_b32 s3, exec_lo
	v_and_b32_e32 v4, 31, v3
	s_delay_alu instid0(VALU_DEP_1)
	v_cmpx_gt_u32_e32 8, v4
	s_cbranch_execz .LBB168_8
; %bb.5:                                ;   in Loop: Header=BB168_3 Depth=1
	v_dual_mov_b32 v5, v2 :: v_dual_mov_b32 v60, 0
	s_mov_b32 s18, exec_lo
	s_delay_alu instid0(VALU_DEP_1) | instskip(NEXT) | instid1(VALU_DEP_1)
	v_add_nc_u64_e32 v[4:5], v[56:57], v[4:5]
	v_cmpx_gt_i64_e64 s[4:5], v[4:5]
	s_cbranch_execz .LBB168_7
; %bb.6:                                ;   in Loop: Header=BB168_3 Depth=1
	v_lshl_add_u64 v[4:5], v[4:5], 2, s[14:15]
	global_load_b32 v60, v[4:5], off
.LBB168_7:                              ;   in Loop: Header=BB168_3 Depth=1
	s_wait_xcnt 0x0
	s_or_b32 exec_lo, exec_lo, s18
.LBB168_8:                              ;   in Loop: Header=BB168_3 Depth=1
	s_delay_alu instid0(SALU_CYCLE_1)
	s_or_b32 exec_lo, exec_lo, s3
	v_dual_mov_b32 v7, v2 :: v_dual_mov_b32 v8, v2
	v_dual_mov_b32 v9, v2 :: v_dual_mov_b32 v3, v2
	;; [unrolled: 1-line block ×3, first 2 shown]
	v_mov_b32_e32 v6, v2
	v_cmp_gt_i64_e32 vcc_lo, s[4:5], v[56:57]
	s_delay_alu instid0(VALU_DEP_4)
	v_mov_b64_e32 v[18:19], v[8:9]
	v_mov_b64_e32 v[12:13], v[2:3]
	;; [unrolled: 1-line block ×8, first 2 shown]
	s_and_b32 s18, s2, vcc_lo
	s_delay_alu instid0(SALU_CYCLE_1)
	s_and_saveexec_b32 s3, s18
	s_cbranch_execz .LBB168_10
; %bb.9:                                ;   in Loop: Header=BB168_3 Depth=1
	v_add_nc_u64_e32 v[4:5], v[24:25], v[22:23]
	v_add_nc_u64_e32 v[6:7], v[26:27], v[22:23]
	v_dual_mov_b32 v9, v2 :: v_dual_mov_b32 v10, v2
	v_dual_mov_b32 v11, v2 :: v_dual_mov_b32 v13, v2
	;; [unrolled: 1-line block ×3, first 2 shown]
	global_load_u16 v3, v[4:5], off
	global_load_u16 v12, v[6:7], off
	s_wait_xcnt 0x0
	v_dual_mov_b32 v5, v2 :: v_dual_mov_b32 v6, v2
	v_dual_mov_b32 v7, v2 :: v_dual_mov_b32 v8, v2
	;; [unrolled: 1-line block ×4, first 2 shown]
	s_wait_loadcnt 0x1
	v_cvt_f32_f16_e32 v4, v3
	s_wait_loadcnt 0x0
	v_cvt_f32_f16_e32 v12, v12
.LBB168_10:                             ;   in Loop: Header=BB168_3 Depth=1
	s_or_b32 exec_lo, exec_lo, s3
	v_add_nc_u64_e32 v[62:63], 1, v[56:57]
	s_delay_alu instid0(VALU_DEP_1) | instskip(SKIP_1) | instid1(SALU_CYCLE_1)
	v_cmp_gt_i64_e32 vcc_lo, s[4:5], v[62:63]
	s_and_b32 s18, s2, vcc_lo
	s_and_saveexec_b32 s3, s18
	s_cbranch_execz .LBB168_12
; %bb.11:                               ;   in Loop: Header=BB168_3 Depth=1
	v_add_nc_u64_e32 v[62:63], v[52:53], v[22:23]
	v_add_nc_u64_e32 v[64:65], v[54:55], v[22:23]
	global_load_u16 v3, v[62:63], off
	global_load_u16 v13, v[64:65], off
	s_wait_loadcnt 0x1
	v_cvt_f32_f16_e32 v5, v3
	s_wait_loadcnt 0x0
	v_cvt_f32_f16_e32 v13, v13
.LBB168_12:                             ;   in Loop: Header=BB168_3 Depth=1
	s_or_b32 exec_lo, exec_lo, s3
	v_add_nc_u64_e32 v[62:63], 2, v[56:57]
	s_delay_alu instid0(VALU_DEP_1) | instskip(SKIP_1) | instid1(SALU_CYCLE_1)
	v_cmp_gt_i64_e32 vcc_lo, s[4:5], v[62:63]
	s_and_b32 s18, s2, vcc_lo
	s_and_saveexec_b32 s3, s18
	s_cbranch_execz .LBB168_14
; %bb.13:                               ;   in Loop: Header=BB168_3 Depth=1
	v_add_nc_u64_e32 v[62:63], v[48:49], v[22:23]
	v_add_nc_u64_e32 v[64:65], v[50:51], v[22:23]
	global_load_u16 v3, v[62:63], off
	global_load_u16 v14, v[64:65], off
	s_wait_loadcnt 0x1
	v_cvt_f32_f16_e32 v6, v3
	s_wait_loadcnt 0x0
	v_cvt_f32_f16_e32 v14, v14
.LBB168_14:                             ;   in Loop: Header=BB168_3 Depth=1
	;; [unrolled: 17-line block ×7, first 2 shown]
	s_or_b32 exec_lo, exec_lo, s3
	s_wait_loadcnt 0x0
	ds_bpermute_b32 v3, v2, v60
	ds_bpermute_b32 v62, v2, v60 offset:4
	ds_bpermute_b32 v63, v2, v60 offset:8
	;; [unrolled: 1-line block ×4, first 2 shown]
	v_pk_mul_f32 v[6:7], v[14:15], v[6:7]
	v_dual_mul_f32 v14, v12, v4 :: v_dual_mul_f32 v4, v13, v5
	v_pk_mul_f32 v[8:9], v[16:17], v[8:9]
	ds_bpermute_b32 v12, v2, v60 offset:20
	v_dual_mov_b32 v5, v6 :: v_dual_mov_b32 v6, v7
	ds_bpermute_b32 v13, v2, v60 offset:24
	s_mov_b32 s3, 0
	s_wait_dscnt 0x6
	v_dual_mov_b32 v7, v8 :: v_dual_fma_f32 v3, v14, v3, v59
	s_wait_dscnt 0x4
	v_pk_mul_f32 v[4:5], v[4:5], v[62:63]
	s_wait_dscnt 0x2
	s_delay_alu instid0(VALU_DEP_2) | instskip(NEXT) | instid1(VALU_DEP_2)
	v_pk_mul_f32 v[6:7], v[6:7], v[64:65]
	v_add_f32_e32 v3, v3, v4
	s_delay_alu instid0(VALU_DEP_1) | instskip(SKIP_2) | instid1(VALU_DEP_1)
	v_dual_add_f32 v4, v3, v5 :: v_dual_mul_f32 v5, v18, v10
	ds_bpermute_b32 v3, v2, v60 offset:28
	v_dual_add_f32 v6, v4, v6 :: v_dual_mov_b32 v4, v9
	v_add_f32_e32 v6, v6, v7
	s_wait_dscnt 0x1
	s_delay_alu instid0(VALU_DEP_2) | instskip(NEXT) | instid1(VALU_DEP_1)
	v_pk_mul_f32 v[4:5], v[4:5], v[12:13]
	v_add_f32_e32 v4, v6, v4
	s_delay_alu instid0(VALU_DEP_1)
	v_add_f32_e32 v88, v4, v5
.LBB168_25:                             ;   in Loop: Header=BB168_3 Depth=1
	s_and_b32 vcc_lo, exec_lo, s3
	s_cbranch_vccz .LBB168_40
; %bb.26:                               ;   in Loop: Header=BB168_3 Depth=1
	s_load_b32 s3, s[20:21], 0x0
	v_mov_b32_e32 v60, 0
	s_wait_kmcnt 0x0
	s_cmp_lt_u32 s12, s3
	s_cselect_b32 s18, 12, 18
	s_delay_alu instid0(SALU_CYCLE_1)
	s_add_nc_u64 s[34:35], s[20:21], s[18:19]
	s_load_u16 s3, s[34:35], 0x0
	s_wait_dscnt 0x0
	s_wait_kmcnt 0x0
	v_mad_u32_u24 v3, v1, s3, v58
	s_mov_b32 s3, exec_lo
	s_delay_alu instid0(VALU_DEP_1) | instskip(NEXT) | instid1(VALU_DEP_1)
	v_and_b32_e32 v4, 31, v3
	v_cmpx_gt_u32_e32 8, v4
	s_cbranch_execz .LBB168_30
; %bb.27:                               ;   in Loop: Header=BB168_3 Depth=1
	v_dual_mov_b32 v5, v2 :: v_dual_mov_b32 v60, 0
	s_mov_b32 s18, exec_lo
	s_delay_alu instid0(VALU_DEP_1) | instskip(NEXT) | instid1(VALU_DEP_1)
	v_add_nc_u64_e32 v[4:5], v[56:57], v[4:5]
	v_cmpx_gt_i64_e64 s[4:5], v[4:5]
	s_cbranch_execz .LBB168_29
; %bb.28:                               ;   in Loop: Header=BB168_3 Depth=1
	v_lshl_add_u64 v[4:5], v[4:5], 2, s[14:15]
	global_load_b32 v60, v[4:5], off
.LBB168_29:                             ;   in Loop: Header=BB168_3 Depth=1
	s_wait_xcnt 0x0
	s_or_b32 exec_lo, exec_lo, s18
.LBB168_30:                             ;   in Loop: Header=BB168_3 Depth=1
	s_delay_alu instid0(SALU_CYCLE_1) | instskip(SKIP_4) | instid1(VALU_DEP_3)
	s_or_b32 exec_lo, exec_lo, s3
	v_dual_mov_b32 v7, v2 :: v_dual_mov_b32 v8, v2
	v_dual_mov_b32 v9, v2 :: v_dual_mov_b32 v3, v2
	;; [unrolled: 1-line block ×3, first 2 shown]
	v_mov_b32_e32 v6, v2
	v_mov_b64_e32 v[18:19], v[8:9]
	s_delay_alu instid0(VALU_DEP_4) | instskip(NEXT) | instid1(VALU_DEP_4)
	v_mov_b64_e32 v[12:13], v[2:3]
	v_mov_b64_e32 v[14:15], v[4:5]
	s_delay_alu instid0(VALU_DEP_4)
	v_mov_b64_e32 v[16:17], v[6:7]
	v_mov_b64_e32 v[10:11], v[8:9]
	v_mov_b64_e32 v[8:9], v[6:7]
	v_mov_b64_e32 v[6:7], v[4:5]
	v_mov_b64_e32 v[4:5], v[2:3]
	s_and_saveexec_b32 s3, s2
	s_cbranch_execnz .LBB168_42
; %bb.31:                               ;   in Loop: Header=BB168_3 Depth=1
	s_or_b32 exec_lo, exec_lo, s3
	s_and_saveexec_b32 s3, s2
	s_cbranch_execnz .LBB168_43
.LBB168_32:                             ;   in Loop: Header=BB168_3 Depth=1
	s_or_b32 exec_lo, exec_lo, s3
	s_and_saveexec_b32 s3, s2
	s_cbranch_execnz .LBB168_44
.LBB168_33:                             ;   in Loop: Header=BB168_3 Depth=1
	s_or_b32 exec_lo, exec_lo, s3
	s_and_saveexec_b32 s3, s2
	s_cbranch_execnz .LBB168_45
.LBB168_34:                             ;   in Loop: Header=BB168_3 Depth=1
	s_or_b32 exec_lo, exec_lo, s3
	s_and_saveexec_b32 s3, s2
	s_cbranch_execnz .LBB168_46
.LBB168_35:                             ;   in Loop: Header=BB168_3 Depth=1
	s_or_b32 exec_lo, exec_lo, s3
	s_and_saveexec_b32 s3, s2
	s_cbranch_execnz .LBB168_47
.LBB168_36:                             ;   in Loop: Header=BB168_3 Depth=1
	s_or_b32 exec_lo, exec_lo, s3
	s_and_saveexec_b32 s3, s2
	s_cbranch_execnz .LBB168_48
.LBB168_37:                             ;   in Loop: Header=BB168_3 Depth=1
	s_or_b32 exec_lo, exec_lo, s3
	s_and_saveexec_b32 s3, s2
	s_cbranch_execz .LBB168_39
.LBB168_38:                             ;   in Loop: Header=BB168_3 Depth=1
	v_add_nc_u64_e32 v[56:57], v[28:29], v[22:23]
	v_add_nc_u64_e32 v[62:63], v[30:31], v[22:23]
	global_load_u16 v3, v[56:57], off
	global_load_u16 v19, v[62:63], off
	s_wait_loadcnt 0x1
	v_cvt_f32_f16_e32 v11, v3
	s_wait_loadcnt 0x0
	v_cvt_f32_f16_e32 v19, v19
.LBB168_39:                             ;   in Loop: Header=BB168_3 Depth=1
	s_or_b32 exec_lo, exec_lo, s3
	s_wait_loadcnt 0x0
	ds_bpermute_b32 v3, v2, v60
	ds_bpermute_b32 v56, v2, v60 offset:4
	ds_bpermute_b32 v57, v2, v60 offset:8
	;; [unrolled: 1-line block ×4, first 2 shown]
	v_pk_mul_f32 v[6:7], v[14:15], v[6:7]
	v_dual_mul_f32 v14, v12, v4 :: v_dual_mul_f32 v4, v13, v5
	v_pk_mul_f32 v[8:9], v[16:17], v[8:9]
	ds_bpermute_b32 v12, v2, v60 offset:20
	v_dual_mov_b32 v5, v6 :: v_dual_mov_b32 v6, v7
	ds_bpermute_b32 v13, v2, v60 offset:24
	s_wait_dscnt 0x6
	v_dual_mov_b32 v7, v8 :: v_dual_fmac_f32 v59, v14, v3
	s_wait_dscnt 0x4
	v_pk_mul_f32 v[4:5], v[4:5], v[56:57]
	s_wait_dscnt 0x2
	s_delay_alu instid0(VALU_DEP_2) | instskip(NEXT) | instid1(VALU_DEP_2)
	v_pk_mul_f32 v[6:7], v[6:7], v[62:63]
	v_add_f32_e32 v3, v59, v4
	s_delay_alu instid0(VALU_DEP_1) | instskip(SKIP_2) | instid1(VALU_DEP_1)
	v_dual_add_f32 v4, v3, v5 :: v_dual_mul_f32 v5, v18, v10
	ds_bpermute_b32 v3, v2, v60 offset:28
	v_dual_add_f32 v6, v4, v6 :: v_dual_mov_b32 v4, v9
	v_add_f32_e32 v6, v6, v7
	s_wait_dscnt 0x1
	s_delay_alu instid0(VALU_DEP_2) | instskip(NEXT) | instid1(VALU_DEP_1)
	v_pk_mul_f32 v[4:5], v[4:5], v[12:13]
	v_add_f32_e32 v4, v6, v4
	s_delay_alu instid0(VALU_DEP_1)
	v_add_f32_e32 v88, v4, v5
.LBB168_40:                             ;   in Loop: Header=BB168_3 Depth=1
	s_add_nc_u64 s[28:29], s[28:29], s[22:23]
	v_mul_f32_e32 v4, v11, v19
	v_cmp_lt_i64_e64 s3, s[28:29], s[4:5]
	v_add_nc_u64_e32 v[24:25], s[24:25], v[24:25]
	v_add_nc_u64_e32 v[26:27], s[24:25], v[26:27]
	v_add_nc_u64_e32 v[28:29], s[24:25], v[28:29]
	v_add_nc_u64_e32 v[30:31], s[24:25], v[30:31]
	v_add_nc_u64_e32 v[32:33], s[24:25], v[32:33]
	v_add_nc_u64_e32 v[34:35], s[24:25], v[34:35]
	v_add_nc_u64_e32 v[36:37], s[24:25], v[36:37]
	v_add_nc_u64_e32 v[38:39], s[24:25], v[38:39]
	v_add_nc_u64_e32 v[40:41], s[24:25], v[40:41]
	v_add_nc_u64_e32 v[42:43], s[24:25], v[42:43]
	v_add_nc_u64_e32 v[44:45], s[24:25], v[44:45]
	v_add_nc_u64_e32 v[46:47], s[24:25], v[46:47]
	v_add_nc_u64_e32 v[48:49], s[24:25], v[48:49]
	v_add_nc_u64_e32 v[50:51], s[24:25], v[50:51]
	v_add_nc_u64_e32 v[52:53], s[24:25], v[52:53]
	v_add_nc_u64_e32 v[54:55], s[24:25], v[54:55]
	v_add_nc_u64_e32 v[20:21], s[22:23], v[20:21]
	s_wait_dscnt 0x0
	v_fmac_f32_e32 v88, v4, v3
	s_and_b32 vcc_lo, exec_lo, s3
	s_add_nc_u64 s[26:27], s[26:27], s[22:23]
	s_cbranch_vccz .LBB168_50
; %bb.41:                               ;   in Loop: Header=BB168_3 Depth=1
	s_delay_alu instid0(VALU_DEP_1)
	v_mov_b32_e32 v59, v88
	s_branch .LBB168_3
.LBB168_42:                             ;   in Loop: Header=BB168_3 Depth=1
	v_add_nc_u64_e32 v[4:5], v[24:25], v[22:23]
	v_add_nc_u64_e32 v[6:7], v[26:27], v[22:23]
	v_dual_mov_b32 v9, v2 :: v_dual_mov_b32 v10, v2
	v_dual_mov_b32 v11, v2 :: v_dual_mov_b32 v13, v2
	;; [unrolled: 1-line block ×3, first 2 shown]
	global_load_u16 v3, v[4:5], off
	global_load_u16 v12, v[6:7], off
	s_wait_xcnt 0x0
	v_dual_mov_b32 v5, v2 :: v_dual_mov_b32 v6, v2
	v_dual_mov_b32 v7, v2 :: v_dual_mov_b32 v8, v2
	;; [unrolled: 1-line block ×4, first 2 shown]
	s_wait_loadcnt 0x1
	v_cvt_f32_f16_e32 v4, v3
	s_wait_loadcnt 0x0
	v_cvt_f32_f16_e32 v12, v12
	s_or_b32 exec_lo, exec_lo, s3
	s_and_saveexec_b32 s3, s2
	s_cbranch_execz .LBB168_32
.LBB168_43:                             ;   in Loop: Header=BB168_3 Depth=1
	v_add_nc_u64_e32 v[56:57], v[52:53], v[22:23]
	v_add_nc_u64_e32 v[62:63], v[54:55], v[22:23]
	global_load_u16 v3, v[56:57], off
	global_load_u16 v13, v[62:63], off
	s_wait_loadcnt 0x1
	v_cvt_f32_f16_e32 v5, v3
	s_wait_loadcnt 0x0
	v_cvt_f32_f16_e32 v13, v13
	s_or_b32 exec_lo, exec_lo, s3
	s_and_saveexec_b32 s3, s2
	s_cbranch_execz .LBB168_33
.LBB168_44:                             ;   in Loop: Header=BB168_3 Depth=1
	v_add_nc_u64_e32 v[56:57], v[48:49], v[22:23]
	v_add_nc_u64_e32 v[62:63], v[50:51], v[22:23]
	global_load_u16 v3, v[56:57], off
	global_load_u16 v14, v[62:63], off
	s_wait_loadcnt 0x1
	v_cvt_f32_f16_e32 v6, v3
	s_wait_loadcnt 0x0
	v_cvt_f32_f16_e32 v14, v14
	s_or_b32 exec_lo, exec_lo, s3
	s_and_saveexec_b32 s3, s2
	s_cbranch_execz .LBB168_34
.LBB168_45:                             ;   in Loop: Header=BB168_3 Depth=1
	v_add_nc_u64_e32 v[56:57], v[44:45], v[22:23]
	v_add_nc_u64_e32 v[62:63], v[46:47], v[22:23]
	global_load_u16 v3, v[56:57], off
	global_load_u16 v15, v[62:63], off
	s_wait_loadcnt 0x1
	v_cvt_f32_f16_e32 v7, v3
	s_wait_loadcnt 0x0
	v_cvt_f32_f16_e32 v15, v15
	s_or_b32 exec_lo, exec_lo, s3
	s_and_saveexec_b32 s3, s2
	s_cbranch_execz .LBB168_35
.LBB168_46:                             ;   in Loop: Header=BB168_3 Depth=1
	v_add_nc_u64_e32 v[56:57], v[40:41], v[22:23]
	v_add_nc_u64_e32 v[62:63], v[42:43], v[22:23]
	global_load_u16 v3, v[56:57], off
	global_load_u16 v16, v[62:63], off
	s_wait_loadcnt 0x1
	v_cvt_f32_f16_e32 v8, v3
	s_wait_loadcnt 0x0
	v_cvt_f32_f16_e32 v16, v16
	s_or_b32 exec_lo, exec_lo, s3
	s_and_saveexec_b32 s3, s2
	s_cbranch_execz .LBB168_36
.LBB168_47:                             ;   in Loop: Header=BB168_3 Depth=1
	v_add_nc_u64_e32 v[56:57], v[36:37], v[22:23]
	v_add_nc_u64_e32 v[62:63], v[38:39], v[22:23]
	global_load_u16 v3, v[56:57], off
	global_load_u16 v17, v[62:63], off
	s_wait_loadcnt 0x1
	v_cvt_f32_f16_e32 v9, v3
	s_wait_loadcnt 0x0
	v_cvt_f32_f16_e32 v17, v17
	s_or_b32 exec_lo, exec_lo, s3
	s_and_saveexec_b32 s3, s2
	s_cbranch_execz .LBB168_37
.LBB168_48:                             ;   in Loop: Header=BB168_3 Depth=1
	v_add_nc_u64_e32 v[56:57], v[32:33], v[22:23]
	v_add_nc_u64_e32 v[62:63], v[34:35], v[22:23]
	global_load_u16 v3, v[56:57], off
	global_load_u16 v18, v[62:63], off
	s_wait_loadcnt 0x1
	v_cvt_f32_f16_e32 v10, v3
	s_wait_loadcnt 0x0
	v_cvt_f32_f16_e32 v18, v18
	s_or_b32 exec_lo, exec_lo, s3
	s_and_saveexec_b32 s3, s2
	s_cbranch_execnz .LBB168_38
	s_branch .LBB168_39
.LBB168_49:
                                        ; implicit-def: $vgpr88
	s_load_b64 s[2:3], s[0:1], 0x30
	s_branch .LBB168_51
.LBB168_50:
	s_load_b64 s[2:3], s[0:1], 0x30
	s_cbranch_execnz .LBB168_83
.LBB168_51:
	v_mov_b32_e32 v88, 0
	s_and_not1_b32 vcc_lo, exec_lo, s31
	s_cbranch_vccnz .LBB168_83
; %bb.52:
	v_bfe_u32 v1, v0, 10, 10
	v_mov_b32_e32 v2, 0
	v_and_b32_e32 v86, 0x3ff, v0
	s_load_b32 s18, s[0:1], 0x44
	s_mov_b32 s19, 0
	s_delay_alu instid0(VALU_DEP_2) | instskip(SKIP_3) | instid1(VALU_DEP_2)
	v_dual_mov_b32 v5, v2 :: v_dual_lshlrev_b32 v4, 4, v1
	v_dual_mov_b32 v21, v2 :: v_dual_lshlrev_b32 v20, 3, v1
	s_mov_b32 s21, s19
	s_add_nc_u64 s[22:23], s[0:1], 64
	v_lshl_add_u64 v[4:5], s[16:17], 1, v[4:5]
	s_mov_b64 s[24:25], s[16:17]
	v_add_nc_u64_e32 v[8:9], s[16:17], v[20:21]
	v_mov_b32_e32 v87, 0
	s_delay_alu instid0(VALU_DEP_3)
	v_add_nc_u64_e32 v[6:7], 2, v[4:5]
	v_add_nc_u64_e32 v[10:11], 4, v[4:5]
	;; [unrolled: 1-line block ×5, first 2 shown]
	v_mul_u64_e32 v[60:61], s[6:7], v[8:9]
	v_add_nc_u64_e32 v[48:49], 3, v[8:9]
	v_mad_nc_u64_u32 v[22:23], s6, v6, s[8:9]
	v_mul_lo_u32 v3, s6, v7
	v_mul_lo_u32 v44, s7, v6
	v_mad_nc_u64_u32 v[32:33], s6, v6, s[10:11]
	v_add_nc_u64_e32 v[6:7], 7, v[8:9]
	v_mad_nc_u64_u32 v[24:25], s6, v10, s[8:9]
	v_mul_lo_u32 v46, s6, v11
	v_mul_lo_u32 v47, s7, v10
	v_mad_nc_u64_u32 v[26:27], s6, v12, s[8:9]
	v_mul_lo_u32 v50, s6, v13
	v_mul_lo_u32 v51, s7, v12
	v_mad_nc_u64_u32 v[34:35], s6, v10, s[10:11]
	v_mad_nc_u64_u32 v[36:37], s6, v12, s[10:11]
	v_add_nc_u64_e32 v[10:11], 6, v[8:9]
	v_mul_u64_e32 v[6:7], s[6:7], v[6:7]
	v_add_nc_u64_e32 v[12:13], 5, v[8:9]
	v_mad_nc_u64_u32 v[28:29], s6, v14, s[8:9]
	v_mul_lo_u32 v52, s6, v15
	v_mul_lo_u32 v53, s7, v14
	v_mad_nc_u64_u32 v[40:41], s6, v14, s[10:11]
	v_add_nc_u64_e32 v[14:15], 4, v[8:9]
	v_mul_u64_e32 v[10:11], s[6:7], v[10:11]
	v_add_nc_u64_e32 v[8:9], 2, v[8:9]
	v_mul_u64_e32 v[12:13], s[6:7], v[12:13]
	v_mad_nc_u64_u32 v[30:31], s6, v16, s[8:9]
	v_mul_lo_u32 v54, s6, v17
	v_mul_lo_u32 v55, s7, v16
	v_add3_u32 v23, v44, v23, v3
	v_add3_u32 v33, v44, v33, v3
	v_mul_u64_e32 v[14:15], s[6:7], v[14:15]
	v_mad_nc_u64_u32 v[44:45], s6, v16, s[10:11]
	v_mul_u64_e32 v[16:17], s[6:7], v[48:49]
	v_mul_u64_e32 v[8:9], s[6:7], v[8:9]
	v_add_nc_u64_e32 v[18:19], 12, v[4:5]
	v_add_nc_u64_e32 v[4:5], 14, v[4:5]
	v_add3_u32 v25, v47, v25, v46
	v_add3_u32 v27, v51, v27, v50
	;; [unrolled: 1-line block ×5, first 2 shown]
	v_mad_nc_u64_u32 v[38:39], s6, v18, s[8:9]
	v_mul_lo_u32 v19, s6, v19
	v_mul_lo_u32 v56, s7, v18
	v_mad_nc_u64_u32 v[42:43], s6, v4, s[8:9]
	v_mad_nc_u64_u32 v[46:47], s6, v18, s[10:11]
	v_mul_lo_u32 v3, s6, v5
	v_mul_lo_u32 v50, s7, v4
	v_mad_nc_u64_u32 v[48:49], s6, v4, s[10:11]
	v_lshlrev_b64_e32 v[6:7], 1, v[6:7]
	v_dual_mov_b32 v5, v2 :: v_dual_add_nc_u32 v4, s13, v86
	v_add3_u32 v31, v55, v31, v54
	v_add3_u32 v41, v53, v41, v52
	;; [unrolled: 1-line block ×5, first 2 shown]
	v_add_nc_u64_e32 v[56:57], s[8:9], v[6:7]
	v_add3_u32 v43, v50, v43, v3
	v_add3_u32 v49, v50, v49, v3
	v_lshlrev_b64_e32 v[50:51], 1, v[4:5]
	v_lshlrev_b64_e32 v[4:5], 1, v[10:11]
	v_add_nc_u64_e32 v[58:59], s[10:11], v[6:7]
	v_lshlrev_b64_e32 v[6:7], 1, v[12:13]
	v_add_nc_u64_e32 v[12:13], s[6:7], v[60:61]
	v_lshlrev_b64_e32 v[18:19], 1, v[60:61]
	v_lshlrev_b64_e32 v[10:11], 1, v[14:15]
	v_lshlrev_b64_e32 v[8:9], 1, v[8:9]
	v_add_nc_u64_e32 v[60:61], s[8:9], v[4:5]
	v_add_nc_u64_e32 v[62:63], s[10:11], v[4:5]
	v_lshlrev_b64_e32 v[4:5], 1, v[16:17]
	v_add_nc_u64_e32 v[64:65], s[8:9], v[6:7]
	v_add_nc_u64_e32 v[66:67], s[10:11], v[6:7]
	v_lshlrev_b64_e32 v[6:7], 1, v[12:13]
	v_add_nc_u64_e32 v[52:53], s[8:9], v[18:19]
	v_add_nc_u64_e32 v[54:55], s[10:11], v[18:19]
	;; [unrolled: 1-line block ×10, first 2 shown]
	s_wait_kmcnt 0x0
	s_lshl_b32 s20, s18, 3
	s_mov_b64 s[10:11], 7
	s_mul_u64 s[8:9], s[6:7], s[20:21]
	s_delay_alu instid0(SALU_CYCLE_1)
	s_lshl_b64 s[8:9], s[8:9], 1
.LBB168_53:                             ; =>This Inner Loop Header: Depth=1
	s_add_nc_u64 s[26:27], s[16:17], s[10:11]
	v_add_nc_u64_e32 v[84:85], s[16:17], v[20:21]
	v_cmp_ge_i64_e64 s13, s[26:27], s[4:5]
                                        ; implicit-def: $vgpr88
	s_and_b32 vcc_lo, exec_lo, s13
	s_mov_b32 s13, -1
	s_cbranch_vccz .LBB168_75
; %bb.54:                               ;   in Loop: Header=BB168_53 Depth=1
	s_load_b32 s13, s[22:23], 0xc
	v_mov_b32_e32 v88, 0
	s_wait_kmcnt 0x0
	s_and_b32 s13, s13, 0xffff
	s_delay_alu instid0(SALU_CYCLE_1) | instskip(SKIP_1) | instid1(VALU_DEP_1)
	v_mad_u32_u24 v3, v1, s13, v86
	s_mov_b32 s13, exec_lo
	v_and_b32_e32 v4, 31, v3
	s_delay_alu instid0(VALU_DEP_1)
	v_cmpx_gt_u32_e32 8, v4
	s_cbranch_execz .LBB168_58
; %bb.55:                               ;   in Loop: Header=BB168_53 Depth=1
	v_dual_mov_b32 v5, v2 :: v_dual_mov_b32 v88, 0
	s_mov_b32 s18, exec_lo
	s_delay_alu instid0(VALU_DEP_1) | instskip(NEXT) | instid1(VALU_DEP_1)
	v_add_nc_u64_e32 v[4:5], v[84:85], v[4:5]
	v_cmpx_gt_i64_e64 s[4:5], v[4:5]
	s_cbranch_execz .LBB168_57
; %bb.56:                               ;   in Loop: Header=BB168_53 Depth=1
	v_lshl_add_u64 v[4:5], v[4:5], 2, s[14:15]
	global_load_b32 v88, v[4:5], off
.LBB168_57:                             ;   in Loop: Header=BB168_53 Depth=1
	s_wait_xcnt 0x0
	s_or_b32 exec_lo, exec_lo, s18
.LBB168_58:                             ;   in Loop: Header=BB168_53 Depth=1
	s_delay_alu instid0(SALU_CYCLE_1) | instskip(SKIP_4) | instid1(VALU_DEP_3)
	s_or_b32 exec_lo, exec_lo, s13
	v_dual_mov_b32 v7, v2 :: v_dual_mov_b32 v8, v2
	v_dual_mov_b32 v9, v2 :: v_dual_mov_b32 v3, v2
	;; [unrolled: 1-line block ×3, first 2 shown]
	v_mov_b32_e32 v6, v2
	v_mov_b64_e32 v[18:19], v[8:9]
	s_delay_alu instid0(VALU_DEP_4)
	v_mov_b64_e32 v[12:13], v[2:3]
	s_mov_b32 s13, exec_lo
	v_mov_b64_e32 v[14:15], v[4:5]
	v_mov_b64_e32 v[16:17], v[6:7]
	;; [unrolled: 1-line block ×6, first 2 shown]
	v_cmpx_gt_i64_e64 s[4:5], v[84:85]
	s_cbranch_execz .LBB168_60
; %bb.59:                               ;   in Loop: Header=BB168_53 Depth=1
	v_add_nc_u64_e32 v[4:5], v[52:53], v[50:51]
	v_add_nc_u64_e32 v[6:7], v[54:55], v[50:51]
	v_dual_mov_b32 v9, v2 :: v_dual_mov_b32 v10, v2
	v_dual_mov_b32 v11, v2 :: v_dual_mov_b32 v13, v2
	;; [unrolled: 1-line block ×3, first 2 shown]
	global_load_u16 v3, v[4:5], off
	global_load_u16 v12, v[6:7], off
	s_wait_xcnt 0x0
	v_dual_mov_b32 v5, v2 :: v_dual_mov_b32 v6, v2
	v_dual_mov_b32 v7, v2 :: v_dual_mov_b32 v8, v2
	;; [unrolled: 1-line block ×4, first 2 shown]
	s_wait_loadcnt 0x1
	v_cvt_f32_f16_e32 v4, v3
	s_wait_loadcnt 0x0
	v_cvt_f32_f16_e32 v12, v12
.LBB168_60:                             ;   in Loop: Header=BB168_53 Depth=1
	s_or_b32 exec_lo, exec_lo, s13
	v_add_nc_u64_e32 v[90:91], 1, v[84:85]
	s_mov_b32 s13, exec_lo
	s_delay_alu instid0(VALU_DEP_1)
	v_cmpx_gt_i64_e64 s[4:5], v[90:91]
	s_cbranch_execz .LBB168_62
; %bb.61:                               ;   in Loop: Header=BB168_53 Depth=1
	v_add_nc_u64_e32 v[90:91], v[80:81], v[50:51]
	v_add_nc_u64_e32 v[92:93], v[82:83], v[50:51]
	global_load_u16 v3, v[90:91], off
	global_load_u16 v13, v[92:93], off
	s_wait_loadcnt 0x1
	v_cvt_f32_f16_e32 v5, v3
	s_wait_loadcnt 0x0
	v_cvt_f32_f16_e32 v13, v13
.LBB168_62:                             ;   in Loop: Header=BB168_53 Depth=1
	s_or_b32 exec_lo, exec_lo, s13
	v_add_nc_u64_e32 v[90:91], 2, v[84:85]
	s_mov_b32 s13, exec_lo
	s_delay_alu instid0(VALU_DEP_1)
	v_cmpx_gt_i64_e64 s[4:5], v[90:91]
	s_cbranch_execz .LBB168_64
; %bb.63:                               ;   in Loop: Header=BB168_53 Depth=1
	v_add_nc_u64_e32 v[90:91], v[76:77], v[50:51]
	v_add_nc_u64_e32 v[92:93], v[78:79], v[50:51]
	global_load_u16 v3, v[90:91], off
	global_load_u16 v14, v[92:93], off
	s_wait_loadcnt 0x1
	v_cvt_f32_f16_e32 v6, v3
	s_wait_loadcnt 0x0
	v_cvt_f32_f16_e32 v14, v14
.LBB168_64:                             ;   in Loop: Header=BB168_53 Depth=1
	;; [unrolled: 16-line block ×7, first 2 shown]
	s_or_b32 exec_lo, exec_lo, s13
	s_wait_loadcnt 0x0
	ds_bpermute_b32 v90, v2, v88
	ds_bpermute_b32 v91, v2, v88 offset:4
	ds_bpermute_b32 v92, v2, v88 offset:8
	;; [unrolled: 1-line block ×3, first 2 shown]
	v_pk_mul_f32 v[4:5], v[12:13], v[4:5]
	ds_bpermute_b32 v12, v2, v88 offset:16
	ds_bpermute_b32 v13, v2, v88 offset:20
	v_pk_mul_f32 v[6:7], v[14:15], v[6:7]
	v_pk_mul_f32 v[8:9], v[16:17], v[8:9]
	s_mov_b32 s13, 0
	s_wait_dscnt 0x4
	v_pk_mul_f32 v[4:5], v[4:5], v[90:91]
	s_wait_dscnt 0x2
	v_pk_mul_f32 v[6:7], v[6:7], v[92:93]
	;; [unrolled: 2-line block ×3, first 2 shown]
	v_add_f32_e32 v3, v87, v4
	ds_bpermute_b32 v4, v2, v88 offset:24
	v_add_f32_e32 v3, v3, v5
	ds_bpermute_b32 v5, v2, v88 offset:28
	v_add_f32_e32 v3, v3, v6
	s_delay_alu instid0(VALU_DEP_1) | instskip(SKIP_1) | instid1(VALU_DEP_2)
	v_add_f32_e32 v3, v3, v7
	v_pk_mul_f32 v[6:7], v[18:19], v[10:11]
	v_add_f32_e32 v3, v3, v8
	s_delay_alu instid0(VALU_DEP_1) | instskip(SKIP_1) | instid1(VALU_DEP_3)
	v_add_f32_e32 v3, v3, v9
	s_wait_dscnt 0x0
	v_pk_mul_f32 v[4:5], v[6:7], v[4:5]
	s_delay_alu instid0(VALU_DEP_1) | instskip(NEXT) | instid1(VALU_DEP_1)
	v_add_f32_e32 v3, v3, v4
	v_add_f32_e32 v88, v3, v5
.LBB168_75:                             ;   in Loop: Header=BB168_53 Depth=1
	s_and_b32 vcc_lo, exec_lo, s13
	s_cbranch_vccz .LBB168_81
; %bb.76:                               ;   in Loop: Header=BB168_53 Depth=1
	s_load_b32 s13, s[22:23], 0x0
	s_wait_kmcnt 0x0
	s_cmp_lt_u32 s12, s13
	s_cselect_b32 s18, 12, 18
	s_delay_alu instid0(SALU_CYCLE_1) | instskip(SKIP_4) | instid1(VALU_DEP_1)
	s_add_nc_u64 s[26:27], s[22:23], s[18:19]
	s_load_u16 s13, s[26:27], 0x0
	s_wait_kmcnt 0x0
	v_mad_u32_u24 v3, v1, s13, v86
	s_mov_b32 s13, exec_lo
	v_dual_mov_b32 v3, 0 :: v_dual_bitop2_b32 v4, 31, v3 bitop3:0x40
	s_delay_alu instid0(VALU_DEP_1)
	v_cmpx_gt_u32_e32 8, v4
	s_cbranch_execz .LBB168_80
; %bb.77:                               ;   in Loop: Header=BB168_53 Depth=1
	v_dual_mov_b32 v5, v2 :: v_dual_mov_b32 v3, 0
	s_mov_b32 s18, exec_lo
	s_delay_alu instid0(VALU_DEP_1) | instskip(NEXT) | instid1(VALU_DEP_1)
	v_add_nc_u64_e32 v[4:5], v[84:85], v[4:5]
	v_cmpx_gt_i64_e64 s[4:5], v[4:5]
	s_cbranch_execz .LBB168_79
; %bb.78:                               ;   in Loop: Header=BB168_53 Depth=1
	v_lshl_add_u64 v[4:5], v[4:5], 2, s[14:15]
	global_load_b32 v3, v[4:5], off
.LBB168_79:                             ;   in Loop: Header=BB168_53 Depth=1
	s_wait_xcnt 0x0
	s_or_b32 exec_lo, exec_lo, s18
.LBB168_80:                             ;   in Loop: Header=BB168_53 Depth=1
	s_delay_alu instid0(SALU_CYCLE_1)
	s_or_b32 exec_lo, exec_lo, s13
	v_add_nc_u64_e32 v[4:5], v[22:23], v[50:51]
	v_add_nc_u64_e32 v[6:7], v[52:53], v[50:51]
	;; [unrolled: 1-line block ×6, first 2 shown]
	global_load_u16 v16, v[4:5], off
	global_load_u16 v17, v[6:7], off
	;; [unrolled: 1-line block ×4, first 2 shown]
	s_wait_xcnt 0x3
	v_add_nc_u64_e32 v[4:5], v[36:37], v[50:51]
	s_wait_xcnt 0x2
	v_add_nc_u64_e32 v[6:7], v[34:35], v[50:51]
	;; [unrolled: 2-line block ×3, first 2 shown]
	v_add_nc_u64_e32 v[8:9], v[28:29], v[50:51]
	global_load_u16 v84, v[14:15], off
	global_load_u16 v85, v[12:13], off
	;; [unrolled: 1-line block ×4, first 2 shown]
	s_wait_xcnt 0x1
	v_add_nc_u64_e32 v[4:5], v[44:45], v[50:51]
	s_wait_xcnt 0x0
	v_add_nc_u64_e32 v[6:7], v[40:41], v[50:51]
	s_wait_loadcnt 0x8
	ds_bpermute_b32 v12, v2, v3 offset:16
	global_load_u16 v90, v[10:11], off
	global_load_u16 v91, v[8:9], off
	;; [unrolled: 1-line block ×4, first 2 shown]
	s_wait_xcnt 0x1
	v_add_nc_u64_e32 v[4:5], v[42:43], v[50:51]
	s_wait_xcnt 0x0
	v_add_nc_u64_e32 v[6:7], v[38:39], v[50:51]
	v_add_nc_u64_e32 v[8:9], v[48:49], v[50:51]
	;; [unrolled: 1-line block ×3, first 2 shown]
	global_load_u16 v94, v[4:5], off
	global_load_u16 v95, v[6:7], off
	;; [unrolled: 1-line block ×4, first 2 shown]
	s_wait_xcnt 0x3
	ds_bpermute_b32 v4, v2, v3
	ds_bpermute_b32 v5, v2, v3 offset:4
	s_wait_xcnt 0x2
	ds_bpermute_b32 v6, v2, v3 offset:8
	ds_bpermute_b32 v7, v2, v3 offset:12
	;; [unrolled: 1-line block ×3, first 2 shown]
	s_wait_loadcnt 0xf
	s_wait_xcnt 0x1
	v_cvt_f32_f16_e32 v9, v16
	s_wait_loadcnt 0xe
	v_cvt_f32_f16_e32 v8, v17
	s_wait_loadcnt 0xd
	s_wait_xcnt 0x0
	v_cvt_f32_f16_e32 v11, v18
	s_wait_loadcnt 0xc
	v_cvt_f32_f16_e32 v10, v19
	s_wait_loadcnt 0x9
	v_cvt_f32_f16_e32 v15, v88
	s_delay_alu instid0(VALU_DEP_2)
	v_pk_mul_f32 v[8:9], v[8:9], v[10:11]
	v_cvt_f32_f16_e32 v11, v84
	v_cvt_f32_f16_e32 v10, v85
	s_wait_loadcnt 0x8
	v_cvt_f32_f16_e32 v14, v89
	s_wait_loadcnt 0x7
	v_cvt_f32_f16_e32 v17, v90
	s_wait_dscnt 0x3
	v_pk_mul_f32 v[4:5], v[8:9], v[4:5]
	ds_bpermute_b32 v8, v2, v3 offset:24
	s_wait_loadcnt 0x6
	v_cvt_f32_f16_e32 v16, v91
	v_pk_mul_f32 v[10:11], v[10:11], v[14:15]
	s_wait_loadcnt 0x5
	v_cvt_f32_f16_e32 v15, v92
	s_wait_loadcnt 0x4
	v_cvt_f32_f16_e32 v14, v93
	ds_bpermute_b32 v9, v2, v3 offset:28
	s_wait_dscnt 0x3
	v_pk_mul_f32 v[6:7], v[10:11], v[6:7]
	v_add_f32_e32 v4, v87, v4
	s_wait_loadcnt 0x3
	v_cvt_f32_f16_e32 v11, v94
	s_delay_alu instid0(VALU_DEP_2)
	v_add_f32_e32 v10, v4, v5
	v_pk_mul_f32 v[4:5], v[16:17], v[14:15]
	s_wait_loadcnt 0x1
	v_cvt_f32_f16_e32 v15, v96
	s_wait_loadcnt 0x0
	v_cvt_f32_f16_e32 v14, v97
	v_add_f32_e32 v3, v10, v6
	v_cvt_f32_f16_e32 v10, v95
	s_wait_dscnt 0x2
	v_pk_mul_f32 v[4:5], v[4:5], v[12:13]
	s_delay_alu instid0(VALU_DEP_3) | instskip(NEXT) | instid1(VALU_DEP_3)
	v_add_f32_e32 v3, v3, v7
	v_pk_mul_f32 v[6:7], v[10:11], v[14:15]
	s_delay_alu instid0(VALU_DEP_2) | instskip(NEXT) | instid1(VALU_DEP_1)
	v_add_f32_e32 v3, v3, v4
	v_add_f32_e32 v3, v3, v5
	s_wait_dscnt 0x0
	s_delay_alu instid0(VALU_DEP_3) | instskip(NEXT) | instid1(VALU_DEP_1)
	v_pk_mul_f32 v[4:5], v[6:7], v[8:9]
	v_add_f32_e32 v3, v3, v4
	s_delay_alu instid0(VALU_DEP_1)
	v_add_f32_e32 v88, v3, v5
.LBB168_81:                             ;   in Loop: Header=BB168_53 Depth=1
	s_add_nc_u64 s[24:25], s[24:25], s[20:21]
	v_add_nc_u64_e32 v[52:53], s[8:9], v[52:53]
	v_cmp_ge_i64_e64 s13, s[24:25], s[4:5]
	v_add_nc_u64_e32 v[54:55], s[8:9], v[54:55]
	v_add_nc_u64_e32 v[20:21], s[20:21], v[20:21]
	v_add_nc_u64_e32 v[22:23], s[8:9], v[22:23]
	v_add_nc_u64_e32 v[24:25], s[8:9], v[24:25]
	v_add_nc_u64_e32 v[26:27], s[8:9], v[26:27]
	v_add_nc_u64_e32 v[28:29], s[8:9], v[28:29]
	v_add_nc_u64_e32 v[30:31], s[8:9], v[30:31]
	v_add_nc_u64_e32 v[38:39], s[8:9], v[38:39]
	v_add_nc_u64_e32 v[42:43], s[8:9], v[42:43]
	v_add_nc_u64_e32 v[32:33], s[8:9], v[32:33]
	v_add_nc_u64_e32 v[34:35], s[8:9], v[34:35]
	v_add_nc_u64_e32 v[36:37], s[8:9], v[36:37]
	v_add_nc_u64_e32 v[40:41], s[8:9], v[40:41]
	v_add_nc_u64_e32 v[44:45], s[8:9], v[44:45]
	v_add_nc_u64_e32 v[46:47], s[8:9], v[46:47]
	v_add_nc_u64_e32 v[48:49], s[8:9], v[48:49]
	v_add_nc_u64_e32 v[56:57], s[8:9], v[56:57]
	v_add_nc_u64_e32 v[58:59], s[8:9], v[58:59]
	v_add_nc_u64_e32 v[60:61], s[8:9], v[60:61]
	v_add_nc_u64_e32 v[62:63], s[8:9], v[62:63]
	v_add_nc_u64_e32 v[64:65], s[8:9], v[64:65]
	v_add_nc_u64_e32 v[66:67], s[8:9], v[66:67]
	v_add_nc_u64_e32 v[68:69], s[8:9], v[68:69]
	v_add_nc_u64_e32 v[70:71], s[8:9], v[70:71]
	v_add_nc_u64_e32 v[72:73], s[8:9], v[72:73]
	v_add_nc_u64_e32 v[74:75], s[8:9], v[74:75]
	v_add_nc_u64_e32 v[76:77], s[8:9], v[76:77]
	v_add_nc_u64_e32 v[78:79], s[8:9], v[78:79]
	v_add_nc_u64_e32 v[80:81], s[8:9], v[80:81]
	v_add_nc_u64_e32 v[82:83], s[8:9], v[82:83]
	s_and_b32 vcc_lo, exec_lo, s13
	s_add_nc_u64 s[10:11], s[10:11], s[20:21]
	s_cbranch_vccnz .LBB168_83
; %bb.82:                               ;   in Loop: Header=BB168_53 Depth=1
	v_mov_b32_e32 v87, v88
	s_branch .LBB168_53
.LBB168_83:
	s_mov_b32 s13, 0
	s_delay_alu instid0(SALU_CYCLE_1)
	s_lshl_b64 s[4:5], s[12:13], 6
	s_wait_kmcnt 0x0
	s_cmp_lg_u64 s[2:3], 0
	v_and_or_b32 v2, 0x3ff, v0, s4
	v_mov_b32_e32 v3, s5
	s_cselect_b32 s4, -1, 0
	s_delay_alu instid0(VALU_DEP_1) | instskip(SKIP_1) | instid1(SALU_CYCLE_1)
	v_cmp_gt_i64_e32 vcc_lo, s[6:7], v[2:3]
	s_and_b32 s4, vcc_lo, s4
	s_and_saveexec_b32 s5, s4
	s_cbranch_execz .LBB168_85
; %bb.84:
	s_load_u16 s0, s[0:1], 0x4e
	v_bfe_u32 v0, v0, 10, 10
	v_mov_b32_e32 v1, 0
	v_cvt_f16_f32_e32 v4, v88
	s_wait_kmcnt 0x0
	s_delay_alu instid0(VALU_DEP_2) | instskip(NEXT) | instid1(VALU_DEP_1)
	v_mad_nc_u64_u32 v[0:1], s0, s30, v[0:1]
	v_mul_u64_e32 v[0:1], s[6:7], v[0:1]
	s_delay_alu instid0(VALU_DEP_1) | instskip(NEXT) | instid1(VALU_DEP_1)
	v_lshl_add_u64 v[0:1], v[0:1], 1, s[2:3]
	v_lshl_add_u64 v[0:1], v[2:3], 1, v[0:1]
	global_store_b16 v[0:1], v4, off
.LBB168_85:
	s_sendmsg sendmsg(MSG_DEALLOC_VGPRS)
	s_endpgm
	.section	.rodata,"a",@progbits
	.p2align	6, 0x0
	.amdhsa_kernel _ZN2at6native12_GLOBAL__N_135GammaBetaBackwardCUDAKernelTemplateIN3c104HalfEfLj64ELj1ELj8ELb1ELb0ELb1EEEvllPKT_S7_PKT0_SA_PS5_SB_
		.amdhsa_group_segment_fixed_size 0
		.amdhsa_private_segment_fixed_size 0
		.amdhsa_kernarg_size 320
		.amdhsa_user_sgpr_count 2
		.amdhsa_user_sgpr_dispatch_ptr 0
		.amdhsa_user_sgpr_queue_ptr 0
		.amdhsa_user_sgpr_kernarg_segment_ptr 1
		.amdhsa_user_sgpr_dispatch_id 0
		.amdhsa_user_sgpr_kernarg_preload_length 0
		.amdhsa_user_sgpr_kernarg_preload_offset 0
		.amdhsa_user_sgpr_private_segment_size 0
		.amdhsa_wavefront_size32 1
		.amdhsa_uses_dynamic_stack 0
		.amdhsa_enable_private_segment 0
		.amdhsa_system_sgpr_workgroup_id_x 1
		.amdhsa_system_sgpr_workgroup_id_y 1
		.amdhsa_system_sgpr_workgroup_id_z 0
		.amdhsa_system_sgpr_workgroup_info 0
		.amdhsa_system_vgpr_workitem_id 1
		.amdhsa_next_free_vgpr 98
		.amdhsa_next_free_sgpr 36
		.amdhsa_named_barrier_count 0
		.amdhsa_reserve_vcc 1
		.amdhsa_float_round_mode_32 0
		.amdhsa_float_round_mode_16_64 0
		.amdhsa_float_denorm_mode_32 3
		.amdhsa_float_denorm_mode_16_64 3
		.amdhsa_fp16_overflow 0
		.amdhsa_memory_ordered 1
		.amdhsa_forward_progress 1
		.amdhsa_inst_pref_size 44
		.amdhsa_round_robin_scheduling 0
		.amdhsa_exception_fp_ieee_invalid_op 0
		.amdhsa_exception_fp_denorm_src 0
		.amdhsa_exception_fp_ieee_div_zero 0
		.amdhsa_exception_fp_ieee_overflow 0
		.amdhsa_exception_fp_ieee_underflow 0
		.amdhsa_exception_fp_ieee_inexact 0
		.amdhsa_exception_int_div_zero 0
	.end_amdhsa_kernel
	.section	.text._ZN2at6native12_GLOBAL__N_135GammaBetaBackwardCUDAKernelTemplateIN3c104HalfEfLj64ELj1ELj8ELb1ELb0ELb1EEEvllPKT_S7_PKT0_SA_PS5_SB_,"axG",@progbits,_ZN2at6native12_GLOBAL__N_135GammaBetaBackwardCUDAKernelTemplateIN3c104HalfEfLj64ELj1ELj8ELb1ELb0ELb1EEEvllPKT_S7_PKT0_SA_PS5_SB_,comdat
.Lfunc_end168:
	.size	_ZN2at6native12_GLOBAL__N_135GammaBetaBackwardCUDAKernelTemplateIN3c104HalfEfLj64ELj1ELj8ELb1ELb0ELb1EEEvllPKT_S7_PKT0_SA_PS5_SB_, .Lfunc_end168-_ZN2at6native12_GLOBAL__N_135GammaBetaBackwardCUDAKernelTemplateIN3c104HalfEfLj64ELj1ELj8ELb1ELb0ELb1EEEvllPKT_S7_PKT0_SA_PS5_SB_
                                        ; -- End function
	.set _ZN2at6native12_GLOBAL__N_135GammaBetaBackwardCUDAKernelTemplateIN3c104HalfEfLj64ELj1ELj8ELb1ELb0ELb1EEEvllPKT_S7_PKT0_SA_PS5_SB_.num_vgpr, 98
	.set _ZN2at6native12_GLOBAL__N_135GammaBetaBackwardCUDAKernelTemplateIN3c104HalfEfLj64ELj1ELj8ELb1ELb0ELb1EEEvllPKT_S7_PKT0_SA_PS5_SB_.num_agpr, 0
	.set _ZN2at6native12_GLOBAL__N_135GammaBetaBackwardCUDAKernelTemplateIN3c104HalfEfLj64ELj1ELj8ELb1ELb0ELb1EEEvllPKT_S7_PKT0_SA_PS5_SB_.numbered_sgpr, 36
	.set _ZN2at6native12_GLOBAL__N_135GammaBetaBackwardCUDAKernelTemplateIN3c104HalfEfLj64ELj1ELj8ELb1ELb0ELb1EEEvllPKT_S7_PKT0_SA_PS5_SB_.num_named_barrier, 0
	.set _ZN2at6native12_GLOBAL__N_135GammaBetaBackwardCUDAKernelTemplateIN3c104HalfEfLj64ELj1ELj8ELb1ELb0ELb1EEEvllPKT_S7_PKT0_SA_PS5_SB_.private_seg_size, 0
	.set _ZN2at6native12_GLOBAL__N_135GammaBetaBackwardCUDAKernelTemplateIN3c104HalfEfLj64ELj1ELj8ELb1ELb0ELb1EEEvllPKT_S7_PKT0_SA_PS5_SB_.uses_vcc, 1
	.set _ZN2at6native12_GLOBAL__N_135GammaBetaBackwardCUDAKernelTemplateIN3c104HalfEfLj64ELj1ELj8ELb1ELb0ELb1EEEvllPKT_S7_PKT0_SA_PS5_SB_.uses_flat_scratch, 0
	.set _ZN2at6native12_GLOBAL__N_135GammaBetaBackwardCUDAKernelTemplateIN3c104HalfEfLj64ELj1ELj8ELb1ELb0ELb1EEEvllPKT_S7_PKT0_SA_PS5_SB_.has_dyn_sized_stack, 0
	.set _ZN2at6native12_GLOBAL__N_135GammaBetaBackwardCUDAKernelTemplateIN3c104HalfEfLj64ELj1ELj8ELb1ELb0ELb1EEEvllPKT_S7_PKT0_SA_PS5_SB_.has_recursion, 0
	.set _ZN2at6native12_GLOBAL__N_135GammaBetaBackwardCUDAKernelTemplateIN3c104HalfEfLj64ELj1ELj8ELb1ELb0ELb1EEEvllPKT_S7_PKT0_SA_PS5_SB_.has_indirect_call, 0
	.section	.AMDGPU.csdata,"",@progbits
; Kernel info:
; codeLenInByte = 5532
; TotalNumSgprs: 38
; NumVgprs: 98
; ScratchSize: 0
; MemoryBound: 0
; FloatMode: 240
; IeeeMode: 1
; LDSByteSize: 0 bytes/workgroup (compile time only)
; SGPRBlocks: 0
; VGPRBlocks: 6
; NumSGPRsForWavesPerEU: 38
; NumVGPRsForWavesPerEU: 98
; NamedBarCnt: 0
; Occupancy: 9
; WaveLimiterHint : 0
; COMPUTE_PGM_RSRC2:SCRATCH_EN: 0
; COMPUTE_PGM_RSRC2:USER_SGPR: 2
; COMPUTE_PGM_RSRC2:TRAP_HANDLER: 0
; COMPUTE_PGM_RSRC2:TGID_X_EN: 1
; COMPUTE_PGM_RSRC2:TGID_Y_EN: 1
; COMPUTE_PGM_RSRC2:TGID_Z_EN: 0
; COMPUTE_PGM_RSRC2:TIDIG_COMP_CNT: 1
	.section	.text._ZN2at6native12_GLOBAL__N_135GammaBetaBackwardCUDAKernelTemplateIN3c104HalfEfLj64ELj8ELj64ELb0ELb1ELb1EEEvllPKT_S7_PKT0_SA_PS5_SB_,"axG",@progbits,_ZN2at6native12_GLOBAL__N_135GammaBetaBackwardCUDAKernelTemplateIN3c104HalfEfLj64ELj8ELj64ELb0ELb1ELb1EEEvllPKT_S7_PKT0_SA_PS5_SB_,comdat
	.globl	_ZN2at6native12_GLOBAL__N_135GammaBetaBackwardCUDAKernelTemplateIN3c104HalfEfLj64ELj8ELj64ELb0ELb1ELb1EEEvllPKT_S7_PKT0_SA_PS5_SB_ ; -- Begin function _ZN2at6native12_GLOBAL__N_135GammaBetaBackwardCUDAKernelTemplateIN3c104HalfEfLj64ELj8ELj64ELb0ELb1ELb1EEEvllPKT_S7_PKT0_SA_PS5_SB_
	.p2align	8
	.type	_ZN2at6native12_GLOBAL__N_135GammaBetaBackwardCUDAKernelTemplateIN3c104HalfEfLj64ELj8ELj64ELb0ELb1ELb1EEEvllPKT_S7_PKT0_SA_PS5_SB_,@function
_ZN2at6native12_GLOBAL__N_135GammaBetaBackwardCUDAKernelTemplateIN3c104HalfEfLj64ELj8ELj64ELb0ELb1ELb1EEEvllPKT_S7_PKT0_SA_PS5_SB_: ; @_ZN2at6native12_GLOBAL__N_135GammaBetaBackwardCUDAKernelTemplateIN3c104HalfEfLj64ELj8ELj64ELb0ELb1ELb1EEEvllPKT_S7_PKT0_SA_PS5_SB_
; %bb.0:
	s_load_b128 s[4:7], s[0:1], 0x0
	s_bfe_u32 s2, ttmp6, 0x40010
	s_bfe_u32 s3, ttmp6, 0x40004
	s_add_co_i32 s2, s2, 1
	s_getreg_b32 s20, hwreg(HW_REG_IB_STS2, 6, 4)
	s_mul_i32 s2, ttmp7, s2
	s_mov_b32 s13, 0
	s_add_co_i32 s3, s3, s2
	s_cmp_eq_u32 s20, 0
	v_bfe_u32 v9, v0, 10, 10
	s_cselect_b32 s2, ttmp7, s3
	s_delay_alu instid0(SALU_CYCLE_1)
	s_lshl_b32 s12, s2, 6
	s_wait_kmcnt 0x0
	v_cmp_gt_i64_e64 s2, s[4:5], s[12:13]
	s_and_b32 vcc_lo, exec_lo, s2
	s_cbranch_vccnz .LBB169_2
; %bb.1:
	v_bfe_u32 v1, v0, 10, 10
	s_mov_b32 s2, s13
	v_and_b32_e32 v8, 0x3ff, v0
	v_mov_b32_e32 v16, 0
	s_and_not1_b32 vcc_lo, exec_lo, s2
	s_cbranch_vccz .LBB169_3
	s_branch .LBB169_10
.LBB169_2:
                                        ; implicit-def: $vgpr1
	v_and_b32_e32 v8, 0x3ff, v0
	v_mov_b32_e32 v16, 0
.LBB169_3:
	v_dual_mov_b32 v1, 0 :: v_dual_lshlrev_b32 v0, 3, v9
	s_load_b32 s2, s[0:1], 0x4c
	s_bfe_u32 s14, ttmp6, 0x4000c
	s_clause 0x2
	s_load_b32 s3, s[0:1], 0x44
	s_load_b128 s[8:11], s[0:1], 0x10
	s_load_b64 s[16:17], s[0:1], 0x28
	s_add_co_i32 s14, s14, 1
	v_add_nc_u64_e32 v[2:3], s[12:13], v[0:1]
	s_and_b32 s18, ttmp6, 15
	s_mul_i32 s14, ttmp9, s14
	v_dual_mov_b32 v5, v1 :: v_dual_mov_b32 v15, v1
	s_add_co_i32 s18, s18, s14
	s_mov_b32 s15, 0
	s_delay_alu instid0(VALU_DEP_2)
	v_mul_u64_e32 v[6:7], s[6:7], v[2:3]
	v_dual_mov_b32 v0, 8 :: v_dual_mov_b32 v10, 4
	v_dual_mov_b32 v12, 16 :: v_dual_mov_b32 v13, 20
	v_mov_b32_e32 v11, 12
	s_wait_kmcnt 0x0
	s_and_b32 s2, s2, 0xffff
	s_cmp_eq_u32 s20, 0
	v_mad_u32_u24 v4, v9, s2, v8
	s_cselect_b32 s2, ttmp9, s18
	s_lshl_b32 s14, s3, 6
	v_lshl_add_u32 v14, s2, 6, v8
	s_mul_u64 s[18:19], s[6:7], s[14:15]
	v_and_b32_e32 v4, 31, v4
	s_lshl_b64 s[18:19], s[18:19], 1
	s_lshl_b64 s[6:7], s[6:7], 1
	v_lshlrev_b64_e32 v[16:17], 1, v[14:15]
	v_dual_mov_b32 v14, 24 :: v_dual_mov_b32 v15, 28
	v_add_nc_u64_e32 v[2:3], v[2:3], v[4:5]
	v_cmp_gt_u32_e64 s2, 8, v4
	s_delay_alu instid0(VALU_DEP_2)
	v_lshl_add_u64 v[4:5], v[2:3], 2, s[16:17]
	s_lshl_b64 s[16:17], s[14:15], 2
	v_lshl_add_u64 v[6:7], v[6:7], 1, v[16:17]
	v_mov_b32_e32 v16, 0
	s_branch .LBB169_6
.LBB169_4:                              ;   in Loop: Header=BB169_6 Depth=1
	s_wait_xcnt 0x0
	s_or_b32 exec_lo, exec_lo, s21
.LBB169_5:                              ;   in Loop: Header=BB169_6 Depth=1
	s_delay_alu instid0(SALU_CYCLE_1)
	s_or_b32 exec_lo, exec_lo, s3
	v_add_nc_u64_e32 v[18:19], s[8:9], v[6:7]
	v_add_nc_u64_e32 v[20:21], s[10:11], v[6:7]
	s_add_nc_u64 s[12:13], s[12:13], s[14:15]
	v_add_nc_u64_e32 v[4:5], s[16:17], v[4:5]
	v_cmp_lt_i64_e64 s3, s[12:13], s[4:5]
	v_add_nc_u64_e32 v[2:3], s[14:15], v[2:3]
	v_add_nc_u64_e32 v[6:7], s[18:19], v[6:7]
	;; [unrolled: 1-line block ×4, first 2 shown]
	global_load_u16 v30, v[18:19], off
	global_load_u16 v31, v[20:21], off
	;; [unrolled: 1-line block ×4, first 2 shown]
	s_and_b32 vcc_lo, exec_lo, s3
	v_add_nc_u64_e32 v[26:27], s[6:7], v[22:23]
	v_add_nc_u64_e32 v[28:29], s[6:7], v[24:25]
	global_load_u16 v34, v[26:27], off
	global_load_u16 v35, v[28:29], off
	s_wait_xcnt 0x5
	v_add_nc_u64_e32 v[18:19], s[6:7], v[26:27]
	s_wait_xcnt 0x4
	v_add_nc_u64_e32 v[20:21], s[6:7], v[28:29]
	global_load_u16 v27, v[18:19], off
	global_load_u16 v28, v[20:21], off
	v_add_nc_u64_e32 v[22:23], s[6:7], v[18:19]
	v_add_nc_u64_e32 v[24:25], s[6:7], v[20:21]
	global_load_u16 v29, v[22:23], off
	global_load_u16 v36, v[24:25], off
	s_wait_xcnt 0x3
	v_add_nc_u64_e32 v[18:19], s[6:7], v[22:23]
	s_wait_xcnt 0x2
	v_add_nc_u64_e32 v[20:21], s[6:7], v[24:25]
	global_load_u16 v37, v[18:19], off
	global_load_u16 v38, v[20:21], off
	s_wait_xcnt 0x3
	v_add_nc_u64_e32 v[22:23], s[6:7], v[18:19]
	s_wait_xcnt 0x2
	v_add_nc_u64_e32 v[24:25], s[6:7], v[20:21]
	s_wait_xcnt 0x1
	s_delay_alu instid0(VALU_DEP_2) | instskip(SKIP_1) | instid1(VALU_DEP_2)
	v_add_nc_u64_e32 v[18:19], s[6:7], v[22:23]
	s_wait_xcnt 0x0
	v_add_nc_u64_e32 v[20:21], s[6:7], v[24:25]
	global_load_u16 v39, v[22:23], off
	global_load_u16 v40, v[24:25], off
	;; [unrolled: 1-line block ×4, first 2 shown]
	s_wait_loadcnt 0x10
	s_wait_xcnt 0x1
	ds_bpermute_b32 v18, v1, v17
	ds_bpermute_b32 v19, v10, v17
	;; [unrolled: 1-line block ×4, first 2 shown]
	s_wait_loadcnt 0xf
	s_wait_xcnt 0x0
	v_cvt_f32_f16_e32 v20, v30
	s_wait_loadcnt 0xe
	v_cvt_f32_f16_e32 v22, v31
	s_wait_loadcnt 0xd
	;; [unrolled: 2-line block ×3, first 2 shown]
	v_cvt_f32_f16_e32 v23, v33
	s_delay_alu instid0(VALU_DEP_1)
	v_pk_mul_f32 v[20:21], v[20:21], v[22:23]
	s_wait_loadcnt 0xb
	v_cvt_f32_f16_e32 v22, v34
	s_wait_loadcnt 0xa
	v_cvt_f32_f16_e32 v26, v35
	s_wait_dscnt 0x2
	v_pk_mul_f32 v[18:19], v[20:21], v[18:19]
	ds_bpermute_b32 v20, v12, v17
	ds_bpermute_b32 v21, v13, v17
	s_wait_loadcnt 0x9
	v_cvt_f32_f16_e32 v23, v27
	s_wait_loadcnt 0x8
	v_cvt_f32_f16_e32 v27, v28
	s_delay_alu instid0(VALU_DEP_1) | instskip(SKIP_1) | instid1(VALU_DEP_1)
	v_pk_mul_f32 v[22:23], v[22:23], v[26:27]
	s_wait_dscnt 0x2
	v_pk_mul_f32 v[22:23], v[22:23], v[24:25]
	v_add_f32_e32 v18, v16, v18
	ds_bpermute_b32 v16, v14, v17
	s_wait_loadcnt 0x6
	v_cvt_f32_f16_e32 v24, v36
	ds_bpermute_b32 v17, v15, v17
	v_add_f32_e32 v26, v18, v19
	v_cvt_f32_f16_e32 v18, v29
	s_wait_loadcnt 0x5
	v_cvt_f32_f16_e32 v19, v37
	s_wait_loadcnt 0x4
	v_cvt_f32_f16_e32 v25, v38
	v_add_f32_e32 v22, v26, v22
	s_delay_alu instid0(VALU_DEP_2) | instskip(NEXT) | instid1(VALU_DEP_2)
	v_pk_mul_f32 v[18:19], v[18:19], v[24:25]
	v_add_f32_e32 v26, v22, v23
	s_wait_loadcnt 0x3
	v_cvt_f32_f16_e32 v22, v39
	s_wait_loadcnt 0x2
	v_cvt_f32_f16_e32 v24, v40
	s_wait_dscnt 0x2
	v_pk_mul_f32 v[18:19], v[18:19], v[20:21]
	s_wait_loadcnt 0x1
	v_cvt_f32_f16_e32 v23, v41
	s_wait_loadcnt 0x0
	v_cvt_f32_f16_e32 v25, v42
	v_add_f32_e32 v18, v26, v18
	s_delay_alu instid0(VALU_DEP_2) | instskip(NEXT) | instid1(VALU_DEP_2)
	v_pk_mul_f32 v[20:21], v[22:23], v[24:25]
	v_add_f32_e32 v18, v18, v19
	s_wait_dscnt 0x0
	s_delay_alu instid0(VALU_DEP_2) | instskip(NEXT) | instid1(VALU_DEP_1)
	v_pk_mul_f32 v[16:17], v[20:21], v[16:17]
	v_add_f32_e32 v16, v18, v16
	s_delay_alu instid0(VALU_DEP_1)
	v_add_f32_e32 v16, v16, v17
	s_cbranch_vccz .LBB169_9
.LBB169_6:                              ; =>This Inner Loop Header: Depth=1
	v_mov_b32_e32 v17, 0
	s_and_saveexec_b32 s3, s2
	s_cbranch_execz .LBB169_5
; %bb.7:                                ;   in Loop: Header=BB169_6 Depth=1
	v_mov_b32_e32 v17, 0
	s_mov_b32 s21, exec_lo
	v_cmpx_gt_i64_e64 s[4:5], v[2:3]
	s_cbranch_execz .LBB169_4
; %bb.8:                                ;   in Loop: Header=BB169_6 Depth=1
	global_load_b32 v17, v[4:5], off
	s_branch .LBB169_4
.LBB169_9:
	v_mov_b32_e32 v1, v9
.LBB169_10:
	s_load_b64 s[2:3], s[0:1], 0x30
	s_delay_alu instid0(VALU_DEP_1) | instskip(SKIP_3) | instid1(VALU_DEP_2)
	v_mad_u32_u24 v0, 0x41, v1, v8
	v_mov_b32_e32 v3, 0
	s_wait_xcnt 0x0
	s_mov_b32 s0, exec_lo
	v_lshl_add_u32 v2, v0, 2, 0
	v_sub_nc_u32_e32 v1, v0, v1
	ds_store_b32 v2, v16
	ds_store_b32 v2, v3 offset:2080
	s_wait_dscnt 0x0
	s_barrier_signal -1
	s_barrier_wait -1
	v_cmpx_gt_u32_e32 0x800, v1
	s_cbranch_execz .LBB169_30
; %bb.11:
	v_dual_lshrrev_b32 v0, 5, v1 :: v_dual_bitop2_b32 v2, 31, v8 bitop3:0x40
                                        ; implicit-def: $vgpr5
	s_delay_alu instid0(VALU_DEP_1)
	v_cmp_gt_u32_e32 vcc_lo, 8, v2
	v_mul_u32_u24_e32 v2, 0x41, v2
	s_and_saveexec_b32 s0, vcc_lo
; %bb.12:
	s_delay_alu instid0(VALU_DEP_1) | instskip(NEXT) | instid1(VALU_DEP_1)
	v_dual_lshlrev_b32 v3, 2, v0 :: v_dual_lshlrev_b32 v4, 2, v2
	v_add3_u32 v3, 0, v3, v4
	ds_load_b32 v5, v3
; %bb.13:
	s_or_b32 exec_lo, exec_lo, s0
	v_mbcnt_lo_u32_b32 v6, -1, 0
	s_wait_kmcnt 0x0
	s_cmp_lg_u64 s[2:3], 0
	s_cselect_b32 s1, -1, 0
	s_bfe_u32 s4, ttmp6, 0x4000c
	v_xor_b32_e32 v4, 2, v6
	v_xor_b32_e32 v3, 4, v6
	s_add_co_i32 s4, s4, 1
	s_and_b32 s5, ttmp6, 15
	s_mul_i32 s4, ttmp9, s4
	v_xor_b32_e32 v9, 1, v6
	v_cmp_gt_i32_e64 s0, 32, v3
	s_delay_alu instid0(VALU_DEP_1) | instskip(SKIP_1) | instid1(VALU_DEP_1)
	v_cndmask_b32_e64 v3, v6, v3, s0
	v_cmp_gt_i32_e64 s0, 32, v4
	v_cndmask_b32_e64 v4, v6, v4, s0
	v_cmp_gt_i32_e64 s0, 32, v9
	s_delay_alu instid0(VALU_DEP_2)
	v_dual_lshlrev_b32 v4, 2, v4 :: v_dual_lshlrev_b32 v3, 2, v3
	s_wait_dscnt 0x0
	ds_bpermute_b32 v7, v3, v5
	s_wait_dscnt 0x0
	v_add_f32_e32 v5, v5, v7
	ds_bpermute_b32 v7, v4, v5
	v_cndmask_b32_e64 v6, v6, v9, s0
	v_cmp_eq_u32_e64 s0, 0, v8
	s_and_b32 s1, s0, s1
	s_add_co_i32 s0, s5, s4
	s_cmp_eq_u32 s20, 0
	s_mov_b32 s5, 0
	s_cselect_b32 s4, ttmp9, s0
	s_delay_alu instid0(SALU_CYCLE_1) | instskip(NEXT) | instid1(SALU_CYCLE_1)
	s_lshl_b64 s[4:5], s[4:5], 7
	s_add_nc_u64 s[2:3], s[2:3], s[4:5]
	s_wait_dscnt 0x0
	v_dual_add_f32 v7, v5, v7 :: v_dual_lshlrev_b32 v5, 2, v6
	ds_bpermute_b32 v6, v5, v7
	s_wait_dscnt 0x0
	v_add_f32_e32 v6, v7, v6
	s_and_saveexec_b32 s0, s1
	s_cbranch_execz .LBB169_15
; %bb.14:
	s_delay_alu instid0(VALU_DEP_1)
	v_cvt_f16_f32_e32 v7, v6
	global_store_b16 v0, v7, s[2:3] scale_offset
.LBB169_15:
	s_wait_xcnt 0x0
	s_or_b32 exec_lo, exec_lo, s0
	v_cmp_gt_u32_e64 s0, 0x600, v1
	s_and_b32 exec_lo, exec_lo, s0
	s_cbranch_execz .LBB169_30
; %bb.16:
	s_and_saveexec_b32 s0, vcc_lo
; %bb.17:
	v_dual_lshlrev_b32 v6, 2, v0 :: v_dual_lshlrev_b32 v7, 2, v2
	s_delay_alu instid0(VALU_DEP_1)
	v_add3_u32 v6, 0, v6, v7
	ds_load_b32 v6, v6 offset:64
; %bb.18:
	s_or_b32 exec_lo, exec_lo, s0
	s_wait_dscnt 0x0
	ds_bpermute_b32 v7, v3, v6
	s_wait_dscnt 0x0
	v_add_f32_e32 v6, v6, v7
	ds_bpermute_b32 v7, v4, v6
	s_wait_dscnt 0x0
	v_add_f32_e32 v6, v6, v7
	;; [unrolled: 3-line block ×3, first 2 shown]
	s_and_saveexec_b32 s0, s1
	s_cbranch_execz .LBB169_20
; %bb.19:
	s_delay_alu instid0(VALU_DEP_1)
	v_cvt_f16_f32_e32 v7, v6
	global_store_b16 v0, v7, s[2:3] offset:32 scale_offset
.LBB169_20:
	s_wait_xcnt 0x0
	s_or_b32 exec_lo, exec_lo, s0
	v_cmp_gt_u32_e64 s0, 0x400, v1
	s_and_b32 exec_lo, exec_lo, s0
	s_cbranch_execz .LBB169_30
; %bb.21:
	s_and_saveexec_b32 s0, vcc_lo
; %bb.22:
	v_dual_lshlrev_b32 v6, 2, v0 :: v_dual_lshlrev_b32 v7, 2, v2
	s_delay_alu instid0(VALU_DEP_1)
	v_add3_u32 v6, 0, v6, v7
	ds_load_b32 v6, v6 offset:128
; %bb.23:
	s_or_b32 exec_lo, exec_lo, s0
	s_wait_dscnt 0x0
	ds_bpermute_b32 v7, v3, v6
	s_wait_dscnt 0x0
	v_add_f32_e32 v6, v6, v7
	ds_bpermute_b32 v7, v4, v6
	s_wait_dscnt 0x0
	v_add_f32_e32 v6, v6, v7
	ds_bpermute_b32 v7, v5, v6
	s_wait_dscnt 0x0
	v_add_f32_e32 v6, v6, v7
	s_and_saveexec_b32 s0, s1
	s_cbranch_execz .LBB169_25
; %bb.24:
	s_delay_alu instid0(VALU_DEP_1)
	v_cvt_f16_f32_e32 v7, v6
	global_store_b16 v0, v7, s[2:3] offset:64 scale_offset
.LBB169_25:
	s_wait_xcnt 0x0
	s_or_b32 exec_lo, exec_lo, s0
	v_cmp_gt_u32_e64 s0, 0x200, v1
	s_and_b32 exec_lo, exec_lo, s0
	s_cbranch_execz .LBB169_30
; %bb.26:
	s_and_saveexec_b32 s0, vcc_lo
; %bb.27:
	v_dual_lshlrev_b32 v1, 2, v0 :: v_dual_lshlrev_b32 v2, 2, v2
	s_delay_alu instid0(VALU_DEP_1)
	v_add3_u32 v1, 0, v1, v2
	ds_load_b32 v6, v1 offset:192
; %bb.28:
	s_or_b32 exec_lo, exec_lo, s0
	s_wait_dscnt 0x0
	ds_bpermute_b32 v1, v3, v6
	s_wait_dscnt 0x0
	v_add_f32_e32 v1, v6, v1
	ds_bpermute_b32 v2, v4, v1
	s_wait_dscnt 0x0
	v_add_f32_e32 v1, v1, v2
	ds_bpermute_b32 v2, v5, v1
	s_and_saveexec_b32 s0, s1
	s_delay_alu instid0(SALU_CYCLE_1)
	s_xor_b32 s0, exec_lo, s0
	s_cbranch_execz .LBB169_30
; %bb.29:
	s_wait_dscnt 0x0
	v_add_f32_e32 v1, v1, v2
	s_delay_alu instid0(VALU_DEP_1)
	v_cvt_f16_f32_e32 v1, v1
	global_store_b16 v0, v1, s[2:3] offset:96 scale_offset
.LBB169_30:
	s_endpgm
	.section	.rodata,"a",@progbits
	.p2align	6, 0x0
	.amdhsa_kernel _ZN2at6native12_GLOBAL__N_135GammaBetaBackwardCUDAKernelTemplateIN3c104HalfEfLj64ELj8ELj64ELb0ELb1ELb1EEEvllPKT_S7_PKT0_SA_PS5_SB_
		.amdhsa_group_segment_fixed_size 0
		.amdhsa_private_segment_fixed_size 0
		.amdhsa_kernarg_size 320
		.amdhsa_user_sgpr_count 2
		.amdhsa_user_sgpr_dispatch_ptr 0
		.amdhsa_user_sgpr_queue_ptr 0
		.amdhsa_user_sgpr_kernarg_segment_ptr 1
		.amdhsa_user_sgpr_dispatch_id 0
		.amdhsa_user_sgpr_kernarg_preload_length 0
		.amdhsa_user_sgpr_kernarg_preload_offset 0
		.amdhsa_user_sgpr_private_segment_size 0
		.amdhsa_wavefront_size32 1
		.amdhsa_uses_dynamic_stack 0
		.amdhsa_enable_private_segment 0
		.amdhsa_system_sgpr_workgroup_id_x 1
		.amdhsa_system_sgpr_workgroup_id_y 1
		.amdhsa_system_sgpr_workgroup_id_z 0
		.amdhsa_system_sgpr_workgroup_info 0
		.amdhsa_system_vgpr_workitem_id 1
		.amdhsa_next_free_vgpr 43
		.amdhsa_next_free_sgpr 22
		.amdhsa_named_barrier_count 0
		.amdhsa_reserve_vcc 1
		.amdhsa_float_round_mode_32 0
		.amdhsa_float_round_mode_16_64 0
		.amdhsa_float_denorm_mode_32 3
		.amdhsa_float_denorm_mode_16_64 3
		.amdhsa_fp16_overflow 0
		.amdhsa_memory_ordered 1
		.amdhsa_forward_progress 1
		.amdhsa_inst_pref_size 16
		.amdhsa_round_robin_scheduling 0
		.amdhsa_exception_fp_ieee_invalid_op 0
		.amdhsa_exception_fp_denorm_src 0
		.amdhsa_exception_fp_ieee_div_zero 0
		.amdhsa_exception_fp_ieee_overflow 0
		.amdhsa_exception_fp_ieee_underflow 0
		.amdhsa_exception_fp_ieee_inexact 0
		.amdhsa_exception_int_div_zero 0
	.end_amdhsa_kernel
	.section	.text._ZN2at6native12_GLOBAL__N_135GammaBetaBackwardCUDAKernelTemplateIN3c104HalfEfLj64ELj8ELj64ELb0ELb1ELb1EEEvllPKT_S7_PKT0_SA_PS5_SB_,"axG",@progbits,_ZN2at6native12_GLOBAL__N_135GammaBetaBackwardCUDAKernelTemplateIN3c104HalfEfLj64ELj8ELj64ELb0ELb1ELb1EEEvllPKT_S7_PKT0_SA_PS5_SB_,comdat
.Lfunc_end169:
	.size	_ZN2at6native12_GLOBAL__N_135GammaBetaBackwardCUDAKernelTemplateIN3c104HalfEfLj64ELj8ELj64ELb0ELb1ELb1EEEvllPKT_S7_PKT0_SA_PS5_SB_, .Lfunc_end169-_ZN2at6native12_GLOBAL__N_135GammaBetaBackwardCUDAKernelTemplateIN3c104HalfEfLj64ELj8ELj64ELb0ELb1ELb1EEEvllPKT_S7_PKT0_SA_PS5_SB_
                                        ; -- End function
	.set _ZN2at6native12_GLOBAL__N_135GammaBetaBackwardCUDAKernelTemplateIN3c104HalfEfLj64ELj8ELj64ELb0ELb1ELb1EEEvllPKT_S7_PKT0_SA_PS5_SB_.num_vgpr, 43
	.set _ZN2at6native12_GLOBAL__N_135GammaBetaBackwardCUDAKernelTemplateIN3c104HalfEfLj64ELj8ELj64ELb0ELb1ELb1EEEvllPKT_S7_PKT0_SA_PS5_SB_.num_agpr, 0
	.set _ZN2at6native12_GLOBAL__N_135GammaBetaBackwardCUDAKernelTemplateIN3c104HalfEfLj64ELj8ELj64ELb0ELb1ELb1EEEvllPKT_S7_PKT0_SA_PS5_SB_.numbered_sgpr, 22
	.set _ZN2at6native12_GLOBAL__N_135GammaBetaBackwardCUDAKernelTemplateIN3c104HalfEfLj64ELj8ELj64ELb0ELb1ELb1EEEvllPKT_S7_PKT0_SA_PS5_SB_.num_named_barrier, 0
	.set _ZN2at6native12_GLOBAL__N_135GammaBetaBackwardCUDAKernelTemplateIN3c104HalfEfLj64ELj8ELj64ELb0ELb1ELb1EEEvllPKT_S7_PKT0_SA_PS5_SB_.private_seg_size, 0
	.set _ZN2at6native12_GLOBAL__N_135GammaBetaBackwardCUDAKernelTemplateIN3c104HalfEfLj64ELj8ELj64ELb0ELb1ELb1EEEvllPKT_S7_PKT0_SA_PS5_SB_.uses_vcc, 1
	.set _ZN2at6native12_GLOBAL__N_135GammaBetaBackwardCUDAKernelTemplateIN3c104HalfEfLj64ELj8ELj64ELb0ELb1ELb1EEEvllPKT_S7_PKT0_SA_PS5_SB_.uses_flat_scratch, 0
	.set _ZN2at6native12_GLOBAL__N_135GammaBetaBackwardCUDAKernelTemplateIN3c104HalfEfLj64ELj8ELj64ELb0ELb1ELb1EEEvllPKT_S7_PKT0_SA_PS5_SB_.has_dyn_sized_stack, 0
	.set _ZN2at6native12_GLOBAL__N_135GammaBetaBackwardCUDAKernelTemplateIN3c104HalfEfLj64ELj8ELj64ELb0ELb1ELb1EEEvllPKT_S7_PKT0_SA_PS5_SB_.has_recursion, 0
	.set _ZN2at6native12_GLOBAL__N_135GammaBetaBackwardCUDAKernelTemplateIN3c104HalfEfLj64ELj8ELj64ELb0ELb1ELb1EEEvllPKT_S7_PKT0_SA_PS5_SB_.has_indirect_call, 0
	.section	.AMDGPU.csdata,"",@progbits
; Kernel info:
; codeLenInByte = 1956
; TotalNumSgprs: 24
; NumVgprs: 43
; ScratchSize: 0
; MemoryBound: 0
; FloatMode: 240
; IeeeMode: 1
; LDSByteSize: 0 bytes/workgroup (compile time only)
; SGPRBlocks: 0
; VGPRBlocks: 2
; NumSGPRsForWavesPerEU: 24
; NumVGPRsForWavesPerEU: 43
; NamedBarCnt: 0
; Occupancy: 16
; WaveLimiterHint : 0
; COMPUTE_PGM_RSRC2:SCRATCH_EN: 0
; COMPUTE_PGM_RSRC2:USER_SGPR: 2
; COMPUTE_PGM_RSRC2:TRAP_HANDLER: 0
; COMPUTE_PGM_RSRC2:TGID_X_EN: 1
; COMPUTE_PGM_RSRC2:TGID_Y_EN: 1
; COMPUTE_PGM_RSRC2:TGID_Z_EN: 0
; COMPUTE_PGM_RSRC2:TIDIG_COMP_CNT: 1
	.section	.text._ZN2at6native12_GLOBAL__N_135GammaBetaBackwardCUDAKernelTemplateIN3c104HalfEfLj64ELj8ELj64ELb0ELb0ELb1EEEvllPKT_S7_PKT0_SA_PS5_SB_,"axG",@progbits,_ZN2at6native12_GLOBAL__N_135GammaBetaBackwardCUDAKernelTemplateIN3c104HalfEfLj64ELj8ELj64ELb0ELb0ELb1EEEvllPKT_S7_PKT0_SA_PS5_SB_,comdat
	.globl	_ZN2at6native12_GLOBAL__N_135GammaBetaBackwardCUDAKernelTemplateIN3c104HalfEfLj64ELj8ELj64ELb0ELb0ELb1EEEvllPKT_S7_PKT0_SA_PS5_SB_ ; -- Begin function _ZN2at6native12_GLOBAL__N_135GammaBetaBackwardCUDAKernelTemplateIN3c104HalfEfLj64ELj8ELj64ELb0ELb0ELb1EEEvllPKT_S7_PKT0_SA_PS5_SB_
	.p2align	8
	.type	_ZN2at6native12_GLOBAL__N_135GammaBetaBackwardCUDAKernelTemplateIN3c104HalfEfLj64ELj8ELj64ELb0ELb0ELb1EEEvllPKT_S7_PKT0_SA_PS5_SB_,@function
_ZN2at6native12_GLOBAL__N_135GammaBetaBackwardCUDAKernelTemplateIN3c104HalfEfLj64ELj8ELj64ELb0ELb0ELb1EEEvllPKT_S7_PKT0_SA_PS5_SB_: ; @_ZN2at6native12_GLOBAL__N_135GammaBetaBackwardCUDAKernelTemplateIN3c104HalfEfLj64ELj8ELj64ELb0ELb0ELb1EEEvllPKT_S7_PKT0_SA_PS5_SB_
; %bb.0:
	s_load_b256 s[4:11], s[0:1], 0x0
	s_bfe_u32 s3, ttmp6, 0x4000c
	s_bfe_u32 s12, ttmp6, 0x40010
	s_add_co_i32 s3, s3, 1
	s_add_co_i32 s12, s12, 1
	s_and_b32 s2, ttmp6, 15
	s_bfe_u32 s13, ttmp6, 0x40004
	s_mul_i32 s3, ttmp9, s3
	s_mul_i32 s12, ttmp7, s12
	s_getreg_b32 s14, hwreg(HW_REG_IB_STS2, 6, 4)
	s_add_co_i32 s2, s2, s3
	s_add_co_i32 s13, s13, s12
	s_cmp_eq_u32 s14, 0
	s_mov_b32 s17, 0
	s_cselect_b32 s12, ttmp9, s2
	s_cselect_b32 s2, ttmp7, s13
	s_lshl_b32 s3, s12, 6
	s_load_b64 s[14:15], s[0:1], 0x28
	s_or_b32 s16, s3, 63
	s_wait_kmcnt 0x0
	v_cmp_le_i64_e64 s18, s[6:7], s[16:17]
	s_lshl_b32 s16, s2, 6
	s_delay_alu instid0(SALU_CYCLE_1) | instskip(SKIP_2) | instid1(VALU_DEP_1)
	v_cmp_gt_i64_e64 s13, s[4:5], s[16:17]
	s_and_b32 vcc_lo, exec_lo, s18
	v_cndmask_b32_e64 v1, 0, 1, s13
	v_cmp_ne_u32_e64 s2, 1, v1
	s_cbranch_vccz .LBB170_49
; %bb.1:
	v_mov_b32_e32 v3, 0
	s_and_b32 vcc_lo, exec_lo, s2
	s_cbranch_vccnz .LBB170_50
; %bb.2:
	v_bfe_u32 v1, v0, 10, 10
	v_mov_b32_e32 v2, 0
	v_and_b32_e32 v58, 0x3ff, v0
	s_load_b32 s18, s[0:1], 0x44
	s_mov_b32 s19, 0
	s_delay_alu instid0(VALU_DEP_2) | instskip(NEXT) | instid1(VALU_DEP_2)
	v_dual_mov_b32 v21, v2 :: v_dual_lshlrev_b32 v20, 3, v1
	v_dual_mov_b32 v19, v2 :: v_dual_add_nc_u32 v18, s3, v58
	v_mov_b32_e32 v59, 0
	s_mov_b32 s35, s19
	s_delay_alu instid0(VALU_DEP_3)
	v_add_nc_u64_e32 v[4:5], s[16:17], v[20:21]
	s_add_nc_u64 s[20:21], s[0:1], 64
	v_cmp_gt_i64_e64 s2, s[6:7], v[18:19]
	v_lshlrev_b64_e32 v[22:23], 1, v[18:19]
	s_mov_b64 s[22:23], 0xffffffffffffffc1
	s_mov_b64 s[24:25], 0xffffffffffffffc2
	;; [unrolled: 1-line block ×3, first 2 shown]
	v_mul_u64_e32 v[6:7], s[6:7], v[4:5]
	v_add_nc_u64_e32 v[8:9], 7, v[4:5]
	v_add_nc_u64_e32 v[10:11], 6, v[4:5]
	;; [unrolled: 1-line block ×6, first 2 shown]
	s_wait_kmcnt 0x0
	s_lshl_b32 s34, s18, 6
	v_mul_u64_e32 v[8:9], s[6:7], v[8:9]
	v_mul_u64_e32 v[10:11], s[6:7], v[10:11]
	;; [unrolled: 1-line block ×6, first 2 shown]
	s_mul_u64 s[42:43], s[6:7], s[34:35]
	s_mov_b64 s[28:29], 0xffffffffffffffc4
	s_mov_b64 s[30:31], 0xffffffffffffffc5
	;; [unrolled: 1-line block ×5, first 2 shown]
	s_lshl_b64 s[42:43], s[42:43], 1
	s_add_nc_u64 s[44:45], s[16:17], 63
	s_mov_b64 s[46:47], s[16:17]
	v_lshlrev_b64_e32 v[26:27], 1, v[6:7]
	v_add_nc_u64_e32 v[6:7], s[6:7], v[6:7]
	s_delay_alu instid0(VALU_DEP_2)
	v_add_nc_u64_e32 v[24:25], s[8:9], v[26:27]
	v_lshlrev_b64_e32 v[8:9], 1, v[8:9]
	v_lshlrev_b64_e32 v[10:11], 1, v[10:11]
	;; [unrolled: 1-line block ×7, first 2 shown]
	v_add_nc_u64_e32 v[26:27], s[10:11], v[26:27]
	v_add_nc_u64_e32 v[28:29], s[8:9], v[8:9]
	;; [unrolled: 1-line block ×15, first 2 shown]
.LBB170_3:                              ; =>This Inner Loop Header: Depth=1
	v_cmp_ge_i64_e64 s18, s[44:45], s[4:5]
	v_add_nc_u64_e32 v[56:57], s[44:45], v[20:21]
                                        ; implicit-def: $vgpr4_vgpr5_vgpr6_vgpr7_vgpr8_vgpr9_vgpr10_vgpr11
                                        ; implicit-def: $vgpr3
                                        ; implicit-def: $vgpr12_vgpr13_vgpr14_vgpr15_vgpr16_vgpr17_vgpr18_vgpr19
                                        ; implicit-def: $vgpr4
	s_and_b32 vcc_lo, exec_lo, s18
	s_mov_b32 s18, -1
	s_cbranch_vccz .LBB170_25
; %bb.4:                                ;   in Loop: Header=BB170_3 Depth=1
	s_load_b32 s18, s[20:21], 0xc
	v_mov_b32_e32 v60, 0
	s_wait_kmcnt 0x0
	s_and_b32 s18, s18, 0xffff
	s_delay_alu instid0(SALU_CYCLE_1) | instskip(SKIP_1) | instid1(VALU_DEP_1)
	v_mad_u32_u24 v3, v1, s18, v58
	s_mov_b32 s18, exec_lo
	v_and_b32_e32 v4, 31, v3
	s_delay_alu instid0(VALU_DEP_1)
	v_cmpx_gt_u32_e32 8, v4
	s_cbranch_execz .LBB170_8
; %bb.5:                                ;   in Loop: Header=BB170_3 Depth=1
	v_dual_mov_b32 v5, v2 :: v_dual_mov_b32 v60, 0
	s_mov_b32 s33, exec_lo
	s_delay_alu instid0(VALU_DEP_1) | instskip(NEXT) | instid1(VALU_DEP_1)
	v_add_nc_u64_e32 v[4:5], v[56:57], v[4:5]
	v_add_nc_u64_e32 v[4:5], s[22:23], v[4:5]
	s_delay_alu instid0(VALU_DEP_1)
	v_cmpx_gt_i64_e64 s[4:5], v[4:5]
	s_cbranch_execz .LBB170_7
; %bb.6:                                ;   in Loop: Header=BB170_3 Depth=1
	v_lshl_add_u64 v[4:5], v[4:5], 2, s[14:15]
	global_load_b32 v60, v[4:5], off
.LBB170_7:                              ;   in Loop: Header=BB170_3 Depth=1
	s_wait_xcnt 0x0
	s_or_b32 exec_lo, exec_lo, s33
.LBB170_8:                              ;   in Loop: Header=BB170_3 Depth=1
	s_delay_alu instid0(SALU_CYCLE_1)
	s_or_b32 exec_lo, exec_lo, s18
	v_add_nc_u64_e32 v[10:11], s[22:23], v[56:57]
	v_dual_mov_b32 v7, v2 :: v_dual_mov_b32 v8, v2
	v_dual_mov_b32 v9, v2 :: v_dual_mov_b32 v3, v2
	;; [unrolled: 1-line block ×3, first 2 shown]
	v_mov_b32_e32 v6, v2
	v_cmp_gt_i64_e32 vcc_lo, s[4:5], v[10:11]
	s_delay_alu instid0(VALU_DEP_4)
	v_mov_b64_e32 v[18:19], v[8:9]
	v_mov_b64_e32 v[12:13], v[2:3]
	;; [unrolled: 1-line block ×8, first 2 shown]
	s_and_b32 s33, s2, vcc_lo
	s_delay_alu instid0(SALU_CYCLE_1)
	s_and_saveexec_b32 s18, s33
	s_cbranch_execz .LBB170_10
; %bb.9:                                ;   in Loop: Header=BB170_3 Depth=1
	v_add_nc_u64_e32 v[4:5], v[24:25], v[22:23]
	v_add_nc_u64_e32 v[6:7], v[26:27], v[22:23]
	v_dual_mov_b32 v9, v2 :: v_dual_mov_b32 v10, v2
	v_dual_mov_b32 v11, v2 :: v_dual_mov_b32 v13, v2
	;; [unrolled: 1-line block ×3, first 2 shown]
	global_load_u16 v3, v[4:5], off
	global_load_u16 v12, v[6:7], off
	s_wait_xcnt 0x0
	v_dual_mov_b32 v5, v2 :: v_dual_mov_b32 v6, v2
	v_dual_mov_b32 v7, v2 :: v_dual_mov_b32 v8, v2
	;; [unrolled: 1-line block ×4, first 2 shown]
	s_wait_loadcnt 0x1
	v_cvt_f32_f16_e32 v4, v3
	s_wait_loadcnt 0x0
	v_cvt_f32_f16_e32 v12, v12
.LBB170_10:                             ;   in Loop: Header=BB170_3 Depth=1
	s_or_b32 exec_lo, exec_lo, s18
	v_add_nc_u64_e32 v[62:63], s[24:25], v[56:57]
	s_delay_alu instid0(VALU_DEP_1) | instskip(SKIP_1) | instid1(SALU_CYCLE_1)
	v_cmp_gt_i64_e32 vcc_lo, s[4:5], v[62:63]
	s_and_b32 s33, s2, vcc_lo
	s_and_saveexec_b32 s18, s33
	s_cbranch_execz .LBB170_12
; %bb.11:                               ;   in Loop: Header=BB170_3 Depth=1
	v_add_nc_u64_e32 v[62:63], v[52:53], v[22:23]
	v_add_nc_u64_e32 v[64:65], v[54:55], v[22:23]
	global_load_u16 v3, v[62:63], off
	global_load_u16 v13, v[64:65], off
	s_wait_loadcnt 0x1
	v_cvt_f32_f16_e32 v5, v3
	s_wait_loadcnt 0x0
	v_cvt_f32_f16_e32 v13, v13
.LBB170_12:                             ;   in Loop: Header=BB170_3 Depth=1
	s_or_b32 exec_lo, exec_lo, s18
	v_add_nc_u64_e32 v[62:63], s[26:27], v[56:57]
	s_delay_alu instid0(VALU_DEP_1) | instskip(SKIP_1) | instid1(SALU_CYCLE_1)
	v_cmp_gt_i64_e32 vcc_lo, s[4:5], v[62:63]
	s_and_b32 s33, s2, vcc_lo
	s_and_saveexec_b32 s18, s33
	s_cbranch_execz .LBB170_14
; %bb.13:                               ;   in Loop: Header=BB170_3 Depth=1
	v_add_nc_u64_e32 v[62:63], v[48:49], v[22:23]
	v_add_nc_u64_e32 v[64:65], v[50:51], v[22:23]
	global_load_u16 v3, v[62:63], off
	global_load_u16 v14, v[64:65], off
	s_wait_loadcnt 0x1
	v_cvt_f32_f16_e32 v6, v3
	s_wait_loadcnt 0x0
	v_cvt_f32_f16_e32 v14, v14
.LBB170_14:                             ;   in Loop: Header=BB170_3 Depth=1
	;; [unrolled: 17-line block ×7, first 2 shown]
	s_or_b32 exec_lo, exec_lo, s18
	s_wait_loadcnt 0x0
	ds_bpermute_b32 v3, v2, v60
	ds_bpermute_b32 v62, v2, v60 offset:4
	ds_bpermute_b32 v63, v2, v60 offset:8
	;; [unrolled: 1-line block ×4, first 2 shown]
	v_pk_mul_f32 v[6:7], v[14:15], v[6:7]
	v_dual_mul_f32 v14, v12, v4 :: v_dual_mul_f32 v4, v13, v5
	v_pk_mul_f32 v[8:9], v[16:17], v[8:9]
	ds_bpermute_b32 v12, v2, v60 offset:20
	v_dual_mov_b32 v5, v6 :: v_dual_mov_b32 v6, v7
	ds_bpermute_b32 v13, v2, v60 offset:24
	s_mov_b32 s18, 0
	v_dual_mov_b32 v7, v8 :: v_dual_mul_f32 v15, v18, v10
	s_wait_dscnt 0x6
	v_dual_fma_f32 v3, v14, v3, v59 :: v_dual_mov_b32 v14, v9
	s_wait_dscnt 0x4
	v_pk_mul_f32 v[4:5], v[4:5], v[62:63]
	s_wait_dscnt 0x2
	v_pk_mul_f32 v[6:7], v[6:7], v[64:65]
	s_delay_alu instid0(VALU_DEP_2) | instskip(SKIP_2) | instid1(VALU_DEP_1)
	v_add_f32_e32 v3, v3, v4
	ds_bpermute_b32 v4, v2, v60 offset:28
	v_add_f32_e32 v3, v3, v5
	v_add_f32_e32 v3, v3, v6
	s_delay_alu instid0(VALU_DEP_1) | instskip(SKIP_2) | instid1(VALU_DEP_1)
	v_add_f32_e32 v3, v3, v7
	s_wait_dscnt 0x1
	v_pk_mul_f32 v[6:7], v[14:15], v[12:13]
	v_add_f32_e32 v3, v3, v6
	s_delay_alu instid0(VALU_DEP_1)
	v_add_f32_e32 v3, v3, v7
.LBB170_25:                             ;   in Loop: Header=BB170_3 Depth=1
	s_and_b32 vcc_lo, exec_lo, s18
	s_cbranch_vccz .LBB170_40
; %bb.26:                               ;   in Loop: Header=BB170_3 Depth=1
	s_load_b32 s18, s[20:21], 0x0
	v_mov_b32_e32 v60, 0
	s_wait_kmcnt 0x0
	s_cmp_lt_u32 s12, s18
	s_cselect_b32 s18, 12, 18
	s_delay_alu instid0(SALU_CYCLE_1)
	s_add_nc_u64 s[48:49], s[20:21], s[18:19]
	s_load_u16 s18, s[48:49], 0x0
	s_wait_kmcnt 0x0
	v_mad_u32_u24 v3, v1, s18, v58
	s_mov_b32 s18, exec_lo
	s_wait_dscnt 0x0
	s_delay_alu instid0(VALU_DEP_1) | instskip(NEXT) | instid1(VALU_DEP_1)
	v_and_b32_e32 v4, 31, v3
	v_cmpx_gt_u32_e32 8, v4
	s_cbranch_execz .LBB170_30
; %bb.27:                               ;   in Loop: Header=BB170_3 Depth=1
	v_dual_mov_b32 v5, v2 :: v_dual_mov_b32 v60, 0
	s_mov_b32 s33, exec_lo
	s_delay_alu instid0(VALU_DEP_1) | instskip(NEXT) | instid1(VALU_DEP_1)
	v_add_nc_u64_e32 v[4:5], v[56:57], v[4:5]
	v_add_nc_u64_e32 v[4:5], s[22:23], v[4:5]
	s_delay_alu instid0(VALU_DEP_1)
	v_cmpx_gt_i64_e64 s[4:5], v[4:5]
	s_cbranch_execz .LBB170_29
; %bb.28:                               ;   in Loop: Header=BB170_3 Depth=1
	v_lshl_add_u64 v[4:5], v[4:5], 2, s[14:15]
	global_load_b32 v60, v[4:5], off
.LBB170_29:                             ;   in Loop: Header=BB170_3 Depth=1
	s_wait_xcnt 0x0
	s_or_b32 exec_lo, exec_lo, s33
.LBB170_30:                             ;   in Loop: Header=BB170_3 Depth=1
	s_delay_alu instid0(SALU_CYCLE_1) | instskip(SKIP_4) | instid1(VALU_DEP_3)
	s_or_b32 exec_lo, exec_lo, s18
	v_dual_mov_b32 v7, v2 :: v_dual_mov_b32 v8, v2
	v_dual_mov_b32 v9, v2 :: v_dual_mov_b32 v3, v2
	;; [unrolled: 1-line block ×3, first 2 shown]
	v_mov_b32_e32 v6, v2
	v_mov_b64_e32 v[18:19], v[8:9]
	s_delay_alu instid0(VALU_DEP_4) | instskip(NEXT) | instid1(VALU_DEP_4)
	v_mov_b64_e32 v[12:13], v[2:3]
	v_mov_b64_e32 v[14:15], v[4:5]
	s_delay_alu instid0(VALU_DEP_4)
	v_mov_b64_e32 v[16:17], v[6:7]
	v_mov_b64_e32 v[10:11], v[8:9]
	;; [unrolled: 1-line block ×5, first 2 shown]
	s_and_saveexec_b32 s18, s2
	s_cbranch_execnz .LBB170_42
; %bb.31:                               ;   in Loop: Header=BB170_3 Depth=1
	s_or_b32 exec_lo, exec_lo, s18
	s_and_saveexec_b32 s18, s2
	s_cbranch_execnz .LBB170_43
.LBB170_32:                             ;   in Loop: Header=BB170_3 Depth=1
	s_or_b32 exec_lo, exec_lo, s18
	s_and_saveexec_b32 s18, s2
	s_cbranch_execnz .LBB170_44
.LBB170_33:                             ;   in Loop: Header=BB170_3 Depth=1
	s_or_b32 exec_lo, exec_lo, s18
	s_and_saveexec_b32 s18, s2
	s_cbranch_execnz .LBB170_45
.LBB170_34:                             ;   in Loop: Header=BB170_3 Depth=1
	s_or_b32 exec_lo, exec_lo, s18
	s_and_saveexec_b32 s18, s2
	s_cbranch_execnz .LBB170_46
.LBB170_35:                             ;   in Loop: Header=BB170_3 Depth=1
	s_or_b32 exec_lo, exec_lo, s18
	s_and_saveexec_b32 s18, s2
	s_cbranch_execnz .LBB170_47
.LBB170_36:                             ;   in Loop: Header=BB170_3 Depth=1
	s_or_b32 exec_lo, exec_lo, s18
	s_and_saveexec_b32 s18, s2
	s_cbranch_execnz .LBB170_48
.LBB170_37:                             ;   in Loop: Header=BB170_3 Depth=1
	s_or_b32 exec_lo, exec_lo, s18
	s_and_saveexec_b32 s18, s2
	s_cbranch_execz .LBB170_39
.LBB170_38:                             ;   in Loop: Header=BB170_3 Depth=1
	v_add_nc_u64_e32 v[56:57], v[28:29], v[22:23]
	v_add_nc_u64_e32 v[62:63], v[30:31], v[22:23]
	global_load_u16 v3, v[56:57], off
	global_load_u16 v19, v[62:63], off
	s_wait_loadcnt 0x1
	v_cvt_f32_f16_e32 v11, v3
	s_wait_loadcnt 0x0
	v_cvt_f32_f16_e32 v19, v19
.LBB170_39:                             ;   in Loop: Header=BB170_3 Depth=1
	s_or_b32 exec_lo, exec_lo, s18
	s_wait_loadcnt 0x0
	ds_bpermute_b32 v3, v2, v60
	ds_bpermute_b32 v56, v2, v60 offset:4
	ds_bpermute_b32 v57, v2, v60 offset:8
	;; [unrolled: 1-line block ×4, first 2 shown]
	v_pk_mul_f32 v[6:7], v[14:15], v[6:7]
	v_dual_mul_f32 v14, v12, v4 :: v_dual_mul_f32 v4, v13, v5
	v_pk_mul_f32 v[8:9], v[16:17], v[8:9]
	ds_bpermute_b32 v12, v2, v60 offset:20
	v_dual_mov_b32 v5, v6 :: v_dual_mov_b32 v6, v7
	ds_bpermute_b32 v13, v2, v60 offset:24
	v_dual_mov_b32 v7, v8 :: v_dual_mul_f32 v15, v18, v10
	s_wait_dscnt 0x6
	v_dual_fmac_f32 v59, v14, v3 :: v_dual_mov_b32 v14, v9
	s_wait_dscnt 0x4
	v_pk_mul_f32 v[4:5], v[4:5], v[56:57]
	s_wait_dscnt 0x2
	v_pk_mul_f32 v[6:7], v[6:7], v[62:63]
	s_delay_alu instid0(VALU_DEP_2) | instskip(SKIP_2) | instid1(VALU_DEP_1)
	v_add_f32_e32 v3, v59, v4
	ds_bpermute_b32 v4, v2, v60 offset:28
	v_add_f32_e32 v3, v3, v5
	v_add_f32_e32 v3, v3, v6
	s_delay_alu instid0(VALU_DEP_1) | instskip(SKIP_2) | instid1(VALU_DEP_1)
	v_add_f32_e32 v3, v3, v7
	s_wait_dscnt 0x1
	v_pk_mul_f32 v[6:7], v[14:15], v[12:13]
	v_add_f32_e32 v3, v3, v6
	s_delay_alu instid0(VALU_DEP_1)
	v_add_f32_e32 v3, v3, v7
.LBB170_40:                             ;   in Loop: Header=BB170_3 Depth=1
	s_add_nc_u64 s[46:47], s[46:47], s[34:35]
	v_mul_f32_e32 v5, v11, v19
	v_cmp_lt_i64_e64 s18, s[46:47], s[4:5]
	v_add_nc_u64_e32 v[24:25], s[42:43], v[24:25]
	v_add_nc_u64_e32 v[26:27], s[42:43], v[26:27]
	;; [unrolled: 1-line block ×16, first 2 shown]
	s_wait_dscnt 0x0
	v_fmac_f32_e32 v3, v5, v4
	s_and_b32 vcc_lo, exec_lo, s18
	s_add_nc_u64 s[44:45], s[44:45], s[34:35]
	s_cbranch_vccz .LBB170_50
; %bb.41:                               ;   in Loop: Header=BB170_3 Depth=1
	s_delay_alu instid0(VALU_DEP_1)
	v_mov_b32_e32 v59, v3
	s_branch .LBB170_3
.LBB170_42:                             ;   in Loop: Header=BB170_3 Depth=1
	v_add_nc_u64_e32 v[4:5], v[24:25], v[22:23]
	v_add_nc_u64_e32 v[6:7], v[26:27], v[22:23]
	v_dual_mov_b32 v9, v2 :: v_dual_mov_b32 v10, v2
	v_dual_mov_b32 v11, v2 :: v_dual_mov_b32 v13, v2
	;; [unrolled: 1-line block ×3, first 2 shown]
	global_load_u16 v3, v[4:5], off
	global_load_u16 v12, v[6:7], off
	s_wait_xcnt 0x0
	v_dual_mov_b32 v5, v2 :: v_dual_mov_b32 v6, v2
	v_dual_mov_b32 v7, v2 :: v_dual_mov_b32 v8, v2
	v_dual_mov_b32 v16, v2 :: v_dual_mov_b32 v17, v2
	v_dual_mov_b32 v18, v2 :: v_dual_mov_b32 v19, v2
	s_wait_loadcnt 0x1
	v_cvt_f32_f16_e32 v4, v3
	s_wait_loadcnt 0x0
	v_cvt_f32_f16_e32 v12, v12
	s_or_b32 exec_lo, exec_lo, s18
	s_and_saveexec_b32 s18, s2
	s_cbranch_execz .LBB170_32
.LBB170_43:                             ;   in Loop: Header=BB170_3 Depth=1
	v_add_nc_u64_e32 v[56:57], v[52:53], v[22:23]
	v_add_nc_u64_e32 v[62:63], v[54:55], v[22:23]
	global_load_u16 v3, v[56:57], off
	global_load_u16 v13, v[62:63], off
	s_wait_loadcnt 0x1
	v_cvt_f32_f16_e32 v5, v3
	s_wait_loadcnt 0x0
	v_cvt_f32_f16_e32 v13, v13
	s_or_b32 exec_lo, exec_lo, s18
	s_and_saveexec_b32 s18, s2
	s_cbranch_execz .LBB170_33
.LBB170_44:                             ;   in Loop: Header=BB170_3 Depth=1
	v_add_nc_u64_e32 v[56:57], v[48:49], v[22:23]
	v_add_nc_u64_e32 v[62:63], v[50:51], v[22:23]
	global_load_u16 v3, v[56:57], off
	global_load_u16 v14, v[62:63], off
	s_wait_loadcnt 0x1
	v_cvt_f32_f16_e32 v6, v3
	s_wait_loadcnt 0x0
	v_cvt_f32_f16_e32 v14, v14
	s_or_b32 exec_lo, exec_lo, s18
	s_and_saveexec_b32 s18, s2
	s_cbranch_execz .LBB170_34
.LBB170_45:                             ;   in Loop: Header=BB170_3 Depth=1
	v_add_nc_u64_e32 v[56:57], v[44:45], v[22:23]
	v_add_nc_u64_e32 v[62:63], v[46:47], v[22:23]
	global_load_u16 v3, v[56:57], off
	global_load_u16 v15, v[62:63], off
	s_wait_loadcnt 0x1
	v_cvt_f32_f16_e32 v7, v3
	s_wait_loadcnt 0x0
	v_cvt_f32_f16_e32 v15, v15
	s_or_b32 exec_lo, exec_lo, s18
	s_and_saveexec_b32 s18, s2
	s_cbranch_execz .LBB170_35
.LBB170_46:                             ;   in Loop: Header=BB170_3 Depth=1
	v_add_nc_u64_e32 v[56:57], v[40:41], v[22:23]
	v_add_nc_u64_e32 v[62:63], v[42:43], v[22:23]
	global_load_u16 v3, v[56:57], off
	global_load_u16 v16, v[62:63], off
	s_wait_loadcnt 0x1
	v_cvt_f32_f16_e32 v8, v3
	s_wait_loadcnt 0x0
	v_cvt_f32_f16_e32 v16, v16
	s_or_b32 exec_lo, exec_lo, s18
	s_and_saveexec_b32 s18, s2
	s_cbranch_execz .LBB170_36
.LBB170_47:                             ;   in Loop: Header=BB170_3 Depth=1
	v_add_nc_u64_e32 v[56:57], v[36:37], v[22:23]
	v_add_nc_u64_e32 v[62:63], v[38:39], v[22:23]
	global_load_u16 v3, v[56:57], off
	global_load_u16 v17, v[62:63], off
	s_wait_loadcnt 0x1
	v_cvt_f32_f16_e32 v9, v3
	s_wait_loadcnt 0x0
	v_cvt_f32_f16_e32 v17, v17
	s_or_b32 exec_lo, exec_lo, s18
	s_and_saveexec_b32 s18, s2
	s_cbranch_execz .LBB170_37
.LBB170_48:                             ;   in Loop: Header=BB170_3 Depth=1
	v_add_nc_u64_e32 v[56:57], v[32:33], v[22:23]
	v_add_nc_u64_e32 v[62:63], v[34:35], v[22:23]
	global_load_u16 v3, v[56:57], off
	global_load_u16 v18, v[62:63], off
	s_wait_loadcnt 0x1
	v_cvt_f32_f16_e32 v10, v3
	s_wait_loadcnt 0x0
	v_cvt_f32_f16_e32 v18, v18
	s_or_b32 exec_lo, exec_lo, s18
	s_and_saveexec_b32 s18, s2
	s_cbranch_execnz .LBB170_38
	s_branch .LBB170_39
.LBB170_49:
                                        ; implicit-def: $vgpr3
	s_branch .LBB170_51
.LBB170_50:
	s_cbranch_execnz .LBB170_83
.LBB170_51:
	v_mov_b32_e32 v3, 0
	s_and_not1_b32 vcc_lo, exec_lo, s13
	s_cbranch_vccnz .LBB170_83
; %bb.52:
	v_bfe_u32 v1, v0, 10, 10
	v_mov_b32_e32 v2, 0
	v_and_b32_e32 v86, 0x3ff, v0
	s_load_b32 s2, s[0:1], 0x44
	s_mov_b64 s[20:21], 0xffffffffffffffc3
	s_delay_alu instid0(VALU_DEP_2) | instskip(SKIP_3) | instid1(VALU_DEP_2)
	v_dual_mov_b32 v5, v2 :: v_dual_lshlrev_b32 v4, 4, v1
	v_dual_mov_b32 v21, v2 :: v_dual_lshlrev_b32 v20, 3, v1
	s_mov_b64 s[22:23], 0xffffffffffffffc4
	s_mov_b64 s[24:25], 0xffffffffffffffc5
	v_lshl_add_u64 v[4:5], s[16:17], 1, v[4:5]
	s_mov_b64 s[26:27], 0xffffffffffffffc6
	s_mov_b64 s[28:29], 0xffffffffffffffc7
	;; [unrolled: 1-line block ×3, first 2 shown]
	s_add_nc_u64 s[34:35], s[0:1], 64
	v_add_nc_u64_e32 v[6:7], 2, v[4:5]
	v_add_nc_u64_e32 v[10:11], 4, v[4:5]
	v_add_nc_u64_e32 v[12:13], 6, v[4:5]
	v_add_nc_u64_e32 v[14:15], 8, v[4:5]
	v_add_nc_u64_e32 v[16:17], 10, v[4:5]
	v_add_nc_u64_e32 v[18:19], 12, v[4:5]
	v_add_nc_u64_e32 v[4:5], 14, v[4:5]
	v_mad_nc_u64_u32 v[22:23], s6, v6, s[8:9]
	v_mul_lo_u32 v3, s6, v7
	v_mul_lo_u32 v44, s7, v6
	v_mad_nc_u64_u32 v[24:25], s6, v10, s[8:9]
	v_mul_lo_u32 v46, s6, v11
	v_mul_lo_u32 v47, s7, v10
	;; [unrolled: 3-line block ×3, first 2 shown]
	v_mad_nc_u64_u32 v[32:33], s6, v6, s[10:11]
	v_mad_nc_u64_u32 v[34:35], s6, v10, s[10:11]
	v_mad_nc_u64_u32 v[36:37], s6, v12, s[10:11]
	v_mad_nc_u64_u32 v[38:39], s6, v18, s[8:9]
	v_add3_u32 v23, v44, v23, v3
	v_mul_lo_u32 v53, s7, v18
	v_mad_nc_u64_u32 v[28:29], s6, v14, s[8:9]
	v_add3_u32 v25, v47, v25, v46
	v_mul_lo_u32 v50, s6, v15
	v_mul_lo_u32 v51, s7, v14
	v_add3_u32 v27, v49, v27, v48
	v_add3_u32 v33, v44, v33, v3
	v_mad_nc_u64_u32 v[44:45], s6, v18, s[10:11]
	v_add3_u32 v35, v47, v35, v46
	v_add3_u32 v37, v49, v37, v48
	v_mad_nc_u64_u32 v[46:47], s6, v4, s[8:9]
	v_mul_lo_u32 v18, s7, v4
	v_mad_nc_u64_u32 v[48:49], s6, v4, s[10:11]
	v_add_nc_u32_e32 v4, s3, v86
	v_add_nc_u64_e32 v[8:9], s[16:17], v[20:21]
	v_mad_nc_u64_u32 v[40:41], s6, v14, s[10:11]
	v_mul_lo_u32 v3, s6, v5
	v_dual_mov_b32 v5, v2 :: v_dual_mov_b32 v87, 0
	v_mad_nc_u64_u32 v[30:31], s6, v16, s[8:9]
	v_mul_lo_u32 v17, s6, v17
	v_add_nc_u64_e32 v[6:7], 7, v[8:9]
	v_add_nc_u64_e32 v[10:11], 6, v[8:9]
	v_add_nc_u64_e32 v[12:13], 5, v[8:9]
	v_mul_u64_e32 v[60:61], s[6:7], v[8:9]
	v_add_nc_u64_e32 v[42:43], 4, v[8:9]
	v_add_nc_u64_e32 v[14:15], 3, v[8:9]
	;; [unrolled: 1-line block ×3, first 2 shown]
	v_mul_u64_e32 v[6:7], s[6:7], v[6:7]
	v_mul_u64_e32 v[10:11], s[6:7], v[10:11]
	;; [unrolled: 1-line block ×3, first 2 shown]
	v_mul_lo_u32 v52, s7, v16
	v_mul_u64_e32 v[62:63], s[6:7], v[42:43]
	v_mul_u64_e32 v[14:15], s[6:7], v[14:15]
	;; [unrolled: 1-line block ×3, first 2 shown]
	v_mad_nc_u64_u32 v[42:43], s6, v16, s[10:11]
	v_add3_u32 v29, v51, v29, v50
	v_add3_u32 v41, v51, v41, v50
	v_lshlrev_b64_e32 v[50:51], 1, v[4:5]
	v_mul_lo_u32 v19, s6, v19
	s_mov_b32 s3, 0
	s_wait_kmcnt 0x0
	s_lshl_b32 s18, s2, 6
	v_add3_u32 v31, v52, v31, v17
	s_mov_b32 s19, s3
	v_add3_u32 v47, v18, v47, v3
	v_add3_u32 v49, v18, v49, v3
	;; [unrolled: 1-line block ×3, first 2 shown]
	s_mul_u64 s[36:37], s[6:7], s[18:19]
	s_add_nc_u64 s[38:39], s[16:17], 63
	s_lshl_b64 s[36:37], s[36:37], 1
	v_add3_u32 v39, v53, v39, v19
	v_add3_u32 v45, v53, v45, v19
	v_lshlrev_b64_e32 v[16:17], 1, v[60:61]
	v_lshlrev_b64_e32 v[6:7], 1, v[6:7]
	;; [unrolled: 1-line block ×3, first 2 shown]
	s_delay_alu instid0(VALU_DEP_3)
	v_add_nc_u64_e32 v[52:53], s[8:9], v[16:17]
	v_lshlrev_b64_e32 v[10:11], 1, v[62:63]
	v_add_nc_u64_e32 v[54:55], s[10:11], v[16:17]
	v_lshlrev_b64_e32 v[8:9], 1, v[8:9]
	v_add_nc_u64_e32 v[56:57], s[8:9], v[6:7]
	v_add_nc_u64_e32 v[58:59], s[10:11], v[6:7]
	v_lshlrev_b64_e32 v[6:7], 1, v[12:13]
	v_add_nc_u64_e32 v[12:13], s[6:7], v[60:61]
	v_add_nc_u64_e32 v[60:61], s[8:9], v[4:5]
	;; [unrolled: 1-line block ×3, first 2 shown]
	v_lshlrev_b64_e32 v[4:5], 1, v[14:15]
	v_add_nc_u64_e32 v[68:69], s[8:9], v[10:11]
	v_add_nc_u64_e32 v[70:71], s[10:11], v[10:11]
	;; [unrolled: 1-line block ×4, first 2 shown]
	v_lshlrev_b64_e32 v[6:7], 1, v[12:13]
	v_add_nc_u64_e32 v[76:77], s[8:9], v[8:9]
	v_add_nc_u64_e32 v[72:73], s[8:9], v[4:5]
	;; [unrolled: 1-line block ×6, first 2 shown]
	s_mov_b64 s[8:9], 0xffffffffffffffc1
	s_mov_b64 s[10:11], 0xffffffffffffffc2
.LBB170_53:                             ; =>This Inner Loop Header: Depth=1
	v_cmp_ge_i64_e64 s2, s[38:39], s[4:5]
	v_add_nc_u64_e32 v[84:85], s[38:39], v[20:21]
                                        ; implicit-def: $vgpr3
	s_and_b32 vcc_lo, exec_lo, s2
	s_mov_b32 s2, -1
	s_cbranch_vccz .LBB170_75
; %bb.54:                               ;   in Loop: Header=BB170_53 Depth=1
	s_load_b32 s2, s[34:35], 0xc
	v_mov_b32_e32 v88, 0
	s_wait_kmcnt 0x0
	s_and_b32 s2, s2, 0xffff
	s_delay_alu instid0(SALU_CYCLE_1) | instskip(SKIP_1) | instid1(VALU_DEP_1)
	v_mad_u32_u24 v3, v1, s2, v86
	s_mov_b32 s2, exec_lo
	v_and_b32_e32 v4, 31, v3
	s_delay_alu instid0(VALU_DEP_1)
	v_cmpx_gt_u32_e32 8, v4
	s_cbranch_execz .LBB170_58
; %bb.55:                               ;   in Loop: Header=BB170_53 Depth=1
	v_dual_mov_b32 v5, v2 :: v_dual_mov_b32 v88, 0
	s_mov_b32 s13, exec_lo
	s_delay_alu instid0(VALU_DEP_1) | instskip(NEXT) | instid1(VALU_DEP_1)
	v_add_nc_u64_e32 v[4:5], v[84:85], v[4:5]
	v_add_nc_u64_e32 v[4:5], s[8:9], v[4:5]
	s_delay_alu instid0(VALU_DEP_1)
	v_cmpx_gt_i64_e64 s[4:5], v[4:5]
	s_cbranch_execz .LBB170_57
; %bb.56:                               ;   in Loop: Header=BB170_53 Depth=1
	v_lshl_add_u64 v[4:5], v[4:5], 2, s[14:15]
	global_load_b32 v88, v[4:5], off
.LBB170_57:                             ;   in Loop: Header=BB170_53 Depth=1
	s_wait_xcnt 0x0
	s_or_b32 exec_lo, exec_lo, s13
.LBB170_58:                             ;   in Loop: Header=BB170_53 Depth=1
	s_delay_alu instid0(SALU_CYCLE_1)
	s_or_b32 exec_lo, exec_lo, s2
	v_add_nc_u64_e32 v[10:11], s[8:9], v[84:85]
	v_dual_mov_b32 v7, v2 :: v_dual_mov_b32 v8, v2
	v_dual_mov_b32 v9, v2 :: v_dual_mov_b32 v3, v2
	;; [unrolled: 1-line block ×3, first 2 shown]
	v_mov_b32_e32 v6, v2
	s_delay_alu instid0(VALU_DEP_3)
	v_mov_b64_e32 v[18:19], v[8:9]
	v_cmp_gt_i64_e32 vcc_lo, s[4:5], v[10:11]
	v_mov_b64_e32 v[12:13], v[2:3]
	v_mov_b64_e32 v[14:15], v[4:5]
	;; [unrolled: 1-line block ×7, first 2 shown]
	s_and_saveexec_b32 s2, vcc_lo
	s_cbranch_execz .LBB170_60
; %bb.59:                               ;   in Loop: Header=BB170_53 Depth=1
	v_add_nc_u64_e32 v[4:5], v[52:53], v[50:51]
	v_add_nc_u64_e32 v[6:7], v[54:55], v[50:51]
	v_dual_mov_b32 v9, v2 :: v_dual_mov_b32 v10, v2
	v_dual_mov_b32 v11, v2 :: v_dual_mov_b32 v13, v2
	;; [unrolled: 1-line block ×3, first 2 shown]
	global_load_u16 v3, v[4:5], off
	global_load_u16 v12, v[6:7], off
	s_wait_xcnt 0x0
	v_dual_mov_b32 v5, v2 :: v_dual_mov_b32 v6, v2
	v_dual_mov_b32 v7, v2 :: v_dual_mov_b32 v8, v2
	;; [unrolled: 1-line block ×4, first 2 shown]
	s_wait_loadcnt 0x1
	v_cvt_f32_f16_e32 v4, v3
	s_wait_loadcnt 0x0
	v_cvt_f32_f16_e32 v12, v12
.LBB170_60:                             ;   in Loop: Header=BB170_53 Depth=1
	s_or_b32 exec_lo, exec_lo, s2
	v_add_nc_u64_e32 v[90:91], s[10:11], v[84:85]
	s_mov_b32 s2, exec_lo
	s_delay_alu instid0(VALU_DEP_1)
	v_cmpx_gt_i64_e64 s[4:5], v[90:91]
	s_cbranch_execz .LBB170_62
; %bb.61:                               ;   in Loop: Header=BB170_53 Depth=1
	v_add_nc_u64_e32 v[90:91], v[80:81], v[50:51]
	v_add_nc_u64_e32 v[92:93], v[82:83], v[50:51]
	global_load_u16 v3, v[90:91], off
	global_load_u16 v13, v[92:93], off
	s_wait_loadcnt 0x1
	v_cvt_f32_f16_e32 v5, v3
	s_wait_loadcnt 0x0
	v_cvt_f32_f16_e32 v13, v13
.LBB170_62:                             ;   in Loop: Header=BB170_53 Depth=1
	s_or_b32 exec_lo, exec_lo, s2
	v_add_nc_u64_e32 v[90:91], s[20:21], v[84:85]
	s_mov_b32 s2, exec_lo
	s_delay_alu instid0(VALU_DEP_1)
	v_cmpx_gt_i64_e64 s[4:5], v[90:91]
	s_cbranch_execz .LBB170_64
; %bb.63:                               ;   in Loop: Header=BB170_53 Depth=1
	v_add_nc_u64_e32 v[90:91], v[76:77], v[50:51]
	v_add_nc_u64_e32 v[92:93], v[78:79], v[50:51]
	global_load_u16 v3, v[90:91], off
	global_load_u16 v14, v[92:93], off
	s_wait_loadcnt 0x1
	v_cvt_f32_f16_e32 v6, v3
	s_wait_loadcnt 0x0
	v_cvt_f32_f16_e32 v14, v14
.LBB170_64:                             ;   in Loop: Header=BB170_53 Depth=1
	;; [unrolled: 16-line block ×7, first 2 shown]
	s_or_b32 exec_lo, exec_lo, s2
	s_wait_loadcnt 0x0
	ds_bpermute_b32 v90, v2, v88
	ds_bpermute_b32 v91, v2, v88 offset:4
	ds_bpermute_b32 v92, v2, v88 offset:8
	;; [unrolled: 1-line block ×3, first 2 shown]
	v_pk_mul_f32 v[4:5], v[12:13], v[4:5]
	ds_bpermute_b32 v12, v2, v88 offset:16
	ds_bpermute_b32 v13, v2, v88 offset:20
	v_pk_mul_f32 v[6:7], v[14:15], v[6:7]
	v_pk_mul_f32 v[8:9], v[16:17], v[8:9]
	s_mov_b32 s2, 0
	s_wait_dscnt 0x4
	v_pk_mul_f32 v[4:5], v[4:5], v[90:91]
	s_wait_dscnt 0x2
	v_pk_mul_f32 v[6:7], v[6:7], v[92:93]
	;; [unrolled: 2-line block ×3, first 2 shown]
	v_add_f32_e32 v3, v87, v4
	ds_bpermute_b32 v4, v2, v88 offset:24
	v_add_f32_e32 v3, v3, v5
	ds_bpermute_b32 v5, v2, v88 offset:28
	v_add_f32_e32 v3, v3, v6
	s_delay_alu instid0(VALU_DEP_1) | instskip(SKIP_1) | instid1(VALU_DEP_2)
	v_add_f32_e32 v3, v3, v7
	v_pk_mul_f32 v[6:7], v[18:19], v[10:11]
	v_add_f32_e32 v3, v3, v8
	s_delay_alu instid0(VALU_DEP_1) | instskip(SKIP_1) | instid1(VALU_DEP_3)
	v_add_f32_e32 v3, v3, v9
	s_wait_dscnt 0x0
	v_pk_mul_f32 v[4:5], v[6:7], v[4:5]
	s_delay_alu instid0(VALU_DEP_1) | instskip(NEXT) | instid1(VALU_DEP_1)
	v_add_f32_e32 v3, v3, v4
	v_add_f32_e32 v3, v3, v5
.LBB170_75:                             ;   in Loop: Header=BB170_53 Depth=1
	s_and_b32 vcc_lo, exec_lo, s2
	s_cbranch_vccz .LBB170_81
; %bb.76:                               ;   in Loop: Header=BB170_53 Depth=1
	s_load_b32 s2, s[34:35], 0x0
	s_wait_kmcnt 0x0
	s_cmp_lt_u32 s12, s2
	s_cselect_b32 s2, 12, 18
	s_delay_alu instid0(SALU_CYCLE_1) | instskip(SKIP_4) | instid1(VALU_DEP_1)
	s_add_nc_u64 s[40:41], s[34:35], s[2:3]
	s_load_u16 s2, s[40:41], 0x0
	s_wait_kmcnt 0x0
	v_mad_u32_u24 v3, v1, s2, v86
	s_mov_b32 s2, exec_lo
	v_dual_mov_b32 v3, 0 :: v_dual_bitop2_b32 v4, 31, v3 bitop3:0x40
	s_delay_alu instid0(VALU_DEP_1)
	v_cmpx_gt_u32_e32 8, v4
	s_cbranch_execz .LBB170_80
; %bb.77:                               ;   in Loop: Header=BB170_53 Depth=1
	v_dual_mov_b32 v5, v2 :: v_dual_mov_b32 v3, 0
	s_mov_b32 s13, exec_lo
	s_delay_alu instid0(VALU_DEP_1) | instskip(NEXT) | instid1(VALU_DEP_1)
	v_add_nc_u64_e32 v[4:5], v[84:85], v[4:5]
	v_add_nc_u64_e32 v[4:5], s[8:9], v[4:5]
	s_delay_alu instid0(VALU_DEP_1)
	v_cmpx_gt_i64_e64 s[4:5], v[4:5]
	s_cbranch_execz .LBB170_79
; %bb.78:                               ;   in Loop: Header=BB170_53 Depth=1
	v_lshl_add_u64 v[4:5], v[4:5], 2, s[14:15]
	global_load_b32 v3, v[4:5], off
.LBB170_79:                             ;   in Loop: Header=BB170_53 Depth=1
	s_wait_xcnt 0x0
	s_or_b32 exec_lo, exec_lo, s13
.LBB170_80:                             ;   in Loop: Header=BB170_53 Depth=1
	s_delay_alu instid0(SALU_CYCLE_1)
	s_or_b32 exec_lo, exec_lo, s2
	v_add_nc_u64_e32 v[4:5], v[22:23], v[50:51]
	v_add_nc_u64_e32 v[6:7], v[52:53], v[50:51]
	;; [unrolled: 1-line block ×6, first 2 shown]
	global_load_u16 v16, v[4:5], off
	global_load_u16 v17, v[6:7], off
	global_load_u16 v18, v[8:9], off
	global_load_u16 v19, v[10:11], off
	s_wait_xcnt 0x3
	v_add_nc_u64_e32 v[4:5], v[36:37], v[50:51]
	s_wait_xcnt 0x2
	v_add_nc_u64_e32 v[6:7], v[34:35], v[50:51]
	;; [unrolled: 2-line block ×3, first 2 shown]
	v_add_nc_u64_e32 v[8:9], v[28:29], v[50:51]
	global_load_u16 v84, v[14:15], off
	global_load_u16 v85, v[12:13], off
	;; [unrolled: 1-line block ×4, first 2 shown]
	s_wait_xcnt 0x1
	v_add_nc_u64_e32 v[4:5], v[42:43], v[50:51]
	s_wait_xcnt 0x0
	v_add_nc_u64_e32 v[6:7], v[40:41], v[50:51]
	s_wait_loadcnt 0x8
	ds_bpermute_b32 v12, v2, v3 offset:16
	global_load_u16 v90, v[10:11], off
	global_load_u16 v91, v[8:9], off
	;; [unrolled: 1-line block ×4, first 2 shown]
	s_wait_xcnt 0x1
	v_add_nc_u64_e32 v[4:5], v[46:47], v[50:51]
	s_wait_xcnt 0x0
	v_add_nc_u64_e32 v[6:7], v[38:39], v[50:51]
	v_add_nc_u64_e32 v[8:9], v[48:49], v[50:51]
	;; [unrolled: 1-line block ×3, first 2 shown]
	global_load_u16 v94, v[4:5], off
	global_load_u16 v95, v[6:7], off
	;; [unrolled: 1-line block ×4, first 2 shown]
	s_wait_xcnt 0x3
	ds_bpermute_b32 v4, v2, v3
	ds_bpermute_b32 v5, v2, v3 offset:4
	s_wait_xcnt 0x2
	ds_bpermute_b32 v6, v2, v3 offset:8
	ds_bpermute_b32 v7, v2, v3 offset:12
	;; [unrolled: 1-line block ×3, first 2 shown]
	s_wait_loadcnt 0xf
	s_wait_xcnt 0x1
	v_cvt_f32_f16_e32 v9, v16
	s_wait_loadcnt 0xe
	v_cvt_f32_f16_e32 v8, v17
	s_wait_loadcnt 0xd
	s_wait_xcnt 0x0
	v_cvt_f32_f16_e32 v11, v18
	s_wait_loadcnt 0xc
	v_cvt_f32_f16_e32 v10, v19
	s_wait_loadcnt 0x9
	v_cvt_f32_f16_e32 v15, v88
	s_delay_alu instid0(VALU_DEP_2)
	v_pk_mul_f32 v[8:9], v[8:9], v[10:11]
	v_cvt_f32_f16_e32 v11, v84
	v_cvt_f32_f16_e32 v10, v85
	s_wait_loadcnt 0x8
	v_cvt_f32_f16_e32 v14, v89
	s_wait_loadcnt 0x7
	v_cvt_f32_f16_e32 v17, v90
	s_wait_dscnt 0x3
	v_pk_mul_f32 v[4:5], v[8:9], v[4:5]
	ds_bpermute_b32 v8, v2, v3 offset:24
	s_wait_loadcnt 0x6
	v_cvt_f32_f16_e32 v16, v91
	v_pk_mul_f32 v[10:11], v[10:11], v[14:15]
	s_wait_loadcnt 0x5
	v_cvt_f32_f16_e32 v15, v92
	s_wait_loadcnt 0x4
	v_cvt_f32_f16_e32 v14, v93
	ds_bpermute_b32 v9, v2, v3 offset:28
	s_wait_dscnt 0x3
	v_pk_mul_f32 v[6:7], v[10:11], v[6:7]
	v_add_f32_e32 v4, v87, v4
	s_wait_loadcnt 0x3
	v_cvt_f32_f16_e32 v11, v94
	s_delay_alu instid0(VALU_DEP_2)
	v_add_f32_e32 v10, v4, v5
	v_pk_mul_f32 v[4:5], v[16:17], v[14:15]
	s_wait_loadcnt 0x1
	v_cvt_f32_f16_e32 v15, v96
	s_wait_loadcnt 0x0
	v_cvt_f32_f16_e32 v14, v97
	v_add_f32_e32 v3, v10, v6
	v_cvt_f32_f16_e32 v10, v95
	s_wait_dscnt 0x2
	v_pk_mul_f32 v[4:5], v[4:5], v[12:13]
	s_delay_alu instid0(VALU_DEP_3) | instskip(NEXT) | instid1(VALU_DEP_3)
	v_add_f32_e32 v3, v3, v7
	v_pk_mul_f32 v[6:7], v[10:11], v[14:15]
	s_delay_alu instid0(VALU_DEP_2) | instskip(NEXT) | instid1(VALU_DEP_1)
	v_add_f32_e32 v3, v3, v4
	v_add_f32_e32 v3, v3, v5
	s_wait_dscnt 0x0
	s_delay_alu instid0(VALU_DEP_3) | instskip(NEXT) | instid1(VALU_DEP_1)
	v_pk_mul_f32 v[4:5], v[6:7], v[8:9]
	v_add_f32_e32 v3, v3, v4
	s_delay_alu instid0(VALU_DEP_1)
	v_add_f32_e32 v3, v3, v5
.LBB170_81:                             ;   in Loop: Header=BB170_53 Depth=1
	s_add_nc_u64 s[16:17], s[16:17], s[18:19]
	v_add_nc_u64_e32 v[52:53], s[36:37], v[52:53]
	v_cmp_ge_i64_e64 s2, s[16:17], s[4:5]
	v_add_nc_u64_e32 v[54:55], s[36:37], v[54:55]
	v_add_nc_u64_e32 v[22:23], s[36:37], v[22:23]
	;; [unrolled: 1-line block ×29, first 2 shown]
	s_and_b32 vcc_lo, exec_lo, s2
	s_add_nc_u64 s[38:39], s[38:39], s[18:19]
	s_cbranch_vccnz .LBB170_83
; %bb.82:                               ;   in Loop: Header=BB170_53 Depth=1
	v_mov_b32_e32 v87, v3
	s_branch .LBB170_53
.LBB170_83:
	v_and_b32_e32 v1, 0x3ff, v0
	v_bfe_u32 v0, v0, 10, 10
	s_mov_b32 s2, exec_lo
	s_delay_alu instid0(VALU_DEP_1) | instskip(NEXT) | instid1(VALU_DEP_1)
	v_mad_u32_u24 v2, 0x41, v0, v1
	v_dual_mov_b32 v6, 0 :: v_dual_sub_nc_u32 v4, v2, v0
	v_lshl_add_u32 v5, v2, 2, 0
	ds_store_b32 v5, v3
	ds_store_b32 v5, v6 offset:2080
	s_wait_dscnt 0x0
	s_barrier_signal -1
	s_barrier_wait -1
	v_cmpx_gt_u32_e32 0x800, v4
	s_cbranch_execz .LBB170_103
; %bb.84:
	s_load_b64 s[2:3], s[0:1], 0x30
	v_dual_lshrrev_b32 v0, 5, v4 :: v_dual_bitop2_b32 v2, 31, v1 bitop3:0x40
	s_delay_alu instid0(VALU_DEP_1)
	v_cmp_gt_u32_e32 vcc_lo, 8, v2
	v_mul_u32_u24_e32 v5, 0x41, v2
                                        ; implicit-def: $vgpr2
	s_wait_xcnt 0x0
	s_and_saveexec_b32 s0, vcc_lo
; %bb.85:
	s_delay_alu instid0(VALU_DEP_1) | instskip(NEXT) | instid1(VALU_DEP_1)
	v_dual_lshlrev_b32 v2, 2, v0 :: v_dual_lshlrev_b32 v3, 2, v5
	v_add3_u32 v2, 0, v2, v3
	ds_load_b32 v2, v2
; %bb.86:
	s_or_b32 exec_lo, exec_lo, s0
	v_mbcnt_lo_u32_b32 v3, -1, 0
	s_mov_b32 s13, 0
	s_delay_alu instid0(SALU_CYCLE_1)
	s_lshl_b64 s[4:5], s[12:13], 6
	s_wait_kmcnt 0x0
	s_cmp_eq_u64 s[2:3], 0
	v_xor_b32_e32 v6, 4, v3
	v_xor_b32_e32 v9, 1, v3
	s_cselect_b32 s8, -1, 0
	v_xor_b32_e32 v7, 2, v3
	s_delay_alu instid0(VALU_DEP_3) | instskip(NEXT) | instid1(VALU_DEP_1)
	v_cmp_gt_i32_e64 s0, 32, v6
	v_cndmask_b32_e64 v6, v3, v6, s0
	s_delay_alu instid0(VALU_DEP_3) | instskip(NEXT) | instid1(VALU_DEP_1)
	v_cmp_gt_i32_e64 s0, 32, v7
	v_dual_lshlrev_b32 v6, 2, v6 :: v_dual_cndmask_b32 v7, v3, v7, s0
	v_cmp_gt_i32_e64 s0, 32, v9
	s_wait_dscnt 0x0
	ds_bpermute_b32 v8, v6, v2
	v_dual_lshlrev_b32 v7, 2, v7 :: v_dual_cndmask_b32 v3, v3, v9, s0
	v_cmp_ne_u32_e64 s0, 0, v1
	s_wait_dscnt 0x0
	v_add_f32_e32 v2, v2, v8
	ds_bpermute_b32 v8, v7, v2
	s_wait_dscnt 0x0
	v_dual_add_f32 v9, v2, v8 :: v_dual_lshlrev_b32 v8, 2, v3
	v_mov_b32_e32 v3, s5
	ds_bpermute_b32 v10, v8, v9
	s_wait_dscnt 0x0
	v_dual_add_f32 v9, v9, v10 :: v_dual_bitop2_b32 v2, s4, v0 bitop3:0x54
	s_delay_alu instid0(VALU_DEP_1) | instskip(SKIP_1) | instid1(SALU_CYCLE_1)
	v_cmp_le_i64_e64 s1, s[6:7], v[2:3]
	s_or_b32 s1, s0, s1
	s_nor_b32 s9, s8, s1
	s_delay_alu instid0(SALU_CYCLE_1)
	s_and_saveexec_b32 s1, s9
	s_cbranch_execz .LBB170_88
; %bb.87:
	v_lshl_add_u64 v[2:3], v[2:3], 1, s[2:3]
	v_cvt_f16_f32_e32 v1, v9
	global_store_b16 v[2:3], v1, off
.LBB170_88:
	s_wait_xcnt 0x0
	s_or_b32 exec_lo, exec_lo, s1
	v_cmp_gt_u32_e64 s1, 0x600, v4
	s_and_b32 exec_lo, exec_lo, s1
	s_cbranch_execz .LBB170_103
; %bb.89:
	v_mov_b32_e32 v1, 0
	s_and_saveexec_b32 s1, vcc_lo
; %bb.90:
	v_dual_lshlrev_b32 v2, 2, v0 :: v_dual_lshlrev_b32 v3, 2, v5
	s_delay_alu instid0(VALU_DEP_1)
	v_add3_u32 v2, 0, v2, v3
	ds_load_b32 v9, v2 offset:64
; %bb.91:
	s_or_b32 exec_lo, exec_lo, s1
	s_wait_dscnt 0x0
	ds_bpermute_b32 v2, v6, v9
	s_wait_dscnt 0x0
	v_add_f32_e32 v2, v9, v2
	ds_bpermute_b32 v3, v7, v2
	s_wait_dscnt 0x0
	v_dual_add_f32 v9, v2, v3 :: v_dual_add_nc_u32 v2, 16, v0
	v_mov_b32_e32 v3, v1
	ds_bpermute_b32 v10, v8, v9
	v_add_nc_u64_e32 v[2:3], s[4:5], v[2:3]
	s_delay_alu instid0(VALU_DEP_1) | instskip(SKIP_1) | instid1(SALU_CYCLE_1)
	v_cmp_le_i64_e64 s1, s[6:7], v[2:3]
	s_or_b32 s1, s0, s1
	s_nor_b32 s9, s8, s1
	s_wait_dscnt 0x0
	v_add_f32_e32 v2, v9, v10
	s_and_saveexec_b32 s1, s9
	s_cbranch_execz .LBB170_93
; %bb.92:
	v_add_nc_u64_e32 v[10:11], s[4:5], v[0:1]
	s_delay_alu instid0(VALU_DEP_2) | instskip(NEXT) | instid1(VALU_DEP_2)
	v_cvt_f16_f32_e32 v3, v2
	v_lshl_add_u64 v[10:11], v[10:11], 1, s[2:3]
	global_store_b16 v[10:11], v3, off offset:32
.LBB170_93:
	s_wait_xcnt 0x0
	s_or_b32 exec_lo, exec_lo, s1
	v_cmp_gt_u32_e64 s1, 0x400, v4
	s_and_b32 exec_lo, exec_lo, s1
	s_cbranch_execz .LBB170_103
; %bb.94:
	s_and_saveexec_b32 s1, vcc_lo
; %bb.95:
	v_dual_lshlrev_b32 v2, 2, v0 :: v_dual_lshlrev_b32 v3, 2, v5
	s_delay_alu instid0(VALU_DEP_1)
	v_add3_u32 v2, 0, v2, v3
	ds_load_b32 v2, v2 offset:128
; %bb.96:
	s_or_b32 exec_lo, exec_lo, s1
	s_wait_dscnt 0x0
	ds_bpermute_b32 v3, v6, v2
	s_wait_dscnt 0x0
	v_add_f32_e32 v2, v2, v3
	ds_bpermute_b32 v3, v7, v2
	s_wait_dscnt 0x0
	v_dual_add_f32 v9, v2, v3 :: v_dual_add_nc_u32 v2, 32, v0
	v_mov_b32_e32 v3, s5
	ds_bpermute_b32 v10, v8, v9
	v_or_b32_e32 v2, s4, v2
	s_delay_alu instid0(VALU_DEP_1) | instskip(SKIP_1) | instid1(SALU_CYCLE_1)
	v_cmp_le_i64_e64 s1, s[6:7], v[2:3]
	s_or_b32 s1, s0, s1
	s_nor_b32 s9, s8, s1
	s_wait_dscnt 0x0
	v_add_f32_e32 v2, v9, v10
	s_and_saveexec_b32 s1, s9
	s_cbranch_execz .LBB170_98
; %bb.97:
	v_add_nc_u64_e32 v[10:11], s[4:5], v[0:1]
	s_delay_alu instid0(VALU_DEP_2) | instskip(NEXT) | instid1(VALU_DEP_2)
	v_cvt_f16_f32_e32 v3, v2
	v_lshl_add_u64 v[10:11], v[10:11], 1, s[2:3]
	global_store_b16 v[10:11], v3, off offset:64
.LBB170_98:
	s_wait_xcnt 0x0
	s_or_b32 exec_lo, exec_lo, s1
	v_cmp_gt_u32_e64 s1, 0x200, v4
	s_and_b32 exec_lo, exec_lo, s1
	s_cbranch_execz .LBB170_103
; %bb.99:
	s_and_saveexec_b32 s1, vcc_lo
; %bb.100:
	v_dual_lshlrev_b32 v2, 2, v0 :: v_dual_lshlrev_b32 v3, 2, v5
	s_delay_alu instid0(VALU_DEP_1)
	v_add3_u32 v2, 0, v2, v3
	ds_load_b32 v2, v2 offset:192
; %bb.101:
	s_or_b32 exec_lo, exec_lo, s1
	s_wait_dscnt 0x0
	ds_bpermute_b32 v3, v6, v2
	v_dual_mov_b32 v5, s5 :: v_dual_add_nc_u32 v4, 48, v0
	s_delay_alu instid0(VALU_DEP_1) | instskip(NEXT) | instid1(VALU_DEP_1)
	v_or_b32_e32 v4, s4, v4
	v_cmp_le_i64_e32 vcc_lo, s[6:7], v[4:5]
	s_or_b32 s0, s0, vcc_lo
	s_wait_dscnt 0x0
	v_add_f32_e32 v2, v2, v3
	s_nor_b32 s0, s8, s0
	ds_bpermute_b32 v3, v7, v2
	s_wait_dscnt 0x0
	v_add_f32_e32 v2, v2, v3
	ds_bpermute_b32 v3, v8, v2
	s_and_saveexec_b32 s1, s0
	s_delay_alu instid0(SALU_CYCLE_1)
	s_xor_b32 s1, exec_lo, s1
	s_cbranch_execz .LBB170_103
; %bb.102:
	v_add_nc_u64_e32 v[0:1], s[4:5], v[0:1]
	s_wait_dscnt 0x0
	v_add_f32_e32 v2, v2, v3
	s_delay_alu instid0(VALU_DEP_1) | instskip(NEXT) | instid1(VALU_DEP_3)
	v_cvt_f16_f32_e32 v2, v2
	v_lshl_add_u64 v[0:1], v[0:1], 1, s[2:3]
	global_store_b16 v[0:1], v2, off offset:96
.LBB170_103:
	s_sendmsg sendmsg(MSG_DEALLOC_VGPRS)
	s_endpgm
	.section	.rodata,"a",@progbits
	.p2align	6, 0x0
	.amdhsa_kernel _ZN2at6native12_GLOBAL__N_135GammaBetaBackwardCUDAKernelTemplateIN3c104HalfEfLj64ELj8ELj64ELb0ELb0ELb1EEEvllPKT_S7_PKT0_SA_PS5_SB_
		.amdhsa_group_segment_fixed_size 0
		.amdhsa_private_segment_fixed_size 0
		.amdhsa_kernarg_size 320
		.amdhsa_user_sgpr_count 2
		.amdhsa_user_sgpr_dispatch_ptr 0
		.amdhsa_user_sgpr_queue_ptr 0
		.amdhsa_user_sgpr_kernarg_segment_ptr 1
		.amdhsa_user_sgpr_dispatch_id 0
		.amdhsa_user_sgpr_kernarg_preload_length 0
		.amdhsa_user_sgpr_kernarg_preload_offset 0
		.amdhsa_user_sgpr_private_segment_size 0
		.amdhsa_wavefront_size32 1
		.amdhsa_uses_dynamic_stack 0
		.amdhsa_enable_private_segment 0
		.amdhsa_system_sgpr_workgroup_id_x 1
		.amdhsa_system_sgpr_workgroup_id_y 1
		.amdhsa_system_sgpr_workgroup_id_z 0
		.amdhsa_system_sgpr_workgroup_info 0
		.amdhsa_system_vgpr_workitem_id 1
		.amdhsa_next_free_vgpr 98
		.amdhsa_next_free_sgpr 50
		.amdhsa_named_barrier_count 0
		.amdhsa_reserve_vcc 1
		.amdhsa_float_round_mode_32 0
		.amdhsa_float_round_mode_16_64 0
		.amdhsa_float_denorm_mode_32 3
		.amdhsa_float_denorm_mode_16_64 3
		.amdhsa_fp16_overflow 0
		.amdhsa_memory_ordered 1
		.amdhsa_forward_progress 1
		.amdhsa_inst_pref_size 51
		.amdhsa_round_robin_scheduling 0
		.amdhsa_exception_fp_ieee_invalid_op 0
		.amdhsa_exception_fp_denorm_src 0
		.amdhsa_exception_fp_ieee_div_zero 0
		.amdhsa_exception_fp_ieee_overflow 0
		.amdhsa_exception_fp_ieee_underflow 0
		.amdhsa_exception_fp_ieee_inexact 0
		.amdhsa_exception_int_div_zero 0
	.end_amdhsa_kernel
	.section	.text._ZN2at6native12_GLOBAL__N_135GammaBetaBackwardCUDAKernelTemplateIN3c104HalfEfLj64ELj8ELj64ELb0ELb0ELb1EEEvllPKT_S7_PKT0_SA_PS5_SB_,"axG",@progbits,_ZN2at6native12_GLOBAL__N_135GammaBetaBackwardCUDAKernelTemplateIN3c104HalfEfLj64ELj8ELj64ELb0ELb0ELb1EEEvllPKT_S7_PKT0_SA_PS5_SB_,comdat
.Lfunc_end170:
	.size	_ZN2at6native12_GLOBAL__N_135GammaBetaBackwardCUDAKernelTemplateIN3c104HalfEfLj64ELj8ELj64ELb0ELb0ELb1EEEvllPKT_S7_PKT0_SA_PS5_SB_, .Lfunc_end170-_ZN2at6native12_GLOBAL__N_135GammaBetaBackwardCUDAKernelTemplateIN3c104HalfEfLj64ELj8ELj64ELb0ELb0ELb1EEEvllPKT_S7_PKT0_SA_PS5_SB_
                                        ; -- End function
	.set _ZN2at6native12_GLOBAL__N_135GammaBetaBackwardCUDAKernelTemplateIN3c104HalfEfLj64ELj8ELj64ELb0ELb0ELb1EEEvllPKT_S7_PKT0_SA_PS5_SB_.num_vgpr, 98
	.set _ZN2at6native12_GLOBAL__N_135GammaBetaBackwardCUDAKernelTemplateIN3c104HalfEfLj64ELj8ELj64ELb0ELb0ELb1EEEvllPKT_S7_PKT0_SA_PS5_SB_.num_agpr, 0
	.set _ZN2at6native12_GLOBAL__N_135GammaBetaBackwardCUDAKernelTemplateIN3c104HalfEfLj64ELj8ELj64ELb0ELb0ELb1EEEvllPKT_S7_PKT0_SA_PS5_SB_.numbered_sgpr, 50
	.set _ZN2at6native12_GLOBAL__N_135GammaBetaBackwardCUDAKernelTemplateIN3c104HalfEfLj64ELj8ELj64ELb0ELb0ELb1EEEvllPKT_S7_PKT0_SA_PS5_SB_.num_named_barrier, 0
	.set _ZN2at6native12_GLOBAL__N_135GammaBetaBackwardCUDAKernelTemplateIN3c104HalfEfLj64ELj8ELj64ELb0ELb0ELb1EEEvllPKT_S7_PKT0_SA_PS5_SB_.private_seg_size, 0
	.set _ZN2at6native12_GLOBAL__N_135GammaBetaBackwardCUDAKernelTemplateIN3c104HalfEfLj64ELj8ELj64ELb0ELb0ELb1EEEvllPKT_S7_PKT0_SA_PS5_SB_.uses_vcc, 1
	.set _ZN2at6native12_GLOBAL__N_135GammaBetaBackwardCUDAKernelTemplateIN3c104HalfEfLj64ELj8ELj64ELb0ELb0ELb1EEEvllPKT_S7_PKT0_SA_PS5_SB_.uses_flat_scratch, 0
	.set _ZN2at6native12_GLOBAL__N_135GammaBetaBackwardCUDAKernelTemplateIN3c104HalfEfLj64ELj8ELj64ELb0ELb0ELb1EEEvllPKT_S7_PKT0_SA_PS5_SB_.has_dyn_sized_stack, 0
	.set _ZN2at6native12_GLOBAL__N_135GammaBetaBackwardCUDAKernelTemplateIN3c104HalfEfLj64ELj8ELj64ELb0ELb0ELb1EEEvllPKT_S7_PKT0_SA_PS5_SB_.has_recursion, 0
	.set _ZN2at6native12_GLOBAL__N_135GammaBetaBackwardCUDAKernelTemplateIN3c104HalfEfLj64ELj8ELj64ELb0ELb0ELb1EEEvllPKT_S7_PKT0_SA_PS5_SB_.has_indirect_call, 0
	.section	.AMDGPU.csdata,"",@progbits
; Kernel info:
; codeLenInByte = 6512
; TotalNumSgprs: 52
; NumVgprs: 98
; ScratchSize: 0
; MemoryBound: 0
; FloatMode: 240
; IeeeMode: 1
; LDSByteSize: 0 bytes/workgroup (compile time only)
; SGPRBlocks: 0
; VGPRBlocks: 6
; NumSGPRsForWavesPerEU: 52
; NumVGPRsForWavesPerEU: 98
; NamedBarCnt: 0
; Occupancy: 9
; WaveLimiterHint : 0
; COMPUTE_PGM_RSRC2:SCRATCH_EN: 0
; COMPUTE_PGM_RSRC2:USER_SGPR: 2
; COMPUTE_PGM_RSRC2:TRAP_HANDLER: 0
; COMPUTE_PGM_RSRC2:TGID_X_EN: 1
; COMPUTE_PGM_RSRC2:TGID_Y_EN: 1
; COMPUTE_PGM_RSRC2:TGID_Z_EN: 0
; COMPUTE_PGM_RSRC2:TIDIG_COMP_CNT: 1
	.section	.text._ZN2at6native12_GLOBAL__N_135GammaBetaBackwardCUDAKernelTemplateIN3c104HalfEfLj64ELj16ELj128ELb0ELb1ELb1EEEvllPKT_S7_PKT0_SA_PS5_SB_,"axG",@progbits,_ZN2at6native12_GLOBAL__N_135GammaBetaBackwardCUDAKernelTemplateIN3c104HalfEfLj64ELj16ELj128ELb0ELb1ELb1EEEvllPKT_S7_PKT0_SA_PS5_SB_,comdat
	.globl	_ZN2at6native12_GLOBAL__N_135GammaBetaBackwardCUDAKernelTemplateIN3c104HalfEfLj64ELj16ELj128ELb0ELb1ELb1EEEvllPKT_S7_PKT0_SA_PS5_SB_ ; -- Begin function _ZN2at6native12_GLOBAL__N_135GammaBetaBackwardCUDAKernelTemplateIN3c104HalfEfLj64ELj16ELj128ELb0ELb1ELb1EEEvllPKT_S7_PKT0_SA_PS5_SB_
	.p2align	8
	.type	_ZN2at6native12_GLOBAL__N_135GammaBetaBackwardCUDAKernelTemplateIN3c104HalfEfLj64ELj16ELj128ELb0ELb1ELb1EEEvllPKT_S7_PKT0_SA_PS5_SB_,@function
_ZN2at6native12_GLOBAL__N_135GammaBetaBackwardCUDAKernelTemplateIN3c104HalfEfLj64ELj16ELj128ELb0ELb1ELb1EEEvllPKT_S7_PKT0_SA_PS5_SB_: ; @_ZN2at6native12_GLOBAL__N_135GammaBetaBackwardCUDAKernelTemplateIN3c104HalfEfLj64ELj16ELj128ELb0ELb1ELb1EEEvllPKT_S7_PKT0_SA_PS5_SB_
; %bb.0:
	s_load_b128 s[4:7], s[0:1], 0x0
	s_bfe_u32 s2, ttmp6, 0x40010
	s_bfe_u32 s3, ttmp6, 0x40004
	s_add_co_i32 s2, s2, 1
	s_getreg_b32 s20, hwreg(HW_REG_IB_STS2, 6, 4)
	s_mul_i32 s2, ttmp7, s2
	s_mov_b32 s13, 0
	s_add_co_i32 s3, s3, s2
	s_cmp_eq_u32 s20, 0
	v_bfe_u32 v9, v0, 10, 10
	s_cselect_b32 s2, ttmp7, s3
	s_delay_alu instid0(SALU_CYCLE_1)
	s_lshl_b32 s12, s2, 7
	s_wait_kmcnt 0x0
	v_cmp_gt_i64_e64 s2, s[4:5], s[12:13]
	s_and_b32 vcc_lo, exec_lo, s2
	s_cbranch_vccnz .LBB171_2
; %bb.1:
	v_bfe_u32 v1, v0, 10, 10
	s_mov_b32 s2, s13
	v_and_b32_e32 v8, 0x3ff, v0
	v_mov_b32_e32 v16, 0
	s_and_not1_b32 vcc_lo, exec_lo, s2
	s_cbranch_vccz .LBB171_3
	s_branch .LBB171_10
.LBB171_2:
                                        ; implicit-def: $vgpr1
	v_and_b32_e32 v8, 0x3ff, v0
	v_mov_b32_e32 v16, 0
.LBB171_3:
	v_dual_mov_b32 v1, 0 :: v_dual_lshlrev_b32 v0, 3, v9
	s_load_b32 s2, s[0:1], 0x4c
	s_bfe_u32 s14, ttmp6, 0x4000c
	s_clause 0x2
	s_load_b32 s3, s[0:1], 0x44
	s_load_b128 s[8:11], s[0:1], 0x10
	s_load_b64 s[16:17], s[0:1], 0x28
	s_add_co_i32 s14, s14, 1
	v_add_nc_u64_e32 v[2:3], s[12:13], v[0:1]
	s_and_b32 s18, ttmp6, 15
	s_mul_i32 s14, ttmp9, s14
	v_dual_mov_b32 v5, v1 :: v_dual_mov_b32 v15, v1
	s_add_co_i32 s18, s18, s14
	s_mov_b32 s15, 0
	s_delay_alu instid0(VALU_DEP_2)
	v_mul_u64_e32 v[6:7], s[6:7], v[2:3]
	v_dual_mov_b32 v0, 8 :: v_dual_mov_b32 v10, 4
	v_dual_mov_b32 v12, 16 :: v_dual_mov_b32 v13, 20
	v_mov_b32_e32 v11, 12
	s_wait_kmcnt 0x0
	s_and_b32 s2, s2, 0xffff
	s_cmp_eq_u32 s20, 0
	v_mad_u32_u24 v4, v9, s2, v8
	s_cselect_b32 s2, ttmp9, s18
	s_lshl_b32 s14, s3, 7
	v_lshl_add_u32 v14, s2, 6, v8
	s_mul_u64 s[18:19], s[6:7], s[14:15]
	v_and_b32_e32 v4, 31, v4
	s_lshl_b64 s[18:19], s[18:19], 1
	s_lshl_b64 s[6:7], s[6:7], 1
	v_lshlrev_b64_e32 v[16:17], 1, v[14:15]
	v_dual_mov_b32 v14, 24 :: v_dual_mov_b32 v15, 28
	v_add_nc_u64_e32 v[2:3], v[2:3], v[4:5]
	v_cmp_gt_u32_e64 s2, 8, v4
	s_delay_alu instid0(VALU_DEP_2)
	v_lshl_add_u64 v[4:5], v[2:3], 2, s[16:17]
	s_lshl_b64 s[16:17], s[14:15], 2
	v_lshl_add_u64 v[6:7], v[6:7], 1, v[16:17]
	v_mov_b32_e32 v16, 0
	s_branch .LBB171_6
.LBB171_4:                              ;   in Loop: Header=BB171_6 Depth=1
	s_wait_xcnt 0x0
	s_or_b32 exec_lo, exec_lo, s21
.LBB171_5:                              ;   in Loop: Header=BB171_6 Depth=1
	s_delay_alu instid0(SALU_CYCLE_1)
	s_or_b32 exec_lo, exec_lo, s3
	v_add_nc_u64_e32 v[18:19], s[8:9], v[6:7]
	v_add_nc_u64_e32 v[20:21], s[10:11], v[6:7]
	s_add_nc_u64 s[12:13], s[12:13], s[14:15]
	v_add_nc_u64_e32 v[4:5], s[16:17], v[4:5]
	v_cmp_lt_i64_e64 s3, s[12:13], s[4:5]
	v_add_nc_u64_e32 v[2:3], s[14:15], v[2:3]
	v_add_nc_u64_e32 v[6:7], s[18:19], v[6:7]
	;; [unrolled: 1-line block ×4, first 2 shown]
	global_load_u16 v30, v[18:19], off
	global_load_u16 v31, v[20:21], off
	;; [unrolled: 1-line block ×4, first 2 shown]
	s_and_b32 vcc_lo, exec_lo, s3
	v_add_nc_u64_e32 v[26:27], s[6:7], v[22:23]
	v_add_nc_u64_e32 v[28:29], s[6:7], v[24:25]
	global_load_u16 v34, v[26:27], off
	global_load_u16 v35, v[28:29], off
	s_wait_xcnt 0x5
	v_add_nc_u64_e32 v[18:19], s[6:7], v[26:27]
	s_wait_xcnt 0x4
	v_add_nc_u64_e32 v[20:21], s[6:7], v[28:29]
	global_load_u16 v27, v[18:19], off
	global_load_u16 v28, v[20:21], off
	v_add_nc_u64_e32 v[22:23], s[6:7], v[18:19]
	v_add_nc_u64_e32 v[24:25], s[6:7], v[20:21]
	global_load_u16 v29, v[22:23], off
	global_load_u16 v36, v[24:25], off
	s_wait_xcnt 0x3
	v_add_nc_u64_e32 v[18:19], s[6:7], v[22:23]
	s_wait_xcnt 0x2
	v_add_nc_u64_e32 v[20:21], s[6:7], v[24:25]
	global_load_u16 v37, v[18:19], off
	global_load_u16 v38, v[20:21], off
	s_wait_xcnt 0x3
	v_add_nc_u64_e32 v[22:23], s[6:7], v[18:19]
	s_wait_xcnt 0x2
	v_add_nc_u64_e32 v[24:25], s[6:7], v[20:21]
	s_wait_xcnt 0x1
	s_delay_alu instid0(VALU_DEP_2) | instskip(SKIP_1) | instid1(VALU_DEP_2)
	v_add_nc_u64_e32 v[18:19], s[6:7], v[22:23]
	s_wait_xcnt 0x0
	v_add_nc_u64_e32 v[20:21], s[6:7], v[24:25]
	global_load_u16 v39, v[22:23], off
	global_load_u16 v40, v[24:25], off
	;; [unrolled: 1-line block ×4, first 2 shown]
	s_wait_loadcnt 0x10
	s_wait_xcnt 0x1
	ds_bpermute_b32 v18, v1, v17
	ds_bpermute_b32 v19, v10, v17
	;; [unrolled: 1-line block ×4, first 2 shown]
	s_wait_loadcnt 0xf
	s_wait_xcnt 0x0
	v_cvt_f32_f16_e32 v20, v30
	s_wait_loadcnt 0xe
	v_cvt_f32_f16_e32 v22, v31
	s_wait_loadcnt 0xd
	;; [unrolled: 2-line block ×3, first 2 shown]
	v_cvt_f32_f16_e32 v23, v33
	s_delay_alu instid0(VALU_DEP_1)
	v_pk_mul_f32 v[20:21], v[20:21], v[22:23]
	s_wait_loadcnt 0xb
	v_cvt_f32_f16_e32 v22, v34
	s_wait_loadcnt 0xa
	v_cvt_f32_f16_e32 v26, v35
	s_wait_dscnt 0x2
	v_pk_mul_f32 v[18:19], v[20:21], v[18:19]
	ds_bpermute_b32 v20, v12, v17
	ds_bpermute_b32 v21, v13, v17
	s_wait_loadcnt 0x9
	v_cvt_f32_f16_e32 v23, v27
	s_wait_loadcnt 0x8
	v_cvt_f32_f16_e32 v27, v28
	s_delay_alu instid0(VALU_DEP_1) | instskip(SKIP_1) | instid1(VALU_DEP_1)
	v_pk_mul_f32 v[22:23], v[22:23], v[26:27]
	s_wait_dscnt 0x2
	v_pk_mul_f32 v[22:23], v[22:23], v[24:25]
	v_add_f32_e32 v18, v16, v18
	ds_bpermute_b32 v16, v14, v17
	s_wait_loadcnt 0x6
	v_cvt_f32_f16_e32 v24, v36
	ds_bpermute_b32 v17, v15, v17
	v_add_f32_e32 v26, v18, v19
	v_cvt_f32_f16_e32 v18, v29
	s_wait_loadcnt 0x5
	v_cvt_f32_f16_e32 v19, v37
	s_wait_loadcnt 0x4
	v_cvt_f32_f16_e32 v25, v38
	v_add_f32_e32 v22, v26, v22
	s_delay_alu instid0(VALU_DEP_2) | instskip(NEXT) | instid1(VALU_DEP_2)
	v_pk_mul_f32 v[18:19], v[18:19], v[24:25]
	v_add_f32_e32 v26, v22, v23
	s_wait_loadcnt 0x3
	v_cvt_f32_f16_e32 v22, v39
	s_wait_loadcnt 0x2
	v_cvt_f32_f16_e32 v24, v40
	s_wait_dscnt 0x2
	v_pk_mul_f32 v[18:19], v[18:19], v[20:21]
	s_wait_loadcnt 0x1
	v_cvt_f32_f16_e32 v23, v41
	s_wait_loadcnt 0x0
	v_cvt_f32_f16_e32 v25, v42
	v_add_f32_e32 v18, v26, v18
	s_delay_alu instid0(VALU_DEP_2) | instskip(NEXT) | instid1(VALU_DEP_2)
	v_pk_mul_f32 v[20:21], v[22:23], v[24:25]
	v_add_f32_e32 v18, v18, v19
	s_wait_dscnt 0x0
	s_delay_alu instid0(VALU_DEP_2) | instskip(NEXT) | instid1(VALU_DEP_1)
	v_pk_mul_f32 v[16:17], v[20:21], v[16:17]
	v_add_f32_e32 v16, v18, v16
	s_delay_alu instid0(VALU_DEP_1)
	v_add_f32_e32 v16, v16, v17
	s_cbranch_vccz .LBB171_9
.LBB171_6:                              ; =>This Inner Loop Header: Depth=1
	v_mov_b32_e32 v17, 0
	s_and_saveexec_b32 s3, s2
	s_cbranch_execz .LBB171_5
; %bb.7:                                ;   in Loop: Header=BB171_6 Depth=1
	v_mov_b32_e32 v17, 0
	s_mov_b32 s21, exec_lo
	v_cmpx_gt_i64_e64 s[4:5], v[2:3]
	s_cbranch_execz .LBB171_4
; %bb.8:                                ;   in Loop: Header=BB171_6 Depth=1
	global_load_b32 v17, v[4:5], off
	s_branch .LBB171_4
.LBB171_9:
	v_mov_b32_e32 v1, v9
.LBB171_10:
	s_load_b64 s[2:3], s[0:1], 0x30
	s_delay_alu instid0(VALU_DEP_1) | instskip(SKIP_3) | instid1(VALU_DEP_2)
	v_mad_u32_u24 v0, 0x41, v1, v8
	v_mov_b32_e32 v3, 0
	s_wait_xcnt 0x0
	s_mov_b32 s0, exec_lo
	v_lshl_add_u32 v2, v0, 2, 0
	v_sub_nc_u32_e32 v1, v0, v1
	ds_store_b32 v2, v16
	ds_store_b32 v2, v3 offset:4160
	s_wait_dscnt 0x0
	s_barrier_signal -1
	s_barrier_wait -1
	v_cmpx_gt_u32_e32 0x800, v1
	s_cbranch_execz .LBB171_20
; %bb.11:
	v_dual_lshrrev_b32 v0, 5, v1 :: v_dual_bitop2_b32 v2, 31, v8 bitop3:0x40
                                        ; implicit-def: $vgpr5
	s_delay_alu instid0(VALU_DEP_1)
	v_cmp_gt_u32_e32 vcc_lo, 16, v2
	v_mul_u32_u24_e32 v2, 0x41, v2
	s_and_saveexec_b32 s0, vcc_lo
; %bb.12:
	s_delay_alu instid0(VALU_DEP_1) | instskip(NEXT) | instid1(VALU_DEP_1)
	v_dual_lshlrev_b32 v3, 2, v0 :: v_dual_lshlrev_b32 v4, 2, v2
	v_add3_u32 v3, 0, v3, v4
	ds_load_b32 v5, v3
; %bb.13:
	s_or_b32 exec_lo, exec_lo, s0
	v_mbcnt_lo_u32_b32 v6, -1, 0
	s_wait_kmcnt 0x0
	s_cmp_lg_u64 s[2:3], 0
	s_cselect_b32 s1, -1, 0
	s_bfe_u32 s4, ttmp6, 0x4000c
	v_xor_b32_e32 v4, 4, v6
	v_xor_b32_e32 v3, 8, v6
	s_add_co_i32 s4, s4, 1
	s_and_b32 s5, ttmp6, 15
	s_mul_i32 s4, ttmp9, s4
	v_xor_b32_e32 v10, 1, v6
	v_cmp_gt_i32_e64 s0, 32, v3
	s_delay_alu instid0(VALU_DEP_1) | instskip(SKIP_1) | instid1(VALU_DEP_1)
	v_cndmask_b32_e64 v3, v6, v3, s0
	v_cmp_gt_i32_e64 s0, 32, v4
	v_cndmask_b32_e64 v4, v6, v4, s0
	s_delay_alu instid0(VALU_DEP_1)
	v_dual_lshlrev_b32 v4, 2, v4 :: v_dual_lshlrev_b32 v3, 2, v3
	s_wait_dscnt 0x0
	ds_bpermute_b32 v7, v3, v5
	s_wait_dscnt 0x0
	v_dual_add_f32 v7, v5, v7 :: v_dual_bitop2_b32 v5, 2, v6 bitop3:0x14
	ds_bpermute_b32 v9, v4, v7
	v_cmp_gt_i32_e64 s0, 32, v5
	s_delay_alu instid0(VALU_DEP_1) | instskip(SKIP_1) | instid1(VALU_DEP_1)
	v_cndmask_b32_e64 v5, v6, v5, s0
	v_cmp_gt_i32_e64 s0, 32, v10
	v_dual_lshlrev_b32 v5, 2, v5 :: v_dual_cndmask_b32 v6, v6, v10, s0
	v_cmp_eq_u32_e64 s0, 0, v8
	s_delay_alu instid0(VALU_DEP_2)
	v_lshlrev_b32_e32 v6, 2, v6
	s_and_b32 s1, s0, s1
	s_add_co_i32 s0, s5, s4
	s_wait_dscnt 0x0
	v_add_f32_e32 v7, v7, v9
	s_cmp_eq_u32 s20, 0
	s_mov_b32 s5, 0
	s_cselect_b32 s4, ttmp9, s0
	ds_bpermute_b32 v9, v5, v7
	s_lshl_b64 s[4:5], s[4:5], 7
	s_delay_alu instid0(SALU_CYCLE_1)
	s_add_nc_u64 s[2:3], s[2:3], s[4:5]
	s_wait_dscnt 0x0
	v_add_f32_e32 v7, v7, v9
	ds_bpermute_b32 v9, v6, v7
	s_wait_dscnt 0x0
	v_add_f32_e32 v7, v7, v9
	s_and_saveexec_b32 s0, s1
	s_cbranch_execz .LBB171_15
; %bb.14:
	s_delay_alu instid0(VALU_DEP_1)
	v_cvt_f16_f32_e32 v8, v7
	global_store_b16 v0, v8, s[2:3] scale_offset
.LBB171_15:
	s_wait_xcnt 0x0
	s_or_b32 exec_lo, exec_lo, s0
	v_cmp_gt_u32_e64 s0, 0x400, v1
	s_and_b32 exec_lo, exec_lo, s0
	s_cbranch_execz .LBB171_20
; %bb.16:
	s_and_saveexec_b32 s0, vcc_lo
; %bb.17:
	v_dual_lshlrev_b32 v1, 2, v0 :: v_dual_lshlrev_b32 v2, 2, v2
	s_delay_alu instid0(VALU_DEP_1)
	v_add3_u32 v1, 0, v1, v2
	ds_load_b32 v7, v1 offset:128
; %bb.18:
	s_or_b32 exec_lo, exec_lo, s0
	s_wait_dscnt 0x0
	ds_bpermute_b32 v1, v3, v7
	s_wait_dscnt 0x0
	v_add_f32_e32 v1, v7, v1
	ds_bpermute_b32 v2, v4, v1
	s_wait_dscnt 0x0
	v_add_f32_e32 v1, v1, v2
	;; [unrolled: 3-line block ×3, first 2 shown]
	ds_bpermute_b32 v2, v6, v1
	s_and_saveexec_b32 s0, s1
	s_delay_alu instid0(SALU_CYCLE_1)
	s_xor_b32 s0, exec_lo, s0
	s_cbranch_execz .LBB171_20
; %bb.19:
	s_wait_dscnt 0x0
	v_add_f32_e32 v1, v1, v2
	s_delay_alu instid0(VALU_DEP_1)
	v_cvt_f16_f32_e32 v1, v1
	global_store_b16 v0, v1, s[2:3] offset:64 scale_offset
.LBB171_20:
	s_endpgm
	.section	.rodata,"a",@progbits
	.p2align	6, 0x0
	.amdhsa_kernel _ZN2at6native12_GLOBAL__N_135GammaBetaBackwardCUDAKernelTemplateIN3c104HalfEfLj64ELj16ELj128ELb0ELb1ELb1EEEvllPKT_S7_PKT0_SA_PS5_SB_
		.amdhsa_group_segment_fixed_size 0
		.amdhsa_private_segment_fixed_size 0
		.amdhsa_kernarg_size 320
		.amdhsa_user_sgpr_count 2
		.amdhsa_user_sgpr_dispatch_ptr 0
		.amdhsa_user_sgpr_queue_ptr 0
		.amdhsa_user_sgpr_kernarg_segment_ptr 1
		.amdhsa_user_sgpr_dispatch_id 0
		.amdhsa_user_sgpr_kernarg_preload_length 0
		.amdhsa_user_sgpr_kernarg_preload_offset 0
		.amdhsa_user_sgpr_private_segment_size 0
		.amdhsa_wavefront_size32 1
		.amdhsa_uses_dynamic_stack 0
		.amdhsa_enable_private_segment 0
		.amdhsa_system_sgpr_workgroup_id_x 1
		.amdhsa_system_sgpr_workgroup_id_y 1
		.amdhsa_system_sgpr_workgroup_id_z 0
		.amdhsa_system_sgpr_workgroup_info 0
		.amdhsa_system_vgpr_workitem_id 1
		.amdhsa_next_free_vgpr 43
		.amdhsa_next_free_sgpr 22
		.amdhsa_named_barrier_count 0
		.amdhsa_reserve_vcc 1
		.amdhsa_float_round_mode_32 0
		.amdhsa_float_round_mode_16_64 0
		.amdhsa_float_denorm_mode_32 3
		.amdhsa_float_denorm_mode_16_64 3
		.amdhsa_fp16_overflow 0
		.amdhsa_memory_ordered 1
		.amdhsa_forward_progress 1
		.amdhsa_inst_pref_size 14
		.amdhsa_round_robin_scheduling 0
		.amdhsa_exception_fp_ieee_invalid_op 0
		.amdhsa_exception_fp_denorm_src 0
		.amdhsa_exception_fp_ieee_div_zero 0
		.amdhsa_exception_fp_ieee_overflow 0
		.amdhsa_exception_fp_ieee_underflow 0
		.amdhsa_exception_fp_ieee_inexact 0
		.amdhsa_exception_int_div_zero 0
	.end_amdhsa_kernel
	.section	.text._ZN2at6native12_GLOBAL__N_135GammaBetaBackwardCUDAKernelTemplateIN3c104HalfEfLj64ELj16ELj128ELb0ELb1ELb1EEEvllPKT_S7_PKT0_SA_PS5_SB_,"axG",@progbits,_ZN2at6native12_GLOBAL__N_135GammaBetaBackwardCUDAKernelTemplateIN3c104HalfEfLj64ELj16ELj128ELb0ELb1ELb1EEEvllPKT_S7_PKT0_SA_PS5_SB_,comdat
.Lfunc_end171:
	.size	_ZN2at6native12_GLOBAL__N_135GammaBetaBackwardCUDAKernelTemplateIN3c104HalfEfLj64ELj16ELj128ELb0ELb1ELb1EEEvllPKT_S7_PKT0_SA_PS5_SB_, .Lfunc_end171-_ZN2at6native12_GLOBAL__N_135GammaBetaBackwardCUDAKernelTemplateIN3c104HalfEfLj64ELj16ELj128ELb0ELb1ELb1EEEvllPKT_S7_PKT0_SA_PS5_SB_
                                        ; -- End function
	.set _ZN2at6native12_GLOBAL__N_135GammaBetaBackwardCUDAKernelTemplateIN3c104HalfEfLj64ELj16ELj128ELb0ELb1ELb1EEEvllPKT_S7_PKT0_SA_PS5_SB_.num_vgpr, 43
	.set _ZN2at6native12_GLOBAL__N_135GammaBetaBackwardCUDAKernelTemplateIN3c104HalfEfLj64ELj16ELj128ELb0ELb1ELb1EEEvllPKT_S7_PKT0_SA_PS5_SB_.num_agpr, 0
	.set _ZN2at6native12_GLOBAL__N_135GammaBetaBackwardCUDAKernelTemplateIN3c104HalfEfLj64ELj16ELj128ELb0ELb1ELb1EEEvllPKT_S7_PKT0_SA_PS5_SB_.numbered_sgpr, 22
	.set _ZN2at6native12_GLOBAL__N_135GammaBetaBackwardCUDAKernelTemplateIN3c104HalfEfLj64ELj16ELj128ELb0ELb1ELb1EEEvllPKT_S7_PKT0_SA_PS5_SB_.num_named_barrier, 0
	.set _ZN2at6native12_GLOBAL__N_135GammaBetaBackwardCUDAKernelTemplateIN3c104HalfEfLj64ELj16ELj128ELb0ELb1ELb1EEEvllPKT_S7_PKT0_SA_PS5_SB_.private_seg_size, 0
	.set _ZN2at6native12_GLOBAL__N_135GammaBetaBackwardCUDAKernelTemplateIN3c104HalfEfLj64ELj16ELj128ELb0ELb1ELb1EEEvllPKT_S7_PKT0_SA_PS5_SB_.uses_vcc, 1
	.set _ZN2at6native12_GLOBAL__N_135GammaBetaBackwardCUDAKernelTemplateIN3c104HalfEfLj64ELj16ELj128ELb0ELb1ELb1EEEvllPKT_S7_PKT0_SA_PS5_SB_.uses_flat_scratch, 0
	.set _ZN2at6native12_GLOBAL__N_135GammaBetaBackwardCUDAKernelTemplateIN3c104HalfEfLj64ELj16ELj128ELb0ELb1ELb1EEEvllPKT_S7_PKT0_SA_PS5_SB_.has_dyn_sized_stack, 0
	.set _ZN2at6native12_GLOBAL__N_135GammaBetaBackwardCUDAKernelTemplateIN3c104HalfEfLj64ELj16ELj128ELb0ELb1ELb1EEEvllPKT_S7_PKT0_SA_PS5_SB_.has_recursion, 0
	.set _ZN2at6native12_GLOBAL__N_135GammaBetaBackwardCUDAKernelTemplateIN3c104HalfEfLj64ELj16ELj128ELb0ELb1ELb1EEEvllPKT_S7_PKT0_SA_PS5_SB_.has_indirect_call, 0
	.section	.AMDGPU.csdata,"",@progbits
; Kernel info:
; codeLenInByte = 1724
; TotalNumSgprs: 24
; NumVgprs: 43
; ScratchSize: 0
; MemoryBound: 0
; FloatMode: 240
; IeeeMode: 1
; LDSByteSize: 0 bytes/workgroup (compile time only)
; SGPRBlocks: 0
; VGPRBlocks: 2
; NumSGPRsForWavesPerEU: 24
; NumVGPRsForWavesPerEU: 43
; NamedBarCnt: 0
; Occupancy: 16
; WaveLimiterHint : 0
; COMPUTE_PGM_RSRC2:SCRATCH_EN: 0
; COMPUTE_PGM_RSRC2:USER_SGPR: 2
; COMPUTE_PGM_RSRC2:TRAP_HANDLER: 0
; COMPUTE_PGM_RSRC2:TGID_X_EN: 1
; COMPUTE_PGM_RSRC2:TGID_Y_EN: 1
; COMPUTE_PGM_RSRC2:TGID_Z_EN: 0
; COMPUTE_PGM_RSRC2:TIDIG_COMP_CNT: 1
	.section	.text._ZN2at6native12_GLOBAL__N_135GammaBetaBackwardCUDAKernelTemplateIN3c104HalfEfLj64ELj16ELj128ELb0ELb0ELb1EEEvllPKT_S7_PKT0_SA_PS5_SB_,"axG",@progbits,_ZN2at6native12_GLOBAL__N_135GammaBetaBackwardCUDAKernelTemplateIN3c104HalfEfLj64ELj16ELj128ELb0ELb0ELb1EEEvllPKT_S7_PKT0_SA_PS5_SB_,comdat
	.globl	_ZN2at6native12_GLOBAL__N_135GammaBetaBackwardCUDAKernelTemplateIN3c104HalfEfLj64ELj16ELj128ELb0ELb0ELb1EEEvllPKT_S7_PKT0_SA_PS5_SB_ ; -- Begin function _ZN2at6native12_GLOBAL__N_135GammaBetaBackwardCUDAKernelTemplateIN3c104HalfEfLj64ELj16ELj128ELb0ELb0ELb1EEEvllPKT_S7_PKT0_SA_PS5_SB_
	.p2align	8
	.type	_ZN2at6native12_GLOBAL__N_135GammaBetaBackwardCUDAKernelTemplateIN3c104HalfEfLj64ELj16ELj128ELb0ELb0ELb1EEEvllPKT_S7_PKT0_SA_PS5_SB_,@function
_ZN2at6native12_GLOBAL__N_135GammaBetaBackwardCUDAKernelTemplateIN3c104HalfEfLj64ELj16ELj128ELb0ELb0ELb1EEEvllPKT_S7_PKT0_SA_PS5_SB_: ; @_ZN2at6native12_GLOBAL__N_135GammaBetaBackwardCUDAKernelTemplateIN3c104HalfEfLj64ELj16ELj128ELb0ELb0ELb1EEEvllPKT_S7_PKT0_SA_PS5_SB_
; %bb.0:
	s_load_b256 s[4:11], s[0:1], 0x0
	s_bfe_u32 s3, ttmp6, 0x4000c
	s_bfe_u32 s12, ttmp6, 0x40010
	s_add_co_i32 s3, s3, 1
	s_add_co_i32 s12, s12, 1
	s_and_b32 s2, ttmp6, 15
	s_bfe_u32 s13, ttmp6, 0x40004
	s_mul_i32 s3, ttmp9, s3
	s_mul_i32 s12, ttmp7, s12
	s_getreg_b32 s14, hwreg(HW_REG_IB_STS2, 6, 4)
	s_add_co_i32 s2, s2, s3
	s_add_co_i32 s13, s13, s12
	s_cmp_eq_u32 s14, 0
	s_mov_b32 s17, 0
	s_cselect_b32 s12, ttmp9, s2
	s_cselect_b32 s2, ttmp7, s13
	s_lshl_b32 s3, s12, 6
	s_load_b64 s[14:15], s[0:1], 0x28
	s_or_b32 s16, s3, 63
	s_wait_kmcnt 0x0
	v_cmp_le_i64_e64 s18, s[6:7], s[16:17]
	s_lshl_b32 s16, s2, 7
	s_delay_alu instid0(SALU_CYCLE_1) | instskip(SKIP_2) | instid1(VALU_DEP_1)
	v_cmp_gt_i64_e64 s13, s[4:5], s[16:17]
	s_and_b32 vcc_lo, exec_lo, s18
	v_cndmask_b32_e64 v1, 0, 1, s13
	v_cmp_ne_u32_e64 s2, 1, v1
	s_cbranch_vccz .LBB172_49
; %bb.1:
	v_mov_b32_e32 v3, 0
	s_and_b32 vcc_lo, exec_lo, s2
	s_cbranch_vccnz .LBB172_50
; %bb.2:
	v_bfe_u32 v1, v0, 10, 10
	v_mov_b32_e32 v2, 0
	v_and_b32_e32 v58, 0x3ff, v0
	s_load_b32 s18, s[0:1], 0x44
	s_mov_b32 s19, 0
	s_delay_alu instid0(VALU_DEP_2) | instskip(NEXT) | instid1(VALU_DEP_2)
	v_dual_mov_b32 v21, v2 :: v_dual_lshlrev_b32 v20, 3, v1
	v_dual_mov_b32 v19, v2 :: v_dual_add_nc_u32 v18, s3, v58
	v_mov_b32_e32 v59, 0
	s_mov_b32 s35, s19
	s_delay_alu instid0(VALU_DEP_3)
	v_add_nc_u64_e32 v[4:5], s[16:17], v[20:21]
	s_add_nc_u64 s[20:21], s[0:1], 64
	v_cmp_gt_i64_e64 s2, s[6:7], v[18:19]
	v_lshlrev_b64_e32 v[22:23], 1, v[18:19]
	s_mov_b64 s[22:23], 0xffffffffffffff81
	s_mov_b64 s[24:25], 0xffffffffffffff82
	;; [unrolled: 1-line block ×3, first 2 shown]
	v_mul_u64_e32 v[6:7], s[6:7], v[4:5]
	v_add_nc_u64_e32 v[8:9], 7, v[4:5]
	v_add_nc_u64_e32 v[10:11], 6, v[4:5]
	;; [unrolled: 1-line block ×6, first 2 shown]
	s_wait_kmcnt 0x0
	s_lshl_b32 s34, s18, 7
	v_mul_u64_e32 v[8:9], s[6:7], v[8:9]
	v_mul_u64_e32 v[10:11], s[6:7], v[10:11]
	;; [unrolled: 1-line block ×6, first 2 shown]
	s_mul_u64 s[42:43], s[6:7], s[34:35]
	s_mov_b64 s[28:29], 0xffffffffffffff84
	s_mov_b64 s[30:31], 0xffffffffffffff85
	;; [unrolled: 1-line block ×5, first 2 shown]
	s_lshl_b64 s[42:43], s[42:43], 1
	s_add_nc_u64 s[44:45], s[16:17], 0x7f
	s_mov_b64 s[46:47], s[16:17]
	v_lshlrev_b64_e32 v[26:27], 1, v[6:7]
	v_add_nc_u64_e32 v[6:7], s[6:7], v[6:7]
	s_delay_alu instid0(VALU_DEP_2)
	v_add_nc_u64_e32 v[24:25], s[8:9], v[26:27]
	v_lshlrev_b64_e32 v[8:9], 1, v[8:9]
	v_lshlrev_b64_e32 v[10:11], 1, v[10:11]
	;; [unrolled: 1-line block ×7, first 2 shown]
	v_add_nc_u64_e32 v[26:27], s[10:11], v[26:27]
	v_add_nc_u64_e32 v[28:29], s[8:9], v[8:9]
	;; [unrolled: 1-line block ×15, first 2 shown]
.LBB172_3:                              ; =>This Inner Loop Header: Depth=1
	v_cmp_ge_i64_e64 s18, s[44:45], s[4:5]
	v_add_nc_u64_e32 v[56:57], s[44:45], v[20:21]
                                        ; implicit-def: $vgpr4_vgpr5_vgpr6_vgpr7_vgpr8_vgpr9_vgpr10_vgpr11
                                        ; implicit-def: $vgpr3
                                        ; implicit-def: $vgpr12_vgpr13_vgpr14_vgpr15_vgpr16_vgpr17_vgpr18_vgpr19
                                        ; implicit-def: $vgpr4
	s_and_b32 vcc_lo, exec_lo, s18
	s_mov_b32 s18, -1
	s_cbranch_vccz .LBB172_25
; %bb.4:                                ;   in Loop: Header=BB172_3 Depth=1
	s_load_b32 s18, s[20:21], 0xc
	v_mov_b32_e32 v60, 0
	s_wait_kmcnt 0x0
	s_and_b32 s18, s18, 0xffff
	s_delay_alu instid0(SALU_CYCLE_1) | instskip(SKIP_1) | instid1(VALU_DEP_1)
	v_mad_u32_u24 v3, v1, s18, v58
	s_mov_b32 s18, exec_lo
	v_and_b32_e32 v4, 31, v3
	s_delay_alu instid0(VALU_DEP_1)
	v_cmpx_gt_u32_e32 8, v4
	s_cbranch_execz .LBB172_8
; %bb.5:                                ;   in Loop: Header=BB172_3 Depth=1
	v_dual_mov_b32 v5, v2 :: v_dual_mov_b32 v60, 0
	s_mov_b32 s33, exec_lo
	s_delay_alu instid0(VALU_DEP_1) | instskip(NEXT) | instid1(VALU_DEP_1)
	v_add_nc_u64_e32 v[4:5], v[56:57], v[4:5]
	v_add_nc_u64_e32 v[4:5], s[22:23], v[4:5]
	s_delay_alu instid0(VALU_DEP_1)
	v_cmpx_gt_i64_e64 s[4:5], v[4:5]
	s_cbranch_execz .LBB172_7
; %bb.6:                                ;   in Loop: Header=BB172_3 Depth=1
	v_lshl_add_u64 v[4:5], v[4:5], 2, s[14:15]
	global_load_b32 v60, v[4:5], off
.LBB172_7:                              ;   in Loop: Header=BB172_3 Depth=1
	s_wait_xcnt 0x0
	s_or_b32 exec_lo, exec_lo, s33
.LBB172_8:                              ;   in Loop: Header=BB172_3 Depth=1
	s_delay_alu instid0(SALU_CYCLE_1)
	s_or_b32 exec_lo, exec_lo, s18
	v_add_nc_u64_e32 v[10:11], s[22:23], v[56:57]
	v_dual_mov_b32 v7, v2 :: v_dual_mov_b32 v8, v2
	v_dual_mov_b32 v9, v2 :: v_dual_mov_b32 v3, v2
	;; [unrolled: 1-line block ×3, first 2 shown]
	v_mov_b32_e32 v6, v2
	v_cmp_gt_i64_e32 vcc_lo, s[4:5], v[10:11]
	s_delay_alu instid0(VALU_DEP_4)
	v_mov_b64_e32 v[18:19], v[8:9]
	v_mov_b64_e32 v[12:13], v[2:3]
	;; [unrolled: 1-line block ×8, first 2 shown]
	s_and_b32 s33, s2, vcc_lo
	s_delay_alu instid0(SALU_CYCLE_1)
	s_and_saveexec_b32 s18, s33
	s_cbranch_execz .LBB172_10
; %bb.9:                                ;   in Loop: Header=BB172_3 Depth=1
	v_add_nc_u64_e32 v[4:5], v[24:25], v[22:23]
	v_add_nc_u64_e32 v[6:7], v[26:27], v[22:23]
	v_dual_mov_b32 v9, v2 :: v_dual_mov_b32 v10, v2
	v_dual_mov_b32 v11, v2 :: v_dual_mov_b32 v13, v2
	;; [unrolled: 1-line block ×3, first 2 shown]
	global_load_u16 v3, v[4:5], off
	global_load_u16 v12, v[6:7], off
	s_wait_xcnt 0x0
	v_dual_mov_b32 v5, v2 :: v_dual_mov_b32 v6, v2
	v_dual_mov_b32 v7, v2 :: v_dual_mov_b32 v8, v2
	;; [unrolled: 1-line block ×4, first 2 shown]
	s_wait_loadcnt 0x1
	v_cvt_f32_f16_e32 v4, v3
	s_wait_loadcnt 0x0
	v_cvt_f32_f16_e32 v12, v12
.LBB172_10:                             ;   in Loop: Header=BB172_3 Depth=1
	s_or_b32 exec_lo, exec_lo, s18
	v_add_nc_u64_e32 v[62:63], s[24:25], v[56:57]
	s_delay_alu instid0(VALU_DEP_1) | instskip(SKIP_1) | instid1(SALU_CYCLE_1)
	v_cmp_gt_i64_e32 vcc_lo, s[4:5], v[62:63]
	s_and_b32 s33, s2, vcc_lo
	s_and_saveexec_b32 s18, s33
	s_cbranch_execz .LBB172_12
; %bb.11:                               ;   in Loop: Header=BB172_3 Depth=1
	v_add_nc_u64_e32 v[62:63], v[52:53], v[22:23]
	v_add_nc_u64_e32 v[64:65], v[54:55], v[22:23]
	global_load_u16 v3, v[62:63], off
	global_load_u16 v13, v[64:65], off
	s_wait_loadcnt 0x1
	v_cvt_f32_f16_e32 v5, v3
	s_wait_loadcnt 0x0
	v_cvt_f32_f16_e32 v13, v13
.LBB172_12:                             ;   in Loop: Header=BB172_3 Depth=1
	s_or_b32 exec_lo, exec_lo, s18
	v_add_nc_u64_e32 v[62:63], s[26:27], v[56:57]
	s_delay_alu instid0(VALU_DEP_1) | instskip(SKIP_1) | instid1(SALU_CYCLE_1)
	v_cmp_gt_i64_e32 vcc_lo, s[4:5], v[62:63]
	s_and_b32 s33, s2, vcc_lo
	s_and_saveexec_b32 s18, s33
	s_cbranch_execz .LBB172_14
; %bb.13:                               ;   in Loop: Header=BB172_3 Depth=1
	v_add_nc_u64_e32 v[62:63], v[48:49], v[22:23]
	v_add_nc_u64_e32 v[64:65], v[50:51], v[22:23]
	global_load_u16 v3, v[62:63], off
	global_load_u16 v14, v[64:65], off
	s_wait_loadcnt 0x1
	v_cvt_f32_f16_e32 v6, v3
	s_wait_loadcnt 0x0
	v_cvt_f32_f16_e32 v14, v14
.LBB172_14:                             ;   in Loop: Header=BB172_3 Depth=1
	s_or_b32 exec_lo, exec_lo, s18
	v_add_nc_u64_e32 v[62:63], s[28:29], v[56:57]
	s_delay_alu instid0(VALU_DEP_1) | instskip(SKIP_1) | instid1(SALU_CYCLE_1)
	v_cmp_gt_i64_e32 vcc_lo, s[4:5], v[62:63]
	s_and_b32 s33, s2, vcc_lo
	s_and_saveexec_b32 s18, s33
	s_cbranch_execz .LBB172_16
; %bb.15:                               ;   in Loop: Header=BB172_3 Depth=1
	v_add_nc_u64_e32 v[62:63], v[44:45], v[22:23]
	v_add_nc_u64_e32 v[64:65], v[46:47], v[22:23]
	global_load_u16 v3, v[62:63], off
	global_load_u16 v15, v[64:65], off
	s_wait_loadcnt 0x1
	v_cvt_f32_f16_e32 v7, v3
	s_wait_loadcnt 0x0
	v_cvt_f32_f16_e32 v15, v15
.LBB172_16:                             ;   in Loop: Header=BB172_3 Depth=1
	s_or_b32 exec_lo, exec_lo, s18
	v_add_nc_u64_e32 v[62:63], s[30:31], v[56:57]
	s_delay_alu instid0(VALU_DEP_1) | instskip(SKIP_1) | instid1(SALU_CYCLE_1)
	v_cmp_gt_i64_e32 vcc_lo, s[4:5], v[62:63]
	s_and_b32 s33, s2, vcc_lo
	s_and_saveexec_b32 s18, s33
	s_cbranch_execz .LBB172_18
; %bb.17:                               ;   in Loop: Header=BB172_3 Depth=1
	v_add_nc_u64_e32 v[62:63], v[40:41], v[22:23]
	v_add_nc_u64_e32 v[64:65], v[42:43], v[22:23]
	global_load_u16 v3, v[62:63], off
	global_load_u16 v16, v[64:65], off
	s_wait_loadcnt 0x1
	v_cvt_f32_f16_e32 v8, v3
	s_wait_loadcnt 0x0
	v_cvt_f32_f16_e32 v16, v16
.LBB172_18:                             ;   in Loop: Header=BB172_3 Depth=1
	s_or_b32 exec_lo, exec_lo, s18
	v_add_nc_u64_e32 v[62:63], s[36:37], v[56:57]
	s_delay_alu instid0(VALU_DEP_1) | instskip(SKIP_1) | instid1(SALU_CYCLE_1)
	v_cmp_gt_i64_e32 vcc_lo, s[4:5], v[62:63]
	s_and_b32 s33, s2, vcc_lo
	s_and_saveexec_b32 s18, s33
	s_cbranch_execz .LBB172_20
; %bb.19:                               ;   in Loop: Header=BB172_3 Depth=1
	v_add_nc_u64_e32 v[62:63], v[36:37], v[22:23]
	v_add_nc_u64_e32 v[64:65], v[38:39], v[22:23]
	global_load_u16 v3, v[62:63], off
	global_load_u16 v17, v[64:65], off
	s_wait_loadcnt 0x1
	v_cvt_f32_f16_e32 v9, v3
	s_wait_loadcnt 0x0
	v_cvt_f32_f16_e32 v17, v17
.LBB172_20:                             ;   in Loop: Header=BB172_3 Depth=1
	s_or_b32 exec_lo, exec_lo, s18
	v_add_nc_u64_e32 v[62:63], s[38:39], v[56:57]
	s_delay_alu instid0(VALU_DEP_1) | instskip(SKIP_1) | instid1(SALU_CYCLE_1)
	v_cmp_gt_i64_e32 vcc_lo, s[4:5], v[62:63]
	s_and_b32 s33, s2, vcc_lo
	s_and_saveexec_b32 s18, s33
	s_cbranch_execz .LBB172_22
; %bb.21:                               ;   in Loop: Header=BB172_3 Depth=1
	v_add_nc_u64_e32 v[62:63], v[32:33], v[22:23]
	v_add_nc_u64_e32 v[64:65], v[34:35], v[22:23]
	global_load_u16 v3, v[62:63], off
	global_load_u16 v18, v[64:65], off
	s_wait_loadcnt 0x1
	v_cvt_f32_f16_e32 v10, v3
	s_wait_loadcnt 0x0
	v_cvt_f32_f16_e32 v18, v18
.LBB172_22:                             ;   in Loop: Header=BB172_3 Depth=1
	s_or_b32 exec_lo, exec_lo, s18
	v_add_nc_u64_e32 v[62:63], s[40:41], v[56:57]
	s_delay_alu instid0(VALU_DEP_1) | instskip(SKIP_1) | instid1(SALU_CYCLE_1)
	v_cmp_gt_i64_e32 vcc_lo, s[4:5], v[62:63]
	s_and_b32 s33, s2, vcc_lo
	s_and_saveexec_b32 s18, s33
	s_cbranch_execz .LBB172_24
; %bb.23:                               ;   in Loop: Header=BB172_3 Depth=1
	v_add_nc_u64_e32 v[62:63], v[28:29], v[22:23]
	v_add_nc_u64_e32 v[64:65], v[30:31], v[22:23]
	global_load_u16 v3, v[62:63], off
	global_load_u16 v19, v[64:65], off
	s_wait_loadcnt 0x1
	v_cvt_f32_f16_e32 v11, v3
	s_wait_loadcnt 0x0
	v_cvt_f32_f16_e32 v19, v19
.LBB172_24:                             ;   in Loop: Header=BB172_3 Depth=1
	s_or_b32 exec_lo, exec_lo, s18
	s_wait_loadcnt 0x0
	ds_bpermute_b32 v3, v2, v60
	ds_bpermute_b32 v62, v2, v60 offset:4
	ds_bpermute_b32 v63, v2, v60 offset:8
	;; [unrolled: 1-line block ×4, first 2 shown]
	v_pk_mul_f32 v[6:7], v[14:15], v[6:7]
	v_dual_mul_f32 v14, v12, v4 :: v_dual_mul_f32 v4, v13, v5
	v_pk_mul_f32 v[8:9], v[16:17], v[8:9]
	ds_bpermute_b32 v12, v2, v60 offset:20
	v_dual_mov_b32 v5, v6 :: v_dual_mov_b32 v6, v7
	ds_bpermute_b32 v13, v2, v60 offset:24
	s_mov_b32 s18, 0
	v_dual_mov_b32 v7, v8 :: v_dual_mul_f32 v15, v18, v10
	s_wait_dscnt 0x6
	v_dual_fma_f32 v3, v14, v3, v59 :: v_dual_mov_b32 v14, v9
	s_wait_dscnt 0x4
	v_pk_mul_f32 v[4:5], v[4:5], v[62:63]
	s_wait_dscnt 0x2
	v_pk_mul_f32 v[6:7], v[6:7], v[64:65]
	s_delay_alu instid0(VALU_DEP_2) | instskip(SKIP_2) | instid1(VALU_DEP_1)
	v_add_f32_e32 v3, v3, v4
	ds_bpermute_b32 v4, v2, v60 offset:28
	v_add_f32_e32 v3, v3, v5
	v_add_f32_e32 v3, v3, v6
	s_delay_alu instid0(VALU_DEP_1) | instskip(SKIP_2) | instid1(VALU_DEP_1)
	v_add_f32_e32 v3, v3, v7
	s_wait_dscnt 0x1
	v_pk_mul_f32 v[6:7], v[14:15], v[12:13]
	v_add_f32_e32 v3, v3, v6
	s_delay_alu instid0(VALU_DEP_1)
	v_add_f32_e32 v3, v3, v7
.LBB172_25:                             ;   in Loop: Header=BB172_3 Depth=1
	s_and_b32 vcc_lo, exec_lo, s18
	s_cbranch_vccz .LBB172_40
; %bb.26:                               ;   in Loop: Header=BB172_3 Depth=1
	s_load_b32 s18, s[20:21], 0x0
	v_mov_b32_e32 v60, 0
	s_wait_kmcnt 0x0
	s_cmp_lt_u32 s12, s18
	s_cselect_b32 s18, 12, 18
	s_delay_alu instid0(SALU_CYCLE_1)
	s_add_nc_u64 s[48:49], s[20:21], s[18:19]
	s_load_u16 s18, s[48:49], 0x0
	s_wait_kmcnt 0x0
	v_mad_u32_u24 v3, v1, s18, v58
	s_mov_b32 s18, exec_lo
	s_wait_dscnt 0x0
	s_delay_alu instid0(VALU_DEP_1) | instskip(NEXT) | instid1(VALU_DEP_1)
	v_and_b32_e32 v4, 31, v3
	v_cmpx_gt_u32_e32 8, v4
	s_cbranch_execz .LBB172_30
; %bb.27:                               ;   in Loop: Header=BB172_3 Depth=1
	v_dual_mov_b32 v5, v2 :: v_dual_mov_b32 v60, 0
	s_mov_b32 s33, exec_lo
	s_delay_alu instid0(VALU_DEP_1) | instskip(NEXT) | instid1(VALU_DEP_1)
	v_add_nc_u64_e32 v[4:5], v[56:57], v[4:5]
	v_add_nc_u64_e32 v[4:5], s[22:23], v[4:5]
	s_delay_alu instid0(VALU_DEP_1)
	v_cmpx_gt_i64_e64 s[4:5], v[4:5]
	s_cbranch_execz .LBB172_29
; %bb.28:                               ;   in Loop: Header=BB172_3 Depth=1
	v_lshl_add_u64 v[4:5], v[4:5], 2, s[14:15]
	global_load_b32 v60, v[4:5], off
.LBB172_29:                             ;   in Loop: Header=BB172_3 Depth=1
	s_wait_xcnt 0x0
	s_or_b32 exec_lo, exec_lo, s33
.LBB172_30:                             ;   in Loop: Header=BB172_3 Depth=1
	s_delay_alu instid0(SALU_CYCLE_1) | instskip(SKIP_4) | instid1(VALU_DEP_3)
	s_or_b32 exec_lo, exec_lo, s18
	v_dual_mov_b32 v7, v2 :: v_dual_mov_b32 v8, v2
	v_dual_mov_b32 v9, v2 :: v_dual_mov_b32 v3, v2
	;; [unrolled: 1-line block ×3, first 2 shown]
	v_mov_b32_e32 v6, v2
	v_mov_b64_e32 v[18:19], v[8:9]
	s_delay_alu instid0(VALU_DEP_4) | instskip(NEXT) | instid1(VALU_DEP_4)
	v_mov_b64_e32 v[12:13], v[2:3]
	v_mov_b64_e32 v[14:15], v[4:5]
	s_delay_alu instid0(VALU_DEP_4)
	v_mov_b64_e32 v[16:17], v[6:7]
	v_mov_b64_e32 v[10:11], v[8:9]
	;; [unrolled: 1-line block ×5, first 2 shown]
	s_and_saveexec_b32 s18, s2
	s_cbranch_execnz .LBB172_42
; %bb.31:                               ;   in Loop: Header=BB172_3 Depth=1
	s_or_b32 exec_lo, exec_lo, s18
	s_and_saveexec_b32 s18, s2
	s_cbranch_execnz .LBB172_43
.LBB172_32:                             ;   in Loop: Header=BB172_3 Depth=1
	s_or_b32 exec_lo, exec_lo, s18
	s_and_saveexec_b32 s18, s2
	s_cbranch_execnz .LBB172_44
.LBB172_33:                             ;   in Loop: Header=BB172_3 Depth=1
	s_or_b32 exec_lo, exec_lo, s18
	s_and_saveexec_b32 s18, s2
	s_cbranch_execnz .LBB172_45
.LBB172_34:                             ;   in Loop: Header=BB172_3 Depth=1
	s_or_b32 exec_lo, exec_lo, s18
	s_and_saveexec_b32 s18, s2
	s_cbranch_execnz .LBB172_46
.LBB172_35:                             ;   in Loop: Header=BB172_3 Depth=1
	s_or_b32 exec_lo, exec_lo, s18
	s_and_saveexec_b32 s18, s2
	s_cbranch_execnz .LBB172_47
.LBB172_36:                             ;   in Loop: Header=BB172_3 Depth=1
	s_or_b32 exec_lo, exec_lo, s18
	s_and_saveexec_b32 s18, s2
	s_cbranch_execnz .LBB172_48
.LBB172_37:                             ;   in Loop: Header=BB172_3 Depth=1
	s_or_b32 exec_lo, exec_lo, s18
	s_and_saveexec_b32 s18, s2
	s_cbranch_execz .LBB172_39
.LBB172_38:                             ;   in Loop: Header=BB172_3 Depth=1
	v_add_nc_u64_e32 v[56:57], v[28:29], v[22:23]
	v_add_nc_u64_e32 v[62:63], v[30:31], v[22:23]
	global_load_u16 v3, v[56:57], off
	global_load_u16 v19, v[62:63], off
	s_wait_loadcnt 0x1
	v_cvt_f32_f16_e32 v11, v3
	s_wait_loadcnt 0x0
	v_cvt_f32_f16_e32 v19, v19
.LBB172_39:                             ;   in Loop: Header=BB172_3 Depth=1
	s_or_b32 exec_lo, exec_lo, s18
	s_wait_loadcnt 0x0
	ds_bpermute_b32 v3, v2, v60
	ds_bpermute_b32 v56, v2, v60 offset:4
	ds_bpermute_b32 v57, v2, v60 offset:8
	;; [unrolled: 1-line block ×4, first 2 shown]
	v_pk_mul_f32 v[6:7], v[14:15], v[6:7]
	v_dual_mul_f32 v14, v12, v4 :: v_dual_mul_f32 v4, v13, v5
	v_pk_mul_f32 v[8:9], v[16:17], v[8:9]
	ds_bpermute_b32 v12, v2, v60 offset:20
	v_dual_mov_b32 v5, v6 :: v_dual_mov_b32 v6, v7
	ds_bpermute_b32 v13, v2, v60 offset:24
	v_dual_mov_b32 v7, v8 :: v_dual_mul_f32 v15, v18, v10
	s_wait_dscnt 0x6
	v_dual_fmac_f32 v59, v14, v3 :: v_dual_mov_b32 v14, v9
	s_wait_dscnt 0x4
	v_pk_mul_f32 v[4:5], v[4:5], v[56:57]
	s_wait_dscnt 0x2
	v_pk_mul_f32 v[6:7], v[6:7], v[62:63]
	s_delay_alu instid0(VALU_DEP_2) | instskip(SKIP_2) | instid1(VALU_DEP_1)
	v_add_f32_e32 v3, v59, v4
	ds_bpermute_b32 v4, v2, v60 offset:28
	v_add_f32_e32 v3, v3, v5
	v_add_f32_e32 v3, v3, v6
	s_delay_alu instid0(VALU_DEP_1) | instskip(SKIP_2) | instid1(VALU_DEP_1)
	v_add_f32_e32 v3, v3, v7
	s_wait_dscnt 0x1
	v_pk_mul_f32 v[6:7], v[14:15], v[12:13]
	v_add_f32_e32 v3, v3, v6
	s_delay_alu instid0(VALU_DEP_1)
	v_add_f32_e32 v3, v3, v7
.LBB172_40:                             ;   in Loop: Header=BB172_3 Depth=1
	s_add_nc_u64 s[46:47], s[46:47], s[34:35]
	v_mul_f32_e32 v5, v11, v19
	v_cmp_lt_i64_e64 s18, s[46:47], s[4:5]
	v_add_nc_u64_e32 v[24:25], s[42:43], v[24:25]
	v_add_nc_u64_e32 v[26:27], s[42:43], v[26:27]
	;; [unrolled: 1-line block ×16, first 2 shown]
	s_wait_dscnt 0x0
	v_fmac_f32_e32 v3, v5, v4
	s_and_b32 vcc_lo, exec_lo, s18
	s_add_nc_u64 s[44:45], s[44:45], s[34:35]
	s_cbranch_vccz .LBB172_50
; %bb.41:                               ;   in Loop: Header=BB172_3 Depth=1
	s_delay_alu instid0(VALU_DEP_1)
	v_mov_b32_e32 v59, v3
	s_branch .LBB172_3
.LBB172_42:                             ;   in Loop: Header=BB172_3 Depth=1
	v_add_nc_u64_e32 v[4:5], v[24:25], v[22:23]
	v_add_nc_u64_e32 v[6:7], v[26:27], v[22:23]
	v_dual_mov_b32 v9, v2 :: v_dual_mov_b32 v10, v2
	v_dual_mov_b32 v11, v2 :: v_dual_mov_b32 v13, v2
	v_dual_mov_b32 v14, v2 :: v_dual_mov_b32 v15, v2
	global_load_u16 v3, v[4:5], off
	global_load_u16 v12, v[6:7], off
	s_wait_xcnt 0x0
	v_dual_mov_b32 v5, v2 :: v_dual_mov_b32 v6, v2
	v_dual_mov_b32 v7, v2 :: v_dual_mov_b32 v8, v2
	;; [unrolled: 1-line block ×4, first 2 shown]
	s_wait_loadcnt 0x1
	v_cvt_f32_f16_e32 v4, v3
	s_wait_loadcnt 0x0
	v_cvt_f32_f16_e32 v12, v12
	s_or_b32 exec_lo, exec_lo, s18
	s_and_saveexec_b32 s18, s2
	s_cbranch_execz .LBB172_32
.LBB172_43:                             ;   in Loop: Header=BB172_3 Depth=1
	v_add_nc_u64_e32 v[56:57], v[52:53], v[22:23]
	v_add_nc_u64_e32 v[62:63], v[54:55], v[22:23]
	global_load_u16 v3, v[56:57], off
	global_load_u16 v13, v[62:63], off
	s_wait_loadcnt 0x1
	v_cvt_f32_f16_e32 v5, v3
	s_wait_loadcnt 0x0
	v_cvt_f32_f16_e32 v13, v13
	s_or_b32 exec_lo, exec_lo, s18
	s_and_saveexec_b32 s18, s2
	s_cbranch_execz .LBB172_33
.LBB172_44:                             ;   in Loop: Header=BB172_3 Depth=1
	v_add_nc_u64_e32 v[56:57], v[48:49], v[22:23]
	v_add_nc_u64_e32 v[62:63], v[50:51], v[22:23]
	global_load_u16 v3, v[56:57], off
	global_load_u16 v14, v[62:63], off
	s_wait_loadcnt 0x1
	v_cvt_f32_f16_e32 v6, v3
	s_wait_loadcnt 0x0
	v_cvt_f32_f16_e32 v14, v14
	s_or_b32 exec_lo, exec_lo, s18
	s_and_saveexec_b32 s18, s2
	s_cbranch_execz .LBB172_34
.LBB172_45:                             ;   in Loop: Header=BB172_3 Depth=1
	v_add_nc_u64_e32 v[56:57], v[44:45], v[22:23]
	v_add_nc_u64_e32 v[62:63], v[46:47], v[22:23]
	global_load_u16 v3, v[56:57], off
	global_load_u16 v15, v[62:63], off
	s_wait_loadcnt 0x1
	v_cvt_f32_f16_e32 v7, v3
	s_wait_loadcnt 0x0
	v_cvt_f32_f16_e32 v15, v15
	s_or_b32 exec_lo, exec_lo, s18
	s_and_saveexec_b32 s18, s2
	s_cbranch_execz .LBB172_35
.LBB172_46:                             ;   in Loop: Header=BB172_3 Depth=1
	v_add_nc_u64_e32 v[56:57], v[40:41], v[22:23]
	v_add_nc_u64_e32 v[62:63], v[42:43], v[22:23]
	global_load_u16 v3, v[56:57], off
	global_load_u16 v16, v[62:63], off
	s_wait_loadcnt 0x1
	v_cvt_f32_f16_e32 v8, v3
	s_wait_loadcnt 0x0
	v_cvt_f32_f16_e32 v16, v16
	s_or_b32 exec_lo, exec_lo, s18
	s_and_saveexec_b32 s18, s2
	s_cbranch_execz .LBB172_36
.LBB172_47:                             ;   in Loop: Header=BB172_3 Depth=1
	v_add_nc_u64_e32 v[56:57], v[36:37], v[22:23]
	v_add_nc_u64_e32 v[62:63], v[38:39], v[22:23]
	global_load_u16 v3, v[56:57], off
	global_load_u16 v17, v[62:63], off
	s_wait_loadcnt 0x1
	v_cvt_f32_f16_e32 v9, v3
	s_wait_loadcnt 0x0
	v_cvt_f32_f16_e32 v17, v17
	s_or_b32 exec_lo, exec_lo, s18
	s_and_saveexec_b32 s18, s2
	s_cbranch_execz .LBB172_37
.LBB172_48:                             ;   in Loop: Header=BB172_3 Depth=1
	v_add_nc_u64_e32 v[56:57], v[32:33], v[22:23]
	v_add_nc_u64_e32 v[62:63], v[34:35], v[22:23]
	global_load_u16 v3, v[56:57], off
	global_load_u16 v18, v[62:63], off
	s_wait_loadcnt 0x1
	v_cvt_f32_f16_e32 v10, v3
	s_wait_loadcnt 0x0
	v_cvt_f32_f16_e32 v18, v18
	s_or_b32 exec_lo, exec_lo, s18
	s_and_saveexec_b32 s18, s2
	s_cbranch_execnz .LBB172_38
	s_branch .LBB172_39
.LBB172_49:
                                        ; implicit-def: $vgpr3
	s_branch .LBB172_51
.LBB172_50:
	s_cbranch_execnz .LBB172_83
.LBB172_51:
	v_mov_b32_e32 v3, 0
	s_and_not1_b32 vcc_lo, exec_lo, s13
	s_cbranch_vccnz .LBB172_83
; %bb.52:
	v_bfe_u32 v1, v0, 10, 10
	v_mov_b32_e32 v2, 0
	v_and_b32_e32 v86, 0x3ff, v0
	s_load_b32 s2, s[0:1], 0x44
	s_mov_b64 s[20:21], 0xffffffffffffff83
	s_delay_alu instid0(VALU_DEP_2) | instskip(SKIP_3) | instid1(VALU_DEP_2)
	v_dual_mov_b32 v5, v2 :: v_dual_lshlrev_b32 v4, 4, v1
	v_dual_mov_b32 v21, v2 :: v_dual_lshlrev_b32 v20, 3, v1
	s_mov_b64 s[22:23], 0xffffffffffffff84
	s_mov_b64 s[24:25], 0xffffffffffffff85
	v_lshl_add_u64 v[6:7], s[16:17], 1, v[4:5]
	s_mov_b64 s[26:27], 0xffffffffffffff86
	s_mov_b64 s[28:29], 0xffffffffffffff87
	;; [unrolled: 1-line block ×3, first 2 shown]
	s_add_nc_u64 s[34:35], s[0:1], 64
	v_add_nc_u64_e32 v[12:13], 2, v[6:7]
	v_add_nc_u64_e32 v[14:15], 4, v[6:7]
	;; [unrolled: 1-line block ×7, first 2 shown]
	v_mad_nc_u64_u32 v[22:23], s6, v12, s[8:9]
	v_mul_lo_u32 v3, s6, v13
	v_mul_lo_u32 v46, s7, v12
	v_mad_nc_u64_u32 v[24:25], s6, v14, s[8:9]
	v_mul_lo_u32 v47, s6, v15
	v_mul_lo_u32 v48, s7, v14
	;; [unrolled: 3-line block ×3, first 2 shown]
	v_mad_nc_u64_u32 v[32:33], s6, v12, s[10:11]
	v_mad_nc_u64_u32 v[34:35], s6, v14, s[10:11]
	;; [unrolled: 1-line block ×4, first 2 shown]
	v_add3_u32 v23, v46, v23, v3
	v_mul_lo_u32 v51, s6, v19
	v_mul_lo_u32 v52, s7, v18
	v_add3_u32 v25, v48, v25, v47
	v_mad_nc_u64_u32 v[40:41], s6, v18, s[10:11]
	v_mad_nc_u64_u32 v[30:31], s6, v10, s[8:9]
	v_add3_u32 v27, v50, v27, v49
	v_add3_u32 v33, v46, v33, v3
	;; [unrolled: 1-line block ×4, first 2 shown]
	v_mad_nc_u64_u32 v[46:47], s6, v6, s[8:9]
	v_mul_lo_u32 v50, s7, v6
	v_mad_nc_u64_u32 v[48:49], s6, v6, s[10:11]
	v_add_nc_u32_e32 v6, s3, v86
	v_add_nc_u64_e32 v[4:5], s[16:17], v[20:21]
	v_mul_lo_u32 v53, s6, v11
	v_mul_lo_u32 v54, s7, v10
	;; [unrolled: 1-line block ×3, first 2 shown]
	v_dual_mov_b32 v7, v2 :: v_dual_mov_b32 v87, 0
	v_mad_nc_u64_u32 v[38:39], s6, v44, s[8:9]
	v_add_nc_u64_e32 v[12:13], 7, v[4:5]
	v_add_nc_u64_e32 v[14:15], 6, v[4:5]
	v_mul_u64_e32 v[8:9], s[6:7], v[4:5]
	v_add_nc_u64_e32 v[16:17], 5, v[4:5]
	v_add_nc_u64_e32 v[42:43], 4, v[4:5]
	;; [unrolled: 1-line block ×4, first 2 shown]
	v_mul_u64_e32 v[12:13], s[6:7], v[12:13]
	v_mul_u64_e32 v[14:15], s[6:7], v[14:15]
	v_mul_lo_u32 v55, s6, v45
	v_mul_u64_e32 v[16:17], s[6:7], v[16:17]
	v_mul_u64_e32 v[60:61], s[6:7], v[42:43]
	v_mad_nc_u64_u32 v[42:43], s6, v10, s[10:11]
	v_mul_u64_e32 v[10:11], s[6:7], v[18:19]
	v_mul_u64_e32 v[4:5], s[6:7], v[4:5]
	v_mul_lo_u32 v56, s7, v44
	v_mad_nc_u64_u32 v[44:45], s6, v44, s[10:11]
	v_add3_u32 v29, v52, v29, v51
	v_add3_u32 v41, v52, v41, v51
	;; [unrolled: 1-line block ×4, first 2 shown]
	v_lshlrev_b64_e32 v[50:51], 1, v[6:7]
	s_mov_b32 s3, 0
	v_add3_u32 v31, v54, v31, v53
	v_add3_u32 v43, v54, v43, v53
	s_wait_kmcnt 0x0
	s_lshl_b32 s18, s2, 7
	v_add3_u32 v39, v56, v39, v55
	v_add3_u32 v45, v56, v45, v55
	s_mov_b32 s19, s3
	s_add_nc_u64 s[38:39], s[16:17], 0x7f
	s_mul_u64 s[36:37], s[6:7], s[18:19]
	s_delay_alu instid0(SALU_CYCLE_1) | instskip(SKIP_4) | instid1(VALU_DEP_4)
	s_lshl_b64 s[36:37], s[36:37], 1
	v_lshlrev_b64_e32 v[18:19], 1, v[8:9]
	v_add_nc_u64_e32 v[8:9], s[6:7], v[8:9]
	v_lshlrev_b64_e32 v[12:13], 1, v[12:13]
	v_lshlrev_b64_e32 v[6:7], 1, v[14:15]
	v_add_nc_u64_e32 v[52:53], s[8:9], v[18:19]
	s_delay_alu instid0(VALU_DEP_4)
	v_lshlrev_b64_e32 v[8:9], 1, v[8:9]
	v_lshlrev_b64_e32 v[14:15], 1, v[60:61]
	v_add_nc_u64_e32 v[54:55], s[10:11], v[18:19]
	v_add_nc_u64_e32 v[56:57], s[8:9], v[12:13]
	;; [unrolled: 1-line block ×3, first 2 shown]
	v_lshlrev_b64_e32 v[12:13], 1, v[16:17]
	v_add_nc_u64_e32 v[60:61], s[8:9], v[6:7]
	v_add_nc_u64_e32 v[62:63], s[10:11], v[6:7]
	v_lshlrev_b64_e32 v[6:7], 1, v[10:11]
	v_lshlrev_b64_e32 v[4:5], 1, v[4:5]
	v_add_nc_u64_e32 v[68:69], s[8:9], v[14:15]
	v_add_nc_u64_e32 v[70:71], s[10:11], v[14:15]
	v_add_nc_u64_e32 v[64:65], s[8:9], v[12:13]
	v_add_nc_u64_e32 v[66:67], s[10:11], v[12:13]
	v_add_nc_u64_e32 v[80:81], s[8:9], v[8:9]
	v_add_nc_u64_e32 v[72:73], s[8:9], v[6:7]
	v_add_nc_u64_e32 v[74:75], s[10:11], v[6:7]
	v_add_nc_u64_e32 v[76:77], s[8:9], v[4:5]
	v_add_nc_u64_e32 v[78:79], s[10:11], v[4:5]
	v_add_nc_u64_e32 v[82:83], s[10:11], v[8:9]
	s_mov_b64 s[8:9], 0xffffffffffffff81
	s_mov_b64 s[10:11], 0xffffffffffffff82
.LBB172_53:                             ; =>This Inner Loop Header: Depth=1
	v_cmp_ge_i64_e64 s2, s[38:39], s[4:5]
	v_add_nc_u64_e32 v[84:85], s[38:39], v[20:21]
                                        ; implicit-def: $vgpr3
	s_and_b32 vcc_lo, exec_lo, s2
	s_mov_b32 s2, -1
	s_cbranch_vccz .LBB172_75
; %bb.54:                               ;   in Loop: Header=BB172_53 Depth=1
	s_load_b32 s2, s[34:35], 0xc
	v_mov_b32_e32 v88, 0
	s_wait_kmcnt 0x0
	s_and_b32 s2, s2, 0xffff
	s_delay_alu instid0(SALU_CYCLE_1) | instskip(SKIP_1) | instid1(VALU_DEP_1)
	v_mad_u32_u24 v3, v1, s2, v86
	s_mov_b32 s2, exec_lo
	v_and_b32_e32 v4, 31, v3
	s_delay_alu instid0(VALU_DEP_1)
	v_cmpx_gt_u32_e32 8, v4
	s_cbranch_execz .LBB172_58
; %bb.55:                               ;   in Loop: Header=BB172_53 Depth=1
	v_dual_mov_b32 v5, v2 :: v_dual_mov_b32 v88, 0
	s_mov_b32 s13, exec_lo
	s_delay_alu instid0(VALU_DEP_1) | instskip(NEXT) | instid1(VALU_DEP_1)
	v_add_nc_u64_e32 v[4:5], v[84:85], v[4:5]
	v_add_nc_u64_e32 v[4:5], s[8:9], v[4:5]
	s_delay_alu instid0(VALU_DEP_1)
	v_cmpx_gt_i64_e64 s[4:5], v[4:5]
	s_cbranch_execz .LBB172_57
; %bb.56:                               ;   in Loop: Header=BB172_53 Depth=1
	v_lshl_add_u64 v[4:5], v[4:5], 2, s[14:15]
	global_load_b32 v88, v[4:5], off
.LBB172_57:                             ;   in Loop: Header=BB172_53 Depth=1
	s_wait_xcnt 0x0
	s_or_b32 exec_lo, exec_lo, s13
.LBB172_58:                             ;   in Loop: Header=BB172_53 Depth=1
	s_delay_alu instid0(SALU_CYCLE_1)
	s_or_b32 exec_lo, exec_lo, s2
	v_add_nc_u64_e32 v[10:11], s[8:9], v[84:85]
	v_dual_mov_b32 v7, v2 :: v_dual_mov_b32 v8, v2
	v_dual_mov_b32 v9, v2 :: v_dual_mov_b32 v3, v2
	;; [unrolled: 1-line block ×3, first 2 shown]
	v_mov_b32_e32 v6, v2
	s_delay_alu instid0(VALU_DEP_3)
	v_mov_b64_e32 v[18:19], v[8:9]
	v_cmp_gt_i64_e32 vcc_lo, s[4:5], v[10:11]
	v_mov_b64_e32 v[12:13], v[2:3]
	v_mov_b64_e32 v[14:15], v[4:5]
	;; [unrolled: 1-line block ×7, first 2 shown]
	s_and_saveexec_b32 s2, vcc_lo
	s_cbranch_execz .LBB172_60
; %bb.59:                               ;   in Loop: Header=BB172_53 Depth=1
	v_add_nc_u64_e32 v[4:5], v[52:53], v[50:51]
	v_add_nc_u64_e32 v[6:7], v[54:55], v[50:51]
	v_dual_mov_b32 v9, v2 :: v_dual_mov_b32 v10, v2
	v_dual_mov_b32 v11, v2 :: v_dual_mov_b32 v13, v2
	;; [unrolled: 1-line block ×3, first 2 shown]
	global_load_u16 v3, v[4:5], off
	global_load_u16 v12, v[6:7], off
	s_wait_xcnt 0x0
	v_dual_mov_b32 v5, v2 :: v_dual_mov_b32 v6, v2
	v_dual_mov_b32 v7, v2 :: v_dual_mov_b32 v8, v2
	;; [unrolled: 1-line block ×4, first 2 shown]
	s_wait_loadcnt 0x1
	v_cvt_f32_f16_e32 v4, v3
	s_wait_loadcnt 0x0
	v_cvt_f32_f16_e32 v12, v12
.LBB172_60:                             ;   in Loop: Header=BB172_53 Depth=1
	s_or_b32 exec_lo, exec_lo, s2
	v_add_nc_u64_e32 v[90:91], s[10:11], v[84:85]
	s_mov_b32 s2, exec_lo
	s_delay_alu instid0(VALU_DEP_1)
	v_cmpx_gt_i64_e64 s[4:5], v[90:91]
	s_cbranch_execz .LBB172_62
; %bb.61:                               ;   in Loop: Header=BB172_53 Depth=1
	v_add_nc_u64_e32 v[90:91], v[80:81], v[50:51]
	v_add_nc_u64_e32 v[92:93], v[82:83], v[50:51]
	global_load_u16 v3, v[90:91], off
	global_load_u16 v13, v[92:93], off
	s_wait_loadcnt 0x1
	v_cvt_f32_f16_e32 v5, v3
	s_wait_loadcnt 0x0
	v_cvt_f32_f16_e32 v13, v13
.LBB172_62:                             ;   in Loop: Header=BB172_53 Depth=1
	s_or_b32 exec_lo, exec_lo, s2
	v_add_nc_u64_e32 v[90:91], s[20:21], v[84:85]
	s_mov_b32 s2, exec_lo
	s_delay_alu instid0(VALU_DEP_1)
	v_cmpx_gt_i64_e64 s[4:5], v[90:91]
	s_cbranch_execz .LBB172_64
; %bb.63:                               ;   in Loop: Header=BB172_53 Depth=1
	v_add_nc_u64_e32 v[90:91], v[76:77], v[50:51]
	v_add_nc_u64_e32 v[92:93], v[78:79], v[50:51]
	global_load_u16 v3, v[90:91], off
	global_load_u16 v14, v[92:93], off
	s_wait_loadcnt 0x1
	v_cvt_f32_f16_e32 v6, v3
	s_wait_loadcnt 0x0
	v_cvt_f32_f16_e32 v14, v14
.LBB172_64:                             ;   in Loop: Header=BB172_53 Depth=1
	;; [unrolled: 16-line block ×7, first 2 shown]
	s_or_b32 exec_lo, exec_lo, s2
	s_wait_loadcnt 0x0
	ds_bpermute_b32 v90, v2, v88
	ds_bpermute_b32 v91, v2, v88 offset:4
	ds_bpermute_b32 v92, v2, v88 offset:8
	;; [unrolled: 1-line block ×3, first 2 shown]
	v_pk_mul_f32 v[4:5], v[12:13], v[4:5]
	ds_bpermute_b32 v12, v2, v88 offset:16
	ds_bpermute_b32 v13, v2, v88 offset:20
	v_pk_mul_f32 v[6:7], v[14:15], v[6:7]
	v_pk_mul_f32 v[8:9], v[16:17], v[8:9]
	s_mov_b32 s2, 0
	s_wait_dscnt 0x4
	v_pk_mul_f32 v[4:5], v[4:5], v[90:91]
	s_wait_dscnt 0x2
	v_pk_mul_f32 v[6:7], v[6:7], v[92:93]
	;; [unrolled: 2-line block ×3, first 2 shown]
	v_add_f32_e32 v3, v87, v4
	ds_bpermute_b32 v4, v2, v88 offset:24
	v_add_f32_e32 v3, v3, v5
	ds_bpermute_b32 v5, v2, v88 offset:28
	v_add_f32_e32 v3, v3, v6
	s_delay_alu instid0(VALU_DEP_1) | instskip(SKIP_1) | instid1(VALU_DEP_2)
	v_add_f32_e32 v3, v3, v7
	v_pk_mul_f32 v[6:7], v[18:19], v[10:11]
	v_add_f32_e32 v3, v3, v8
	s_delay_alu instid0(VALU_DEP_1) | instskip(SKIP_1) | instid1(VALU_DEP_3)
	v_add_f32_e32 v3, v3, v9
	s_wait_dscnt 0x0
	v_pk_mul_f32 v[4:5], v[6:7], v[4:5]
	s_delay_alu instid0(VALU_DEP_1) | instskip(NEXT) | instid1(VALU_DEP_1)
	v_add_f32_e32 v3, v3, v4
	v_add_f32_e32 v3, v3, v5
.LBB172_75:                             ;   in Loop: Header=BB172_53 Depth=1
	s_and_b32 vcc_lo, exec_lo, s2
	s_cbranch_vccz .LBB172_81
; %bb.76:                               ;   in Loop: Header=BB172_53 Depth=1
	s_load_b32 s2, s[34:35], 0x0
	s_wait_kmcnt 0x0
	s_cmp_lt_u32 s12, s2
	s_cselect_b32 s2, 12, 18
	s_delay_alu instid0(SALU_CYCLE_1) | instskip(SKIP_4) | instid1(VALU_DEP_1)
	s_add_nc_u64 s[40:41], s[34:35], s[2:3]
	s_load_u16 s2, s[40:41], 0x0
	s_wait_kmcnt 0x0
	v_mad_u32_u24 v3, v1, s2, v86
	s_mov_b32 s2, exec_lo
	v_dual_mov_b32 v3, 0 :: v_dual_bitop2_b32 v4, 31, v3 bitop3:0x40
	s_delay_alu instid0(VALU_DEP_1)
	v_cmpx_gt_u32_e32 8, v4
	s_cbranch_execz .LBB172_80
; %bb.77:                               ;   in Loop: Header=BB172_53 Depth=1
	v_dual_mov_b32 v5, v2 :: v_dual_mov_b32 v3, 0
	s_mov_b32 s13, exec_lo
	s_delay_alu instid0(VALU_DEP_1) | instskip(NEXT) | instid1(VALU_DEP_1)
	v_add_nc_u64_e32 v[4:5], v[84:85], v[4:5]
	v_add_nc_u64_e32 v[4:5], s[8:9], v[4:5]
	s_delay_alu instid0(VALU_DEP_1)
	v_cmpx_gt_i64_e64 s[4:5], v[4:5]
	s_cbranch_execz .LBB172_79
; %bb.78:                               ;   in Loop: Header=BB172_53 Depth=1
	v_lshl_add_u64 v[4:5], v[4:5], 2, s[14:15]
	global_load_b32 v3, v[4:5], off
.LBB172_79:                             ;   in Loop: Header=BB172_53 Depth=1
	s_wait_xcnt 0x0
	s_or_b32 exec_lo, exec_lo, s13
.LBB172_80:                             ;   in Loop: Header=BB172_53 Depth=1
	s_delay_alu instid0(SALU_CYCLE_1)
	s_or_b32 exec_lo, exec_lo, s2
	v_add_nc_u64_e32 v[4:5], v[22:23], v[50:51]
	v_add_nc_u64_e32 v[6:7], v[52:53], v[50:51]
	;; [unrolled: 1-line block ×6, first 2 shown]
	global_load_u16 v16, v[4:5], off
	global_load_u16 v17, v[6:7], off
	;; [unrolled: 1-line block ×4, first 2 shown]
	s_wait_xcnt 0x3
	v_add_nc_u64_e32 v[4:5], v[36:37], v[50:51]
	s_wait_xcnt 0x2
	v_add_nc_u64_e32 v[6:7], v[34:35], v[50:51]
	;; [unrolled: 2-line block ×3, first 2 shown]
	v_add_nc_u64_e32 v[8:9], v[28:29], v[50:51]
	global_load_u16 v14, v[14:15], off
	global_load_u16 v15, v[12:13], off
	;; [unrolled: 1-line block ×4, first 2 shown]
	s_wait_xcnt 0x1
	v_add_nc_u64_e32 v[4:5], v[42:43], v[50:51]
	s_wait_xcnt 0x0
	v_add_nc_u64_e32 v[6:7], v[40:41], v[50:51]
	s_wait_loadcnt 0x8
	ds_bpermute_b32 v12, v2, v3 offset:16
	global_load_u16 v88, v[10:11], off
	global_load_u16 v89, v[8:9], off
	;; [unrolled: 1-line block ×4, first 2 shown]
	s_wait_xcnt 0x1
	v_add_nc_u64_e32 v[4:5], v[46:47], v[50:51]
	s_wait_xcnt 0x0
	v_add_nc_u64_e32 v[6:7], v[38:39], v[50:51]
	v_add_nc_u64_e32 v[8:9], v[48:49], v[50:51]
	;; [unrolled: 1-line block ×3, first 2 shown]
	global_load_u16 v92, v[4:5], off
	global_load_u16 v93, v[6:7], off
	;; [unrolled: 1-line block ×4, first 2 shown]
	s_wait_xcnt 0x3
	ds_bpermute_b32 v4, v2, v3
	ds_bpermute_b32 v5, v2, v3 offset:4
	s_wait_xcnt 0x2
	ds_bpermute_b32 v6, v2, v3 offset:8
	ds_bpermute_b32 v7, v2, v3 offset:12
	;; [unrolled: 1-line block ×3, first 2 shown]
	s_wait_loadcnt 0xf
	s_wait_xcnt 0x1
	v_cvt_f32_f16_e32 v9, v16
	s_wait_loadcnt 0xe
	v_cvt_f32_f16_e32 v8, v17
	s_wait_loadcnt 0xd
	s_wait_xcnt 0x0
	v_cvt_f32_f16_e32 v11, v18
	s_wait_loadcnt 0xc
	v_cvt_f32_f16_e32 v10, v19
	s_delay_alu instid0(VALU_DEP_1)
	v_pk_mul_f32 v[8:9], v[8:9], v[10:11]
	s_wait_loadcnt 0xb
	v_cvt_f32_f16_e32 v11, v14
	s_wait_loadcnt 0xa
	v_cvt_f32_f16_e32 v10, v15
	;; [unrolled: 2-line block ×4, first 2 shown]
	s_wait_dscnt 0x3
	v_pk_mul_f32 v[4:5], v[8:9], v[4:5]
	ds_bpermute_b32 v8, v2, v3 offset:24
	s_wait_loadcnt 0x7
	v_cvt_f32_f16_e32 v17, v88
	s_wait_loadcnt 0x6
	v_cvt_f32_f16_e32 v16, v89
	v_pk_mul_f32 v[10:11], v[10:11], v[14:15]
	s_wait_loadcnt 0x5
	v_cvt_f32_f16_e32 v15, v90
	s_wait_loadcnt 0x4
	v_cvt_f32_f16_e32 v14, v91
	ds_bpermute_b32 v9, v2, v3 offset:28
	s_wait_dscnt 0x3
	v_pk_mul_f32 v[6:7], v[10:11], v[6:7]
	v_add_f32_e32 v4, v87, v4
	s_wait_loadcnt 0x3
	v_cvt_f32_f16_e32 v11, v92
	s_delay_alu instid0(VALU_DEP_2)
	v_add_f32_e32 v10, v4, v5
	v_pk_mul_f32 v[4:5], v[16:17], v[14:15]
	s_wait_loadcnt 0x1
	v_cvt_f32_f16_e32 v15, v94
	s_wait_loadcnt 0x0
	v_cvt_f32_f16_e32 v14, v95
	v_add_f32_e32 v3, v10, v6
	v_cvt_f32_f16_e32 v10, v93
	s_wait_dscnt 0x2
	v_pk_mul_f32 v[4:5], v[4:5], v[12:13]
	s_delay_alu instid0(VALU_DEP_3) | instskip(NEXT) | instid1(VALU_DEP_3)
	v_add_f32_e32 v3, v3, v7
	v_pk_mul_f32 v[6:7], v[10:11], v[14:15]
	s_delay_alu instid0(VALU_DEP_2) | instskip(NEXT) | instid1(VALU_DEP_1)
	v_add_f32_e32 v3, v3, v4
	v_add_f32_e32 v3, v3, v5
	s_wait_dscnt 0x0
	s_delay_alu instid0(VALU_DEP_3) | instskip(NEXT) | instid1(VALU_DEP_1)
	v_pk_mul_f32 v[4:5], v[6:7], v[8:9]
	v_add_f32_e32 v3, v3, v4
	s_delay_alu instid0(VALU_DEP_1)
	v_add_f32_e32 v3, v3, v5
.LBB172_81:                             ;   in Loop: Header=BB172_53 Depth=1
	s_add_nc_u64 s[16:17], s[16:17], s[18:19]
	v_add_nc_u64_e32 v[52:53], s[36:37], v[52:53]
	v_cmp_ge_i64_e64 s2, s[16:17], s[4:5]
	v_add_nc_u64_e32 v[54:55], s[36:37], v[54:55]
	v_add_nc_u64_e32 v[22:23], s[36:37], v[22:23]
	v_add_nc_u64_e32 v[24:25], s[36:37], v[24:25]
	v_add_nc_u64_e32 v[26:27], s[36:37], v[26:27]
	v_add_nc_u64_e32 v[28:29], s[36:37], v[28:29]
	v_add_nc_u64_e32 v[30:31], s[36:37], v[30:31]
	v_add_nc_u64_e32 v[38:39], s[36:37], v[38:39]
	v_add_nc_u64_e32 v[46:47], s[36:37], v[46:47]
	v_add_nc_u64_e32 v[32:33], s[36:37], v[32:33]
	v_add_nc_u64_e32 v[34:35], s[36:37], v[34:35]
	v_add_nc_u64_e32 v[36:37], s[36:37], v[36:37]
	v_add_nc_u64_e32 v[40:41], s[36:37], v[40:41]
	v_add_nc_u64_e32 v[42:43], s[36:37], v[42:43]
	v_add_nc_u64_e32 v[44:45], s[36:37], v[44:45]
	v_add_nc_u64_e32 v[48:49], s[36:37], v[48:49]
	v_add_nc_u64_e32 v[56:57], s[36:37], v[56:57]
	v_add_nc_u64_e32 v[58:59], s[36:37], v[58:59]
	v_add_nc_u64_e32 v[60:61], s[36:37], v[60:61]
	v_add_nc_u64_e32 v[62:63], s[36:37], v[62:63]
	v_add_nc_u64_e32 v[64:65], s[36:37], v[64:65]
	v_add_nc_u64_e32 v[66:67], s[36:37], v[66:67]
	v_add_nc_u64_e32 v[68:69], s[36:37], v[68:69]
	v_add_nc_u64_e32 v[70:71], s[36:37], v[70:71]
	v_add_nc_u64_e32 v[72:73], s[36:37], v[72:73]
	v_add_nc_u64_e32 v[74:75], s[36:37], v[74:75]
	v_add_nc_u64_e32 v[76:77], s[36:37], v[76:77]
	v_add_nc_u64_e32 v[78:79], s[36:37], v[78:79]
	v_add_nc_u64_e32 v[80:81], s[36:37], v[80:81]
	v_add_nc_u64_e32 v[82:83], s[36:37], v[82:83]
	s_and_b32 vcc_lo, exec_lo, s2
	s_add_nc_u64 s[38:39], s[38:39], s[18:19]
	s_cbranch_vccnz .LBB172_83
; %bb.82:                               ;   in Loop: Header=BB172_53 Depth=1
	v_mov_b32_e32 v87, v3
	s_branch .LBB172_53
.LBB172_83:
	v_and_b32_e32 v5, 0x3ff, v0
	v_bfe_u32 v0, v0, 10, 10
	s_mov_b32 s2, exec_lo
	s_delay_alu instid0(VALU_DEP_1) | instskip(SKIP_1) | instid1(VALU_DEP_2)
	v_mad_u32_u24 v1, 0x41, v0, v5
	v_mov_b32_e32 v4, 0
	v_lshl_add_u32 v2, v1, 2, 0
	v_sub_nc_u32_e32 v1, v1, v0
	ds_store_b32 v2, v3
	ds_store_b32 v2, v4 offset:4160
	s_wait_dscnt 0x0
	s_barrier_signal -1
	s_barrier_wait -1
	v_cmpx_gt_u32_e32 0x800, v1
	s_cbranch_execz .LBB172_93
; %bb.84:
	s_load_b64 s[2:3], s[0:1], 0x30
	v_and_b32_e32 v2, 31, v5
	v_lshrrev_b32_e32 v0, 5, v1
	s_delay_alu instid0(VALU_DEP_2)
	v_cmp_gt_u32_e32 vcc_lo, 16, v2
	v_mul_u32_u24_e32 v4, 0x41, v2
                                        ; implicit-def: $vgpr2
	s_wait_xcnt 0x0
	s_and_saveexec_b32 s0, vcc_lo
	s_cbranch_execz .LBB172_86
; %bb.85:
	v_lshlrev_b32_e32 v2, 2, v0
	v_lshlrev_b32_e32 v3, 2, v4
	s_delay_alu instid0(VALU_DEP_1)
	v_add3_u32 v2, 0, v2, v3
	ds_load_b32 v2, v2
.LBB172_86:
	s_or_b32 exec_lo, exec_lo, s0
	v_mbcnt_lo_u32_b32 v3, -1, 0
	s_mov_b32 s13, 0
	s_delay_alu instid0(SALU_CYCLE_1)
	s_lshl_b64 s[4:5], s[12:13], 6
	s_wait_kmcnt 0x0
	s_cmp_eq_u64 s[2:3], 0
	v_xor_b32_e32 v6, 8, v3
	s_cselect_b32 s8, -1, 0
	v_xor_b32_e32 v7, 4, v3
	v_xor_b32_e32 v10, 1, v3
	s_delay_alu instid0(VALU_DEP_3) | instskip(NEXT) | instid1(VALU_DEP_1)
	v_cmp_gt_i32_e64 s0, 32, v6
	v_cndmask_b32_e64 v6, v3, v6, s0
	s_delay_alu instid0(VALU_DEP_4) | instskip(NEXT) | instid1(VALU_DEP_1)
	v_cmp_gt_i32_e64 s0, 32, v7
	v_dual_lshlrev_b32 v6, 2, v6 :: v_dual_cndmask_b32 v7, v3, v7, s0
	s_wait_dscnt 0x0
	ds_bpermute_b32 v8, v6, v2
	s_wait_dscnt 0x0
	v_dual_add_f32 v2, v2, v8 :: v_dual_bitop2_b32 v8, 2, v3 bitop3:0x14
	s_delay_alu instid0(VALU_DEP_1) | instskip(NEXT) | instid1(VALU_DEP_1)
	v_cmp_gt_i32_e64 s0, 32, v8
	v_dual_lshlrev_b32 v7, 2, v7 :: v_dual_cndmask_b32 v8, v3, v8, s0
	ds_bpermute_b32 v9, v7, v2
	v_cmp_gt_i32_e64 s0, 32, v10
	s_wait_dscnt 0x0
	v_dual_lshlrev_b32 v8, 2, v8 :: v_dual_add_f32 v2, v2, v9
	ds_bpermute_b32 v9, v8, v2
	v_cndmask_b32_e64 v3, v3, v10, s0
	v_cmp_ne_u32_e64 s0, 0, v5
	s_wait_dscnt 0x0
	s_delay_alu instid0(VALU_DEP_2) | instskip(SKIP_4) | instid1(VALU_DEP_1)
	v_dual_add_f32 v10, v2, v9 :: v_dual_lshlrev_b32 v9, 2, v3
	v_or_b32_e32 v2, s4, v0
	ds_bpermute_b32 v11, v9, v10
	s_wait_dscnt 0x0
	v_dual_mov_b32 v3, s5 :: v_dual_add_f32 v5, v10, v11
	v_cmp_le_i64_e64 s1, s[6:7], v[2:3]
	s_or_b32 s1, s0, s1
	s_delay_alu instid0(SALU_CYCLE_1) | instskip(NEXT) | instid1(SALU_CYCLE_1)
	s_nor_b32 s9, s8, s1
	s_and_saveexec_b32 s1, s9
	s_cbranch_execz .LBB172_88
; %bb.87:
	v_lshl_add_u64 v[2:3], v[2:3], 1, s[2:3]
	v_cvt_f16_f32_e32 v10, v5
	global_store_b16 v[2:3], v10, off
.LBB172_88:
	s_wait_xcnt 0x0
	s_or_b32 exec_lo, exec_lo, s1
	v_cmp_gt_u32_e64 s1, 0x400, v1
	s_and_b32 exec_lo, exec_lo, s1
	s_cbranch_execz .LBB172_93
; %bb.89:
	s_and_saveexec_b32 s1, vcc_lo
	s_cbranch_execz .LBB172_91
; %bb.90:
	v_lshlrev_b32_e32 v1, 2, v0
	v_lshlrev_b32_e32 v2, 2, v4
	s_delay_alu instid0(VALU_DEP_1)
	v_add3_u32 v1, 0, v1, v2
	ds_load_b32 v5, v1 offset:128
.LBB172_91:
	s_or_b32 exec_lo, exec_lo, s1
	s_wait_dscnt 0x0
	ds_bpermute_b32 v1, v6, v5
	s_wait_dscnt 0x0
	v_dual_add_f32 v1, v5, v1 :: v_dual_mov_b32 v5, s5
	ds_bpermute_b32 v2, v7, v1
	s_wait_dscnt 0x0
	v_add_f32_e32 v1, v1, v2
	ds_bpermute_b32 v2, v8, v1
	s_wait_dscnt 0x0
	v_dual_add_f32 v2, v1, v2 :: v_dual_add_nc_u32 v1, 32, v0
	ds_bpermute_b32 v3, v9, v2
	v_or_b32_e32 v4, s4, v1
	s_delay_alu instid0(VALU_DEP_1) | instskip(SKIP_1) | instid1(SALU_CYCLE_1)
	v_cmp_le_i64_e32 vcc_lo, s[6:7], v[4:5]
	s_or_b32 s0, s0, vcc_lo
	s_nor_b32 s0, s8, s0
	s_delay_alu instid0(SALU_CYCLE_1) | instskip(NEXT) | instid1(SALU_CYCLE_1)
	s_and_saveexec_b32 s1, s0
	s_xor_b32 s1, exec_lo, s1
	s_cbranch_execz .LBB172_93
; %bb.92:
	s_wait_dscnt 0x0
	v_dual_mov_b32 v1, 0 :: v_dual_add_f32 v2, v2, v3
	s_delay_alu instid0(VALU_DEP_1) | instskip(NEXT) | instid1(VALU_DEP_2)
	v_add_nc_u64_e32 v[0:1], s[4:5], v[0:1]
	v_cvt_f16_f32_e32 v2, v2
	s_delay_alu instid0(VALU_DEP_2)
	v_lshl_add_u64 v[0:1], v[0:1], 1, s[2:3]
	global_store_b16 v[0:1], v2, off offset:64
.LBB172_93:
	s_sendmsg sendmsg(MSG_DEALLOC_VGPRS)
	s_endpgm
	.section	.rodata,"a",@progbits
	.p2align	6, 0x0
	.amdhsa_kernel _ZN2at6native12_GLOBAL__N_135GammaBetaBackwardCUDAKernelTemplateIN3c104HalfEfLj64ELj16ELj128ELb0ELb0ELb1EEEvllPKT_S7_PKT0_SA_PS5_SB_
		.amdhsa_group_segment_fixed_size 0
		.amdhsa_private_segment_fixed_size 0
		.amdhsa_kernarg_size 320
		.amdhsa_user_sgpr_count 2
		.amdhsa_user_sgpr_dispatch_ptr 0
		.amdhsa_user_sgpr_queue_ptr 0
		.amdhsa_user_sgpr_kernarg_segment_ptr 1
		.amdhsa_user_sgpr_dispatch_id 0
		.amdhsa_user_sgpr_kernarg_preload_length 0
		.amdhsa_user_sgpr_kernarg_preload_offset 0
		.amdhsa_user_sgpr_private_segment_size 0
		.amdhsa_wavefront_size32 1
		.amdhsa_uses_dynamic_stack 0
		.amdhsa_enable_private_segment 0
		.amdhsa_system_sgpr_workgroup_id_x 1
		.amdhsa_system_sgpr_workgroup_id_y 1
		.amdhsa_system_sgpr_workgroup_id_z 0
		.amdhsa_system_sgpr_workgroup_info 0
		.amdhsa_system_vgpr_workitem_id 1
		.amdhsa_next_free_vgpr 96
		.amdhsa_next_free_sgpr 50
		.amdhsa_named_barrier_count 0
		.amdhsa_reserve_vcc 1
		.amdhsa_float_round_mode_32 0
		.amdhsa_float_round_mode_16_64 0
		.amdhsa_float_denorm_mode_32 3
		.amdhsa_float_denorm_mode_16_64 3
		.amdhsa_fp16_overflow 0
		.amdhsa_memory_ordered 1
		.amdhsa_forward_progress 1
		.amdhsa_inst_pref_size 49
		.amdhsa_round_robin_scheduling 0
		.amdhsa_exception_fp_ieee_invalid_op 0
		.amdhsa_exception_fp_denorm_src 0
		.amdhsa_exception_fp_ieee_div_zero 0
		.amdhsa_exception_fp_ieee_overflow 0
		.amdhsa_exception_fp_ieee_underflow 0
		.amdhsa_exception_fp_ieee_inexact 0
		.amdhsa_exception_int_div_zero 0
	.end_amdhsa_kernel
	.section	.text._ZN2at6native12_GLOBAL__N_135GammaBetaBackwardCUDAKernelTemplateIN3c104HalfEfLj64ELj16ELj128ELb0ELb0ELb1EEEvllPKT_S7_PKT0_SA_PS5_SB_,"axG",@progbits,_ZN2at6native12_GLOBAL__N_135GammaBetaBackwardCUDAKernelTemplateIN3c104HalfEfLj64ELj16ELj128ELb0ELb0ELb1EEEvllPKT_S7_PKT0_SA_PS5_SB_,comdat
.Lfunc_end172:
	.size	_ZN2at6native12_GLOBAL__N_135GammaBetaBackwardCUDAKernelTemplateIN3c104HalfEfLj64ELj16ELj128ELb0ELb0ELb1EEEvllPKT_S7_PKT0_SA_PS5_SB_, .Lfunc_end172-_ZN2at6native12_GLOBAL__N_135GammaBetaBackwardCUDAKernelTemplateIN3c104HalfEfLj64ELj16ELj128ELb0ELb0ELb1EEEvllPKT_S7_PKT0_SA_PS5_SB_
                                        ; -- End function
	.set _ZN2at6native12_GLOBAL__N_135GammaBetaBackwardCUDAKernelTemplateIN3c104HalfEfLj64ELj16ELj128ELb0ELb0ELb1EEEvllPKT_S7_PKT0_SA_PS5_SB_.num_vgpr, 96
	.set _ZN2at6native12_GLOBAL__N_135GammaBetaBackwardCUDAKernelTemplateIN3c104HalfEfLj64ELj16ELj128ELb0ELb0ELb1EEEvllPKT_S7_PKT0_SA_PS5_SB_.num_agpr, 0
	.set _ZN2at6native12_GLOBAL__N_135GammaBetaBackwardCUDAKernelTemplateIN3c104HalfEfLj64ELj16ELj128ELb0ELb0ELb1EEEvllPKT_S7_PKT0_SA_PS5_SB_.numbered_sgpr, 50
	.set _ZN2at6native12_GLOBAL__N_135GammaBetaBackwardCUDAKernelTemplateIN3c104HalfEfLj64ELj16ELj128ELb0ELb0ELb1EEEvllPKT_S7_PKT0_SA_PS5_SB_.num_named_barrier, 0
	.set _ZN2at6native12_GLOBAL__N_135GammaBetaBackwardCUDAKernelTemplateIN3c104HalfEfLj64ELj16ELj128ELb0ELb0ELb1EEEvllPKT_S7_PKT0_SA_PS5_SB_.private_seg_size, 0
	.set _ZN2at6native12_GLOBAL__N_135GammaBetaBackwardCUDAKernelTemplateIN3c104HalfEfLj64ELj16ELj128ELb0ELb0ELb1EEEvllPKT_S7_PKT0_SA_PS5_SB_.uses_vcc, 1
	.set _ZN2at6native12_GLOBAL__N_135GammaBetaBackwardCUDAKernelTemplateIN3c104HalfEfLj64ELj16ELj128ELb0ELb0ELb1EEEvllPKT_S7_PKT0_SA_PS5_SB_.uses_flat_scratch, 0
	.set _ZN2at6native12_GLOBAL__N_135GammaBetaBackwardCUDAKernelTemplateIN3c104HalfEfLj64ELj16ELj128ELb0ELb0ELb1EEEvllPKT_S7_PKT0_SA_PS5_SB_.has_dyn_sized_stack, 0
	.set _ZN2at6native12_GLOBAL__N_135GammaBetaBackwardCUDAKernelTemplateIN3c104HalfEfLj64ELj16ELj128ELb0ELb0ELb1EEEvllPKT_S7_PKT0_SA_PS5_SB_.has_recursion, 0
	.set _ZN2at6native12_GLOBAL__N_135GammaBetaBackwardCUDAKernelTemplateIN3c104HalfEfLj64ELj16ELj128ELb0ELb0ELb1EEEvllPKT_S7_PKT0_SA_PS5_SB_.has_indirect_call, 0
	.section	.AMDGPU.csdata,"",@progbits
; Kernel info:
; codeLenInByte = 6216
; TotalNumSgprs: 52
; NumVgprs: 96
; ScratchSize: 0
; MemoryBound: 0
; FloatMode: 240
; IeeeMode: 1
; LDSByteSize: 0 bytes/workgroup (compile time only)
; SGPRBlocks: 0
; VGPRBlocks: 5
; NumSGPRsForWavesPerEU: 52
; NumVGPRsForWavesPerEU: 96
; NamedBarCnt: 0
; Occupancy: 10
; WaveLimiterHint : 0
; COMPUTE_PGM_RSRC2:SCRATCH_EN: 0
; COMPUTE_PGM_RSRC2:USER_SGPR: 2
; COMPUTE_PGM_RSRC2:TRAP_HANDLER: 0
; COMPUTE_PGM_RSRC2:TGID_X_EN: 1
; COMPUTE_PGM_RSRC2:TGID_Y_EN: 1
; COMPUTE_PGM_RSRC2:TGID_Z_EN: 0
; COMPUTE_PGM_RSRC2:TIDIG_COMP_CNT: 1
	.section	.text._ZN2at6native12_GLOBAL__N_135GammaBetaBackwardCUDAKernelTemplateIN3c104HalfEfLj64ELj16ELj256ELb0ELb1ELb1EEEvllPKT_S7_PKT0_SA_PS5_SB_,"axG",@progbits,_ZN2at6native12_GLOBAL__N_135GammaBetaBackwardCUDAKernelTemplateIN3c104HalfEfLj64ELj16ELj256ELb0ELb1ELb1EEEvllPKT_S7_PKT0_SA_PS5_SB_,comdat
	.globl	_ZN2at6native12_GLOBAL__N_135GammaBetaBackwardCUDAKernelTemplateIN3c104HalfEfLj64ELj16ELj256ELb0ELb1ELb1EEEvllPKT_S7_PKT0_SA_PS5_SB_ ; -- Begin function _ZN2at6native12_GLOBAL__N_135GammaBetaBackwardCUDAKernelTemplateIN3c104HalfEfLj64ELj16ELj256ELb0ELb1ELb1EEEvllPKT_S7_PKT0_SA_PS5_SB_
	.p2align	8
	.type	_ZN2at6native12_GLOBAL__N_135GammaBetaBackwardCUDAKernelTemplateIN3c104HalfEfLj64ELj16ELj256ELb0ELb1ELb1EEEvllPKT_S7_PKT0_SA_PS5_SB_,@function
_ZN2at6native12_GLOBAL__N_135GammaBetaBackwardCUDAKernelTemplateIN3c104HalfEfLj64ELj16ELj256ELb0ELb1ELb1EEEvllPKT_S7_PKT0_SA_PS5_SB_: ; @_ZN2at6native12_GLOBAL__N_135GammaBetaBackwardCUDAKernelTemplateIN3c104HalfEfLj64ELj16ELj256ELb0ELb1ELb1EEEvllPKT_S7_PKT0_SA_PS5_SB_
; %bb.0:
	s_load_b128 s[4:7], s[0:1], 0x0
	s_bfe_u32 s2, ttmp6, 0x40010
	s_bfe_u32 s3, ttmp6, 0x40004
	s_add_co_i32 s2, s2, 1
	s_getreg_b32 s20, hwreg(HW_REG_IB_STS2, 6, 4)
	s_mul_i32 s2, ttmp7, s2
	s_mov_b32 s13, 0
	s_add_co_i32 s3, s3, s2
	s_cmp_eq_u32 s20, 0
	v_bfe_u32 v9, v0, 10, 10
	s_cselect_b32 s2, ttmp7, s3
	s_delay_alu instid0(SALU_CYCLE_1)
	s_lshl_b32 s12, s2, 8
	s_wait_kmcnt 0x0
	v_cmp_gt_i64_e64 s2, s[4:5], s[12:13]
	s_and_b32 vcc_lo, exec_lo, s2
	s_cbranch_vccnz .LBB173_2
; %bb.1:
	v_bfe_u32 v1, v0, 10, 10
	s_mov_b32 s2, s13
	v_and_b32_e32 v8, 0x3ff, v0
	v_mov_b32_e32 v25, 0
	s_and_not1_b32 vcc_lo, exec_lo, s2
	s_cbranch_vccz .LBB173_3
	s_branch .LBB173_10
.LBB173_2:
                                        ; implicit-def: $vgpr1
	v_and_b32_e32 v8, 0x3ff, v0
	v_mov_b32_e32 v25, 0
.LBB173_3:
	v_dual_mov_b32 v1, 0 :: v_dual_lshlrev_b32 v0, 4, v9
	s_clause 0x1
	s_load_b32 s2, s[0:1], 0x44
	s_load_b32 s3, s[0:1], 0x4c
	s_bfe_u32 s18, ttmp6, 0x4000c
	s_clause 0x1
	s_load_b128 s[8:11], s[0:1], 0x10
	s_load_b64 s[16:17], s[0:1], 0x28
	s_add_co_i32 s18, s18, 1
	v_add_nc_u64_e32 v[2:3], s[12:13], v[0:1]
	s_and_b32 s14, ttmp6, 15
	s_mul_i32 s18, ttmp9, s18
	v_dual_mov_b32 v5, v1 :: v_dual_mov_b32 v23, v1
	s_add_co_i32 s14, s14, s18
	s_mov_b32 s15, 0
	s_delay_alu instid0(VALU_DEP_2)
	v_mul_u64_e32 v[6:7], s[6:7], v[2:3]
	v_dual_mov_b32 v0, 16 :: v_dual_mov_b32 v10, 4
	v_dual_mov_b32 v11, 8 :: v_dual_mov_b32 v12, 12
	;; [unrolled: 1-line block ×4, first 2 shown]
	s_wait_kmcnt 0x0
	s_and_b32 s3, s3, 0xffff
	s_cmp_eq_u32 s20, 0
	v_mad_u32_u24 v4, v9, s3, v8
	s_cselect_b32 s3, ttmp9, s14
	s_lshl_b32 s14, s2, 8
	v_lshl_add_u32 v22, s3, 6, v8
	s_delay_alu instid0(VALU_DEP_2) | instskip(SKIP_1) | instid1(VALU_DEP_3)
	v_dual_mov_b32 v19, 44 :: v_dual_bitop2_b32 v4, 31, v4 bitop3:0x40
	v_dual_mov_b32 v17, 36 :: v_dual_mov_b32 v18, 40
	v_lshlrev_b64_e32 v[24:25], 1, v[22:23]
	v_dual_mov_b32 v20, 48 :: v_dual_mov_b32 v21, 52
	s_delay_alu instid0(VALU_DEP_4)
	v_add_nc_u64_e32 v[2:3], v[2:3], v[4:5]
	v_dual_mov_b32 v22, 56 :: v_dual_mov_b32 v23, 60
	v_cmp_gt_u32_e64 s2, 16, v4
	s_mul_u64 s[18:19], s[6:7], s[14:15]
	s_lshl_b64 s[6:7], s[6:7], 1
	s_lshl_b64 s[18:19], s[18:19], 1
	v_lshl_add_u64 v[4:5], v[2:3], 2, s[16:17]
	s_lshl_b64 s[16:17], s[14:15], 2
	v_lshl_add_u64 v[6:7], v[6:7], 1, v[24:25]
	v_mov_b32_e32 v25, 0
	s_branch .LBB173_6
.LBB173_4:                              ;   in Loop: Header=BB173_6 Depth=1
	s_wait_xcnt 0x0
	s_or_b32 exec_lo, exec_lo, s21
.LBB173_5:                              ;   in Loop: Header=BB173_6 Depth=1
	s_delay_alu instid0(SALU_CYCLE_1)
	s_or_b32 exec_lo, exec_lo, s3
	v_add_nc_u64_e32 v[26:27], s[8:9], v[6:7]
	v_add_nc_u64_e32 v[28:29], s[10:11], v[6:7]
	s_add_nc_u64 s[12:13], s[12:13], s[14:15]
	v_add_nc_u64_e32 v[4:5], s[16:17], v[4:5]
	v_cmp_lt_i64_e64 s3, s[12:13], s[4:5]
	v_add_nc_u64_e32 v[2:3], s[14:15], v[2:3]
	v_add_nc_u64_e32 v[6:7], s[18:19], v[6:7]
	;; [unrolled: 1-line block ×4, first 2 shown]
	global_load_u16 v42, v[26:27], off
	global_load_u16 v43, v[28:29], off
	;; [unrolled: 1-line block ×4, first 2 shown]
	v_add_nc_u64_e32 v[34:35], s[6:7], v[30:31]
	v_add_nc_u64_e32 v[36:37], s[6:7], v[32:33]
	s_and_b32 vcc_lo, exec_lo, s3
	global_load_u16 v46, v[34:35], off
	global_load_u16 v47, v[36:37], off
	v_add_nc_u64_e32 v[38:39], s[6:7], v[34:35]
	v_add_nc_u64_e32 v[40:41], s[6:7], v[36:37]
	s_wait_xcnt 0x5
	s_delay_alu instid0(VALU_DEP_2) | instskip(SKIP_1) | instid1(VALU_DEP_2)
	v_add_nc_u64_e32 v[26:27], s[6:7], v[38:39]
	s_wait_xcnt 0x4
	v_add_nc_u64_e32 v[28:29], s[6:7], v[40:41]
	global_load_u16 v48, v[38:39], off
	global_load_u16 v49, v[40:41], off
	;; [unrolled: 1-line block ×4, first 2 shown]
	s_wait_xcnt 0x7
	v_add_nc_u64_e32 v[30:31], s[6:7], v[26:27]
	s_wait_xcnt 0x6
	v_add_nc_u64_e32 v[32:33], s[6:7], v[28:29]
	s_wait_xcnt 0x5
	s_delay_alu instid0(VALU_DEP_2) | instskip(SKIP_1) | instid1(VALU_DEP_2)
	v_add_nc_u64_e32 v[34:35], s[6:7], v[30:31]
	s_wait_xcnt 0x4
	v_add_nc_u64_e32 v[36:37], s[6:7], v[32:33]
	global_load_u16 v38, v[30:31], off
	global_load_u16 v39, v[32:33], off
	s_wait_xcnt 0x3
	v_add_nc_u64_e32 v[26:27], s[6:7], v[34:35]
	s_wait_xcnt 0x2
	v_add_nc_u64_e32 v[28:29], s[6:7], v[36:37]
	global_load_u16 v40, v[34:35], off
	global_load_u16 v41, v[36:37], off
	global_load_u16 v52, v[26:27], off
	s_wait_xcnt 0x4
	v_add_nc_u64_e32 v[30:31], s[6:7], v[26:27]
	s_wait_xcnt 0x3
	v_add_nc_u64_e32 v[32:33], s[6:7], v[28:29]
	global_load_u16 v53, v[28:29], off
	s_wait_xcnt 0x1
	v_add_nc_u64_e32 v[26:27], s[6:7], v[30:31]
	s_wait_xcnt 0x0
	v_add_nc_u64_e32 v[28:29], s[6:7], v[32:33]
	global_load_u16 v54, v[30:31], off
	global_load_u16 v55, v[32:33], off
	;; [unrolled: 1-line block ×4, first 2 shown]
	v_add_nc_u64_e32 v[34:35], s[6:7], v[26:27]
	v_add_nc_u64_e32 v[36:37], s[6:7], v[28:29]
	s_wait_xcnt 0x1
	s_delay_alu instid0(VALU_DEP_2) | instskip(SKIP_1) | instid1(VALU_DEP_2)
	v_add_nc_u64_e32 v[26:27], s[6:7], v[34:35]
	s_wait_xcnt 0x0
	v_add_nc_u64_e32 v[28:29], s[6:7], v[36:37]
	global_load_u16 v58, v[34:35], off
	global_load_u16 v36, v[36:37], off
	s_wait_loadcnt 0x16
	s_wait_xcnt 0x1
	ds_bpermute_b32 v34, v11, v24
	global_load_u16 v37, v[26:27], off
	global_load_u16 v59, v[28:29], off
	v_add_nc_u64_e32 v[30:31], s[6:7], v[26:27]
	v_add_nc_u64_e32 v[32:33], s[6:7], v[28:29]
	ds_bpermute_b32 v35, v12, v24
	s_wait_xcnt 0x1
	v_add_nc_u64_e32 v[26:27], s[6:7], v[30:31]
	s_wait_xcnt 0x0
	v_add_nc_u64_e32 v[28:29], s[6:7], v[32:33]
	global_load_u16 v60, v[30:31], off
	global_load_u16 v61, v[32:33], off
	s_wait_xcnt 0x1
	v_add_nc_u64_e32 v[30:31], s[6:7], v[26:27]
	s_wait_xcnt 0x0
	v_add_nc_u64_e32 v[32:33], s[6:7], v[28:29]
	global_load_u16 v62, v[26:27], off
	global_load_u16 v63, v[28:29], off
	global_load_u16 v64, v[30:31], off
	s_wait_xcnt 0x2
	v_add_nc_u64_e32 v[26:27], s[6:7], v[30:31]
	s_wait_xcnt 0x1
	v_add_nc_u64_e32 v[28:29], s[6:7], v[32:33]
	global_load_u16 v65, v[32:33], off
	global_load_u16 v66, v[26:27], off
	;; [unrolled: 1-line block ×3, first 2 shown]
	s_wait_xcnt 0x1
	ds_bpermute_b32 v26, v1, v24
	s_wait_xcnt 0x0
	ds_bpermute_b32 v28, v10, v24
	s_wait_loadcnt 0x1f
	v_cvt_f32_f16_e32 v27, v42
	s_wait_loadcnt 0x1e
	v_cvt_f32_f16_e32 v29, v43
	;; [unrolled: 2-line block ×3, first 2 shown]
	s_delay_alu instid0(VALU_DEP_2) | instskip(SKIP_1) | instid1(VALU_DEP_1)
	v_mul_f32_e32 v27, v27, v29
	v_cvt_f32_f16_e32 v29, v44
	v_mul_f32_e32 v29, v29, v30
	s_wait_loadcnt 0x1b
	v_cvt_f32_f16_e32 v30, v46
	s_wait_loadcnt 0x1a
	v_cvt_f32_f16_e32 v31, v47
	s_wait_dscnt 0x1
	v_fmac_f32_e32 v25, v27, v26
	ds_bpermute_b32 v26, v0, v24
	ds_bpermute_b32 v27, v13, v24
	s_wait_dscnt 0x2
	v_dual_mul_f32 v42, v30, v31 :: v_dual_fmac_f32 v25, v29, v28
	ds_bpermute_b32 v28, v14, v24
	ds_bpermute_b32 v29, v15, v24
	s_wait_loadcnt 0x19
	v_cvt_f32_f16_e32 v43, v48
	s_wait_loadcnt 0x18
	v_cvt_f32_f16_e32 v44, v49
	;; [unrolled: 2-line block ×4, first 2 shown]
	v_dual_fmac_f32 v25, v42, v34 :: v_dual_mul_f32 v34, v43, v44
	s_delay_alu instid0(VALU_DEP_1) | instskip(SKIP_4) | instid1(VALU_DEP_1)
	v_fmac_f32_e32 v25, v34, v35
	s_wait_loadcnt 0x15
	v_cvt_f32_f16_e32 v31, v38
	s_wait_loadcnt 0x14
	v_cvt_f32_f16_e32 v33, v39
	v_pk_mul_f32 v[30:31], v[30:31], v[32:33]
	s_wait_loadcnt 0x13
	v_cvt_f32_f16_e32 v32, v40
	s_wait_loadcnt 0x12
	v_cvt_f32_f16_e32 v34, v41
	;; [unrolled: 2-line block ×3, first 2 shown]
	s_wait_dscnt 0x2
	v_pk_mul_f32 v[26:27], v[30:31], v[26:27]
	ds_bpermute_b32 v30, v16, v24
	ds_bpermute_b32 v31, v17, v24
	s_wait_loadcnt 0x10
	v_cvt_f32_f16_e32 v35, v53
	v_add_f32_e32 v25, v25, v26
	ds_bpermute_b32 v26, v18, v24
	v_pk_mul_f32 v[32:33], v[32:33], v[34:35]
	v_add_f32_e32 v25, v25, v27
	s_wait_loadcnt 0xf
	v_cvt_f32_f16_e32 v34, v54
	s_wait_loadcnt 0xd
	v_cvt_f32_f16_e32 v35, v56
	s_wait_dscnt 0x3
	v_pk_mul_f32 v[28:29], v[32:33], v[28:29]
	v_cvt_f32_f16_e32 v32, v55
	s_wait_loadcnt 0xc
	v_cvt_f32_f16_e32 v33, v57
	ds_bpermute_b32 v27, v19, v24
	v_add_f32_e32 v25, v25, v28
	v_pk_mul_f32 v[32:33], v[34:35], v[32:33]
	s_delay_alu instid0(VALU_DEP_2)
	v_add_f32_e32 v25, v25, v29
	s_wait_loadcnt 0xb
	v_cvt_f32_f16_e32 v28, v58
	s_wait_loadcnt 0xa
	v_cvt_f32_f16_e32 v34, v36
	s_wait_dscnt 0x2
	v_pk_mul_f32 v[30:31], v[32:33], v[30:31]
	ds_bpermute_b32 v32, v20, v24
	s_wait_loadcnt 0x9
	v_cvt_f32_f16_e32 v29, v37
	s_wait_loadcnt 0x8
	v_cvt_f32_f16_e32 v35, v59
	ds_bpermute_b32 v33, v21, v24
	v_add_f32_e32 v25, v25, v30
	ds_bpermute_b32 v30, v22, v24
	v_pk_mul_f32 v[28:29], v[28:29], v[34:35]
	v_add_f32_e32 v25, v25, v31
	ds_bpermute_b32 v31, v23, v24
	s_wait_loadcnt 0x7
	v_cvt_f32_f16_e32 v34, v60
	s_wait_dscnt 0x4
	v_pk_mul_f32 v[26:27], v[28:29], v[26:27]
	s_wait_loadcnt 0x6
	v_cvt_f32_f16_e32 v28, v61
	s_delay_alu instid0(VALU_DEP_2) | instskip(SKIP_4) | instid1(VALU_DEP_1)
	v_add_f32_e32 v26, v25, v26
	s_wait_loadcnt 0x5
	v_cvt_f32_f16_e32 v35, v62
	s_wait_loadcnt 0x4
	v_cvt_f32_f16_e32 v29, v63
	v_pk_mul_f32 v[24:25], v[34:35], v[28:29]
	v_add_f32_e32 v34, v26, v27
	s_wait_loadcnt 0x3
	v_cvt_f32_f16_e32 v26, v64
	s_wait_loadcnt 0x2
	v_cvt_f32_f16_e32 v28, v65
	;; [unrolled: 2-line block ×3, first 2 shown]
	s_wait_dscnt 0x2
	v_pk_mul_f32 v[24:25], v[24:25], v[32:33]
	s_wait_loadcnt 0x0
	v_cvt_f32_f16_e32 v29, v67
	s_delay_alu instid0(VALU_DEP_2) | instskip(NEXT) | instid1(VALU_DEP_2)
	v_add_f32_e32 v24, v34, v24
	v_pk_mul_f32 v[26:27], v[26:27], v[28:29]
	s_delay_alu instid0(VALU_DEP_2) | instskip(SKIP_1) | instid1(VALU_DEP_2)
	v_add_f32_e32 v28, v24, v25
	s_wait_dscnt 0x0
	v_pk_mul_f32 v[24:25], v[26:27], v[30:31]
	s_delay_alu instid0(VALU_DEP_1) | instskip(NEXT) | instid1(VALU_DEP_1)
	v_add_f32_e32 v24, v28, v24
	v_add_f32_e32 v25, v24, v25
	s_cbranch_vccz .LBB173_9
.LBB173_6:                              ; =>This Inner Loop Header: Depth=1
	v_mov_b32_e32 v24, 0
	s_and_saveexec_b32 s3, s2
	s_cbranch_execz .LBB173_5
; %bb.7:                                ;   in Loop: Header=BB173_6 Depth=1
	v_mov_b32_e32 v24, 0
	s_mov_b32 s21, exec_lo
	v_cmpx_gt_i64_e64 s[4:5], v[2:3]
	s_cbranch_execz .LBB173_4
; %bb.8:                                ;   in Loop: Header=BB173_6 Depth=1
	global_load_b32 v24, v[4:5], off
	s_branch .LBB173_4
.LBB173_9:
	v_mov_b32_e32 v1, v9
.LBB173_10:
	s_load_b64 s[2:3], s[0:1], 0x30
	s_delay_alu instid0(VALU_DEP_1) | instskip(SKIP_3) | instid1(VALU_DEP_2)
	v_mad_u32_u24 v0, 0x41, v1, v8
	v_mov_b32_e32 v3, 0
	s_wait_xcnt 0x0
	s_mov_b32 s0, exec_lo
	v_lshl_add_u32 v2, v0, 2, 0
	v_sub_nc_u32_e32 v1, v0, v1
	ds_store_b32 v2, v25
	ds_store_b32 v2, v3 offset:4160
	s_wait_dscnt 0x0
	s_barrier_signal -1
	s_barrier_wait -1
	v_cmpx_gt_u32_e32 0x800, v1
	s_cbranch_execz .LBB173_20
; %bb.11:
	v_dual_lshrrev_b32 v0, 5, v1 :: v_dual_bitop2_b32 v2, 31, v8 bitop3:0x40
                                        ; implicit-def: $vgpr5
	s_delay_alu instid0(VALU_DEP_1)
	v_cmp_gt_u32_e32 vcc_lo, 16, v2
	v_mul_u32_u24_e32 v2, 0x41, v2
	s_and_saveexec_b32 s0, vcc_lo
; %bb.12:
	s_delay_alu instid0(VALU_DEP_1) | instskip(NEXT) | instid1(VALU_DEP_1)
	v_dual_lshlrev_b32 v3, 2, v0 :: v_dual_lshlrev_b32 v4, 2, v2
	v_add3_u32 v3, 0, v3, v4
	ds_load_b32 v5, v3
; %bb.13:
	s_or_b32 exec_lo, exec_lo, s0
	v_mbcnt_lo_u32_b32 v6, -1, 0
	s_wait_kmcnt 0x0
	s_cmp_lg_u64 s[2:3], 0
	s_cselect_b32 s1, -1, 0
	s_bfe_u32 s4, ttmp6, 0x4000c
	v_xor_b32_e32 v4, 4, v6
	v_xor_b32_e32 v3, 8, v6
	s_add_co_i32 s4, s4, 1
	s_and_b32 s5, ttmp6, 15
	s_mul_i32 s4, ttmp9, s4
	v_xor_b32_e32 v10, 1, v6
	v_cmp_gt_i32_e64 s0, 32, v3
	s_delay_alu instid0(VALU_DEP_1) | instskip(SKIP_1) | instid1(VALU_DEP_1)
	v_cndmask_b32_e64 v3, v6, v3, s0
	v_cmp_gt_i32_e64 s0, 32, v4
	v_cndmask_b32_e64 v4, v6, v4, s0
	s_delay_alu instid0(VALU_DEP_1)
	v_dual_lshlrev_b32 v4, 2, v4 :: v_dual_lshlrev_b32 v3, 2, v3
	s_wait_dscnt 0x0
	ds_bpermute_b32 v7, v3, v5
	s_wait_dscnt 0x0
	v_dual_add_f32 v7, v5, v7 :: v_dual_bitop2_b32 v5, 2, v6 bitop3:0x14
	ds_bpermute_b32 v9, v4, v7
	v_cmp_gt_i32_e64 s0, 32, v5
	s_delay_alu instid0(VALU_DEP_1) | instskip(SKIP_1) | instid1(VALU_DEP_1)
	v_cndmask_b32_e64 v5, v6, v5, s0
	v_cmp_gt_i32_e64 s0, 32, v10
	v_dual_lshlrev_b32 v5, 2, v5 :: v_dual_cndmask_b32 v6, v6, v10, s0
	v_cmp_eq_u32_e64 s0, 0, v8
	s_delay_alu instid0(VALU_DEP_2)
	v_lshlrev_b32_e32 v6, 2, v6
	s_and_b32 s1, s0, s1
	s_add_co_i32 s0, s5, s4
	s_wait_dscnt 0x0
	v_add_f32_e32 v7, v7, v9
	s_cmp_eq_u32 s20, 0
	s_mov_b32 s5, 0
	s_cselect_b32 s4, ttmp9, s0
	ds_bpermute_b32 v9, v5, v7
	s_lshl_b64 s[4:5], s[4:5], 7
	s_delay_alu instid0(SALU_CYCLE_1)
	s_add_nc_u64 s[2:3], s[2:3], s[4:5]
	s_wait_dscnt 0x0
	v_add_f32_e32 v7, v7, v9
	ds_bpermute_b32 v9, v6, v7
	s_wait_dscnt 0x0
	v_add_f32_e32 v7, v7, v9
	s_and_saveexec_b32 s0, s1
	s_cbranch_execz .LBB173_15
; %bb.14:
	s_delay_alu instid0(VALU_DEP_1)
	v_cvt_f16_f32_e32 v8, v7
	global_store_b16 v0, v8, s[2:3] scale_offset
.LBB173_15:
	s_wait_xcnt 0x0
	s_or_b32 exec_lo, exec_lo, s0
	v_cmp_gt_u32_e64 s0, 0x400, v1
	s_and_b32 exec_lo, exec_lo, s0
	s_cbranch_execz .LBB173_20
; %bb.16:
	s_and_saveexec_b32 s0, vcc_lo
; %bb.17:
	v_dual_lshlrev_b32 v1, 2, v0 :: v_dual_lshlrev_b32 v2, 2, v2
	s_delay_alu instid0(VALU_DEP_1)
	v_add3_u32 v1, 0, v1, v2
	ds_load_b32 v7, v1 offset:128
; %bb.18:
	s_or_b32 exec_lo, exec_lo, s0
	s_wait_dscnt 0x0
	ds_bpermute_b32 v1, v3, v7
	s_wait_dscnt 0x0
	v_add_f32_e32 v1, v7, v1
	ds_bpermute_b32 v2, v4, v1
	s_wait_dscnt 0x0
	v_add_f32_e32 v1, v1, v2
	;; [unrolled: 3-line block ×3, first 2 shown]
	ds_bpermute_b32 v2, v6, v1
	s_and_saveexec_b32 s0, s1
	s_delay_alu instid0(SALU_CYCLE_1)
	s_xor_b32 s0, exec_lo, s0
	s_cbranch_execz .LBB173_20
; %bb.19:
	s_wait_dscnt 0x0
	v_add_f32_e32 v1, v1, v2
	s_delay_alu instid0(VALU_DEP_1)
	v_cvt_f16_f32_e32 v1, v1
	global_store_b16 v0, v1, s[2:3] offset:64 scale_offset
.LBB173_20:
	s_sendmsg sendmsg(MSG_DEALLOC_VGPRS)
	s_endpgm
	.section	.rodata,"a",@progbits
	.p2align	6, 0x0
	.amdhsa_kernel _ZN2at6native12_GLOBAL__N_135GammaBetaBackwardCUDAKernelTemplateIN3c104HalfEfLj64ELj16ELj256ELb0ELb1ELb1EEEvllPKT_S7_PKT0_SA_PS5_SB_
		.amdhsa_group_segment_fixed_size 0
		.amdhsa_private_segment_fixed_size 0
		.amdhsa_kernarg_size 320
		.amdhsa_user_sgpr_count 2
		.amdhsa_user_sgpr_dispatch_ptr 0
		.amdhsa_user_sgpr_queue_ptr 0
		.amdhsa_user_sgpr_kernarg_segment_ptr 1
		.amdhsa_user_sgpr_dispatch_id 0
		.amdhsa_user_sgpr_kernarg_preload_length 0
		.amdhsa_user_sgpr_kernarg_preload_offset 0
		.amdhsa_user_sgpr_private_segment_size 0
		.amdhsa_wavefront_size32 1
		.amdhsa_uses_dynamic_stack 0
		.amdhsa_enable_private_segment 0
		.amdhsa_system_sgpr_workgroup_id_x 1
		.amdhsa_system_sgpr_workgroup_id_y 1
		.amdhsa_system_sgpr_workgroup_id_z 0
		.amdhsa_system_sgpr_workgroup_info 0
		.amdhsa_system_vgpr_workitem_id 1
		.amdhsa_next_free_vgpr 68
		.amdhsa_next_free_sgpr 22
		.amdhsa_named_barrier_count 0
		.amdhsa_reserve_vcc 1
		.amdhsa_float_round_mode_32 0
		.amdhsa_float_round_mode_16_64 0
		.amdhsa_float_denorm_mode_32 3
		.amdhsa_float_denorm_mode_16_64 3
		.amdhsa_fp16_overflow 0
		.amdhsa_memory_ordered 1
		.amdhsa_forward_progress 1
		.amdhsa_inst_pref_size 19
		.amdhsa_round_robin_scheduling 0
		.amdhsa_exception_fp_ieee_invalid_op 0
		.amdhsa_exception_fp_denorm_src 0
		.amdhsa_exception_fp_ieee_div_zero 0
		.amdhsa_exception_fp_ieee_overflow 0
		.amdhsa_exception_fp_ieee_underflow 0
		.amdhsa_exception_fp_ieee_inexact 0
		.amdhsa_exception_int_div_zero 0
	.end_amdhsa_kernel
	.section	.text._ZN2at6native12_GLOBAL__N_135GammaBetaBackwardCUDAKernelTemplateIN3c104HalfEfLj64ELj16ELj256ELb0ELb1ELb1EEEvllPKT_S7_PKT0_SA_PS5_SB_,"axG",@progbits,_ZN2at6native12_GLOBAL__N_135GammaBetaBackwardCUDAKernelTemplateIN3c104HalfEfLj64ELj16ELj256ELb0ELb1ELb1EEEvllPKT_S7_PKT0_SA_PS5_SB_,comdat
.Lfunc_end173:
	.size	_ZN2at6native12_GLOBAL__N_135GammaBetaBackwardCUDAKernelTemplateIN3c104HalfEfLj64ELj16ELj256ELb0ELb1ELb1EEEvllPKT_S7_PKT0_SA_PS5_SB_, .Lfunc_end173-_ZN2at6native12_GLOBAL__N_135GammaBetaBackwardCUDAKernelTemplateIN3c104HalfEfLj64ELj16ELj256ELb0ELb1ELb1EEEvllPKT_S7_PKT0_SA_PS5_SB_
                                        ; -- End function
	.set _ZN2at6native12_GLOBAL__N_135GammaBetaBackwardCUDAKernelTemplateIN3c104HalfEfLj64ELj16ELj256ELb0ELb1ELb1EEEvllPKT_S7_PKT0_SA_PS5_SB_.num_vgpr, 68
	.set _ZN2at6native12_GLOBAL__N_135GammaBetaBackwardCUDAKernelTemplateIN3c104HalfEfLj64ELj16ELj256ELb0ELb1ELb1EEEvllPKT_S7_PKT0_SA_PS5_SB_.num_agpr, 0
	.set _ZN2at6native12_GLOBAL__N_135GammaBetaBackwardCUDAKernelTemplateIN3c104HalfEfLj64ELj16ELj256ELb0ELb1ELb1EEEvllPKT_S7_PKT0_SA_PS5_SB_.numbered_sgpr, 22
	.set _ZN2at6native12_GLOBAL__N_135GammaBetaBackwardCUDAKernelTemplateIN3c104HalfEfLj64ELj16ELj256ELb0ELb1ELb1EEEvllPKT_S7_PKT0_SA_PS5_SB_.num_named_barrier, 0
	.set _ZN2at6native12_GLOBAL__N_135GammaBetaBackwardCUDAKernelTemplateIN3c104HalfEfLj64ELj16ELj256ELb0ELb1ELb1EEEvllPKT_S7_PKT0_SA_PS5_SB_.private_seg_size, 0
	.set _ZN2at6native12_GLOBAL__N_135GammaBetaBackwardCUDAKernelTemplateIN3c104HalfEfLj64ELj16ELj256ELb0ELb1ELb1EEEvllPKT_S7_PKT0_SA_PS5_SB_.uses_vcc, 1
	.set _ZN2at6native12_GLOBAL__N_135GammaBetaBackwardCUDAKernelTemplateIN3c104HalfEfLj64ELj16ELj256ELb0ELb1ELb1EEEvllPKT_S7_PKT0_SA_PS5_SB_.uses_flat_scratch, 0
	.set _ZN2at6native12_GLOBAL__N_135GammaBetaBackwardCUDAKernelTemplateIN3c104HalfEfLj64ELj16ELj256ELb0ELb1ELb1EEEvllPKT_S7_PKT0_SA_PS5_SB_.has_dyn_sized_stack, 0
	.set _ZN2at6native12_GLOBAL__N_135GammaBetaBackwardCUDAKernelTemplateIN3c104HalfEfLj64ELj16ELj256ELb0ELb1ELb1EEEvllPKT_S7_PKT0_SA_PS5_SB_.has_recursion, 0
	.set _ZN2at6native12_GLOBAL__N_135GammaBetaBackwardCUDAKernelTemplateIN3c104HalfEfLj64ELj16ELj256ELb0ELb1ELb1EEEvllPKT_S7_PKT0_SA_PS5_SB_.has_indirect_call, 0
	.section	.AMDGPU.csdata,"",@progbits
; Kernel info:
; codeLenInByte = 2376
; TotalNumSgprs: 24
; NumVgprs: 68
; ScratchSize: 0
; MemoryBound: 0
; FloatMode: 240
; IeeeMode: 1
; LDSByteSize: 0 bytes/workgroup (compile time only)
; SGPRBlocks: 0
; VGPRBlocks: 4
; NumSGPRsForWavesPerEU: 24
; NumVGPRsForWavesPerEU: 68
; NamedBarCnt: 0
; Occupancy: 12
; WaveLimiterHint : 0
; COMPUTE_PGM_RSRC2:SCRATCH_EN: 0
; COMPUTE_PGM_RSRC2:USER_SGPR: 2
; COMPUTE_PGM_RSRC2:TRAP_HANDLER: 0
; COMPUTE_PGM_RSRC2:TGID_X_EN: 1
; COMPUTE_PGM_RSRC2:TGID_Y_EN: 1
; COMPUTE_PGM_RSRC2:TGID_Z_EN: 0
; COMPUTE_PGM_RSRC2:TIDIG_COMP_CNT: 1
	.section	.text._ZN2at6native12_GLOBAL__N_135GammaBetaBackwardCUDAKernelTemplateIN3c104HalfEfLj64ELj16ELj256ELb0ELb0ELb1EEEvllPKT_S7_PKT0_SA_PS5_SB_,"axG",@progbits,_ZN2at6native12_GLOBAL__N_135GammaBetaBackwardCUDAKernelTemplateIN3c104HalfEfLj64ELj16ELj256ELb0ELb0ELb1EEEvllPKT_S7_PKT0_SA_PS5_SB_,comdat
	.globl	_ZN2at6native12_GLOBAL__N_135GammaBetaBackwardCUDAKernelTemplateIN3c104HalfEfLj64ELj16ELj256ELb0ELb0ELb1EEEvllPKT_S7_PKT0_SA_PS5_SB_ ; -- Begin function _ZN2at6native12_GLOBAL__N_135GammaBetaBackwardCUDAKernelTemplateIN3c104HalfEfLj64ELj16ELj256ELb0ELb0ELb1EEEvllPKT_S7_PKT0_SA_PS5_SB_
	.p2align	8
	.type	_ZN2at6native12_GLOBAL__N_135GammaBetaBackwardCUDAKernelTemplateIN3c104HalfEfLj64ELj16ELj256ELb0ELb0ELb1EEEvllPKT_S7_PKT0_SA_PS5_SB_,@function
_ZN2at6native12_GLOBAL__N_135GammaBetaBackwardCUDAKernelTemplateIN3c104HalfEfLj64ELj16ELj256ELb0ELb0ELb1EEEvllPKT_S7_PKT0_SA_PS5_SB_: ; @_ZN2at6native12_GLOBAL__N_135GammaBetaBackwardCUDAKernelTemplateIN3c104HalfEfLj64ELj16ELj256ELb0ELb0ELb1EEEvllPKT_S7_PKT0_SA_PS5_SB_
; %bb.0:
	s_load_b256 s[4:11], s[0:1], 0x0
	s_bfe_u32 s3, ttmp6, 0x4000c
	s_bfe_u32 s12, ttmp6, 0x40010
	s_add_co_i32 s3, s3, 1
	s_add_co_i32 s12, s12, 1
	s_and_b32 s2, ttmp6, 15
	s_bfe_u32 s13, ttmp6, 0x40004
	s_mul_i32 s3, ttmp9, s3
	s_mul_i32 s12, ttmp7, s12
	s_getreg_b32 s14, hwreg(HW_REG_IB_STS2, 6, 4)
	s_add_co_i32 s2, s2, s3
	s_add_co_i32 s13, s13, s12
	s_cmp_eq_u32 s14, 0
	s_mov_b32 s17, 0
	s_cselect_b32 s12, ttmp9, s2
	s_cselect_b32 s2, ttmp7, s13
	s_lshl_b32 s13, s12, 6
	s_load_b64 s[14:15], s[0:1], 0x28
	s_or_b32 s16, s13, 63
	s_wait_kmcnt 0x0
	v_cmp_le_i64_e64 s18, s[6:7], s[16:17]
	s_lshl_b32 s16, s2, 8
	s_delay_alu instid0(SALU_CYCLE_1) | instskip(SKIP_2) | instid1(VALU_DEP_1)
	v_cmp_gt_i64_e64 s3, s[4:5], s[16:17]
	s_and_b32 vcc_lo, exec_lo, s18
	v_cndmask_b32_e64 v1, 0, 1, s3
	v_cmp_ne_u32_e64 s2, 1, v1
	s_cbranch_vccz .LBB174_81
; %bb.1:
	v_mov_b32_e32 v3, 0
	s_and_b32 vcc_lo, exec_lo, s2
	s_cbranch_vccnz .LBB174_82
; %bb.2:
	v_bfe_u32 v104, v0, 10, 10
	v_mov_b32_e32 v2, 0
	v_and_b32_e32 v105, 0x3ff, v0
	s_load_b32 s18, s[0:1], 0x44
	s_mov_b32 s19, 0
	s_delay_alu instid0(VALU_DEP_2) | instskip(NEXT) | instid1(VALU_DEP_2)
	v_dual_mov_b32 v113, v2 :: v_dual_lshlrev_b32 v112, 4, v104
	v_dual_mov_b32 v23, v2 :: v_dual_add_nc_u32 v22, s13, v105
	v_mov_b32_e32 v106, 0
	s_mov_b32 s23, s19
	s_delay_alu instid0(VALU_DEP_3)
	v_add_nc_u64_e32 v[6:7], s[16:17], v[112:113]
	s_add_nc_u64 s[20:21], s[0:1], 64
	v_cmp_gt_i64_e64 s2, s[6:7], v[22:23]
	v_lshlrev_b64_e32 v[36:37], 1, v[22:23]
	s_mov_b64 s[24:25], 0xffffffffffffff01
	s_mov_b64 s[26:27], 0xffffffffffffff02
	;; [unrolled: 1-line block ×3, first 2 shown]
	v_add_nc_u64_e32 v[8:9], 15, v[6:7]
	v_add_nc_u64_e32 v[10:11], 14, v[6:7]
	;; [unrolled: 1-line block ×6, first 2 shown]
	v_mul_u64_e32 v[4:5], s[6:7], v[6:7]
	v_mul_u64_e32 v[8:9], s[6:7], v[8:9]
	;; [unrolled: 1-line block ×4, first 2 shown]
	v_add_nc_u64_e32 v[14:15], 12, v[6:7]
	v_add_nc_u64_e32 v[16:17], 11, v[6:7]
	;; [unrolled: 1-line block ×5, first 2 shown]
	v_mul_u64_e32 v[24:25], s[6:7], v[24:25]
	v_add_nc_u64_e32 v[32:33], 4, v[6:7]
	v_mul_u64_e32 v[26:27], s[6:7], v[26:27]
	v_add_nc_u64_e32 v[34:35], 3, v[6:7]
	v_add_nc_u64_e32 v[6:7], 2, v[6:7]
	v_mul_u64_e32 v[28:29], s[6:7], v[28:29]
	v_mul_u64_e32 v[14:15], s[6:7], v[14:15]
	;; [unrolled: 1-line block ×9, first 2 shown]
	s_wait_kmcnt 0x0
	s_lshl_b32 s22, s18, 8
	s_mov_b64 s[30:31], 0xffffffffffffff04
	s_mul_u64 s[58:59], s[6:7], s[22:23]
	s_mov_b64 s[34:35], 0xffffffffffffff05
	s_mov_b64 s[36:37], 0xffffffffffffff06
	;; [unrolled: 1-line block ×6, first 2 shown]
	v_lshlrev_b64_e32 v[40:41], 1, v[4:5]
	v_lshlrev_b64_e32 v[8:9], 1, v[8:9]
	;; [unrolled: 1-line block ×4, first 2 shown]
	v_add_nc_u64_e32 v[4:5], s[6:7], v[4:5]
	s_mov_b64 s[46:47], 0xffffffffffffff0b
	s_mov_b64 s[48:49], 0xffffffffffffff0c
	v_add_nc_u64_e32 v[38:39], s[8:9], v[40:41]
	v_add_nc_u64_e32 v[42:43], s[8:9], v[8:9]
	;; [unrolled: 1-line block ×7, first 2 shown]
	v_lshlrev_b64_e32 v[8:9], 1, v[24:25]
	v_lshlrev_b64_e32 v[10:11], 1, v[26:27]
	;; [unrolled: 1-line block ×7, first 2 shown]
	v_add_nc_u64_e32 v[70:71], s[8:9], v[8:9]
	v_add_nc_u64_e32 v[72:73], s[10:11], v[8:9]
	;; [unrolled: 1-line block ×3, first 2 shown]
	v_lshlrev_b64_e32 v[8:9], 1, v[22:23]
	v_add_nc_u64_e32 v[76:77], s[10:11], v[10:11]
	v_add_nc_u64_e32 v[78:79], s[8:9], v[12:13]
	v_lshlrev_b64_e32 v[10:11], 1, v[30:31]
	v_add_nc_u64_e32 v[80:81], s[10:11], v[12:13]
	v_lshlrev_b64_e32 v[12:13], 1, v[32:33]
	v_lshlrev_b64_e32 v[6:7], 1, v[6:7]
	;; [unrolled: 1-line block ×3, first 2 shown]
	v_add_nc_u64_e32 v[40:41], s[10:11], v[40:41]
	v_add_nc_u64_e32 v[54:55], s[8:9], v[14:15]
	;; [unrolled: 1-line block ×19, first 2 shown]
	s_mov_b64 s[50:51], 0xffffffffffffff0d
	s_mov_b64 s[52:53], 0xffffffffffffff0e
	;; [unrolled: 1-line block ×4, first 2 shown]
	s_lshl_b64 s[58:59], s[58:59], 1
	s_add_nc_u64 s[60:61], s[16:17], 0xff
	s_mov_b64 s[62:63], s[16:17]
.LBB174_3:                              ; =>This Inner Loop Header: Depth=1
	v_cmp_ge_i64_e64 s18, s[60:61], s[4:5]
	v_add_nc_u64_e32 v[102:103], s[60:61], v[112:113]
                                        ; implicit-def: $vgpr4_vgpr5_vgpr6_vgpr7_vgpr8_vgpr9_vgpr10_vgpr11_vgpr12_vgpr13_vgpr14_vgpr15_vgpr16_vgpr17_vgpr18_vgpr19
                                        ; implicit-def: $vgpr3
                                        ; implicit-def: $vgpr20_vgpr21_vgpr22_vgpr23_vgpr24_vgpr25_vgpr26_vgpr27_vgpr28_vgpr29_vgpr30_vgpr31_vgpr32_vgpr33_vgpr34_vgpr35
                                        ; implicit-def: $vgpr4
	s_and_b32 vcc_lo, exec_lo, s18
	s_mov_b32 s18, -1
	s_cbranch_vccz .LBB174_41
; %bb.4:                                ;   in Loop: Header=BB174_3 Depth=1
	s_load_b32 s18, s[20:21], 0xc
	v_mov_b32_e32 v107, 0
	s_wait_kmcnt 0x0
	s_and_b32 s18, s18, 0xffff
	s_delay_alu instid0(SALU_CYCLE_1) | instskip(SKIP_1) | instid1(VALU_DEP_1)
	v_mad_u32_u24 v3, v104, s18, v105
	s_mov_b32 s18, exec_lo
	v_and_b32_e32 v4, 31, v3
	s_delay_alu instid0(VALU_DEP_1)
	v_cmpx_gt_u32_e32 16, v4
	s_cbranch_execz .LBB174_8
; %bb.5:                                ;   in Loop: Header=BB174_3 Depth=1
	v_dual_mov_b32 v5, v2 :: v_dual_mov_b32 v107, 0
	s_mov_b32 s33, exec_lo
	s_delay_alu instid0(VALU_DEP_1) | instskip(NEXT) | instid1(VALU_DEP_1)
	v_add_nc_u64_e32 v[4:5], v[102:103], v[4:5]
	v_add_nc_u64_e32 v[4:5], s[24:25], v[4:5]
	s_delay_alu instid0(VALU_DEP_1)
	v_cmpx_gt_i64_e64 s[4:5], v[4:5]
	s_cbranch_execz .LBB174_7
; %bb.6:                                ;   in Loop: Header=BB174_3 Depth=1
	v_lshl_add_u64 v[4:5], v[4:5], 2, s[14:15]
	global_load_b32 v107, v[4:5], off
.LBB174_7:                              ;   in Loop: Header=BB174_3 Depth=1
	s_wait_xcnt 0x0
	s_or_b32 exec_lo, exec_lo, s33
.LBB174_8:                              ;   in Loop: Header=BB174_3 Depth=1
	s_delay_alu instid0(SALU_CYCLE_1)
	s_or_b32 exec_lo, exec_lo, s18
	v_add_nc_u64_e32 v[18:19], s[24:25], v[102:103]
	v_dual_mov_b32 v15, v2 :: v_dual_mov_b32 v16, v2
	v_dual_mov_b32 v17, v2 :: v_dual_mov_b32 v3, v2
	v_dual_mov_b32 v4, v2 :: v_dual_mov_b32 v5, v2
	v_dual_mov_b32 v6, v2 :: v_dual_mov_b32 v7, v2
	v_dual_mov_b32 v8, v2 :: v_dual_mov_b32 v9, v2
	v_dual_mov_b32 v10, v2 :: v_dual_mov_b32 v11, v2
	v_dual_mov_b32 v12, v2 :: v_dual_mov_b32 v13, v2
	v_mov_b32_e32 v14, v2
	v_cmp_gt_i64_e32 vcc_lo, s[4:5], v[18:19]
	v_mov_b64_e32 v[34:35], v[16:17]
	v_mov_b64_e32 v[28:29], v[10:11]
	;; [unrolled: 1-line block ×16, first 2 shown]
	s_and_b32 s33, s2, vcc_lo
	s_delay_alu instid0(SALU_CYCLE_1)
	s_and_saveexec_b32 s18, s33
	s_cbranch_execz .LBB174_10
; %bb.9:                                ;   in Loop: Header=BB174_3 Depth=1
	v_add_nc_u64_e32 v[4:5], v[38:39], v[36:37]
	v_add_nc_u64_e32 v[6:7], v[40:41], v[36:37]
	v_dual_mov_b32 v9, v2 :: v_dual_mov_b32 v10, v2
	v_dual_mov_b32 v11, v2 :: v_dual_mov_b32 v12, v2
	;; [unrolled: 1-line block ×3, first 2 shown]
	global_load_u16 v3, v[4:5], off
	global_load_u16 v20, v[6:7], off
	s_wait_xcnt 0x0
	v_dual_mov_b32 v5, v2 :: v_dual_mov_b32 v6, v2
	v_dual_mov_b32 v7, v2 :: v_dual_mov_b32 v8, v2
	;; [unrolled: 1-line block ×12, first 2 shown]
	s_wait_loadcnt 0x1
	v_cvt_f32_f16_e32 v4, v3
	s_wait_loadcnt 0x0
	v_cvt_f32_f16_e32 v20, v20
.LBB174_10:                             ;   in Loop: Header=BB174_3 Depth=1
	s_or_b32 exec_lo, exec_lo, s18
	v_add_nc_u64_e32 v[108:109], s[26:27], v[102:103]
	s_delay_alu instid0(VALU_DEP_1) | instskip(SKIP_1) | instid1(SALU_CYCLE_1)
	v_cmp_gt_i64_e32 vcc_lo, s[4:5], v[108:109]
	s_and_b32 s33, s2, vcc_lo
	s_and_saveexec_b32 s18, s33
	s_cbranch_execz .LBB174_12
; %bb.11:                               ;   in Loop: Header=BB174_3 Depth=1
	v_add_nc_u64_e32 v[108:109], v[98:99], v[36:37]
	v_add_nc_u64_e32 v[110:111], v[100:101], v[36:37]
	global_load_u16 v3, v[108:109], off
	global_load_u16 v21, v[110:111], off
	s_wait_loadcnt 0x1
	v_cvt_f32_f16_e32 v5, v3
	s_wait_loadcnt 0x0
	v_cvt_f32_f16_e32 v21, v21
.LBB174_12:                             ;   in Loop: Header=BB174_3 Depth=1
	s_or_b32 exec_lo, exec_lo, s18
	v_add_nc_u64_e32 v[108:109], s[28:29], v[102:103]
	s_delay_alu instid0(VALU_DEP_1) | instskip(SKIP_1) | instid1(SALU_CYCLE_1)
	v_cmp_gt_i64_e32 vcc_lo, s[4:5], v[108:109]
	s_and_b32 s33, s2, vcc_lo
	s_and_saveexec_b32 s18, s33
	s_cbranch_execz .LBB174_14
; %bb.13:                               ;   in Loop: Header=BB174_3 Depth=1
	v_add_nc_u64_e32 v[108:109], v[94:95], v[36:37]
	v_add_nc_u64_e32 v[110:111], v[96:97], v[36:37]
	global_load_u16 v3, v[108:109], off
	global_load_u16 v22, v[110:111], off
	s_wait_loadcnt 0x1
	v_cvt_f32_f16_e32 v6, v3
	s_wait_loadcnt 0x0
	v_cvt_f32_f16_e32 v22, v22
.LBB174_14:                             ;   in Loop: Header=BB174_3 Depth=1
	;; [unrolled: 17-line block ×15, first 2 shown]
	s_or_b32 exec_lo, exec_lo, s18
	s_wait_loadcnt 0x0
	ds_bpermute_b32 v3, v2, v107
	ds_bpermute_b32 v110, v2, v107 offset:4
	ds_bpermute_b32 v108, v2, v107 offset:12
	;; [unrolled: 1-line block ×4, first 2 shown]
	v_dual_mul_f32 v20, v20, v4 :: v_dual_mul_f32 v21, v21, v5
	v_pk_mul_f32 v[4:5], v[24:25], v[8:9]
	ds_bpermute_b32 v8, v2, v107 offset:20
	ds_bpermute_b32 v9, v2, v107 offset:24
	v_pk_mul_f32 v[10:11], v[26:27], v[10:11]
	v_pk_mul_f32 v[12:13], v[28:29], v[12:13]
	s_mov_b32 s18, 0
	v_dual_mul_f32 v22, v22, v6 :: v_dual_mul_f32 v6, v23, v7
	v_mov_b32_e32 v7, v4
	ds_bpermute_b32 v23, v2, v107 offset:40
	s_wait_dscnt 0x7
	v_fma_f32 v3, v20, v3, v106
	ds_bpermute_b32 v20, v2, v107 offset:28
	s_wait_dscnt 0x5
	v_pk_mul_f32 v[6:7], v[6:7], v[108:109]
	v_mov_b32_e32 v4, v5
	v_dual_fmac_f32 v3, v21, v110 :: v_dual_mov_b32 v5, v10
	ds_bpermute_b32 v21, v2, v107 offset:32
	ds_bpermute_b32 v10, v2, v107 offset:44
	s_wait_dscnt 0x6
	v_fmac_f32_e32 v3, v22, v111
	ds_bpermute_b32 v22, v2, v107 offset:36
	v_add_f32_e32 v3, v3, v6
	s_wait_dscnt 0x5
	v_pk_mul_f32 v[4:5], v[4:5], v[8:9]
	v_mov_b32_e32 v6, v11
	v_pk_mul_f32 v[8:9], v[30:31], v[14:15]
	ds_bpermute_b32 v11, v2, v107 offset:48
	v_dual_add_f32 v3, v3, v7 :: v_dual_mov_b32 v7, v12
	s_delay_alu instid0(VALU_DEP_1) | instskip(SKIP_1) | instid1(VALU_DEP_2)
	v_dual_add_f32 v3, v3, v4 :: v_dual_mov_b32 v4, v13
	s_wait_dscnt 0x3
	v_pk_mul_f32 v[6:7], v[6:7], v[20:21]
	v_pk_mul_f32 v[12:13], v[32:33], v[16:17]
	s_delay_alu instid0(VALU_DEP_3) | instskip(NEXT) | instid1(VALU_DEP_2)
	v_dual_add_f32 v3, v3, v5 :: v_dual_mov_b32 v5, v8
	v_dual_mov_b32 v8, v9 :: v_dual_mov_b32 v9, v12
	s_delay_alu instid0(VALU_DEP_2)
	v_add_f32_e32 v3, v3, v6
	ds_bpermute_b32 v6, v2, v107 offset:52
	s_wait_dscnt 0x2
	v_pk_mul_f32 v[4:5], v[4:5], v[22:23]
	s_wait_dscnt 0x1
	v_pk_mul_f32 v[8:9], v[8:9], v[10:11]
	v_add_f32_e32 v3, v3, v7
	ds_bpermute_b32 v7, v2, v107 offset:56
	v_dual_mul_f32 v11, v34, v18 :: v_dual_mov_b32 v10, v13
	v_add_f32_e32 v3, v3, v4
	ds_bpermute_b32 v4, v2, v107 offset:60
	v_add_f32_e32 v3, v3, v5
	s_delay_alu instid0(VALU_DEP_1) | instskip(NEXT) | instid1(VALU_DEP_1)
	v_add_f32_e32 v3, v3, v8
	v_add_f32_e32 v3, v3, v9
	s_wait_dscnt 0x1
	v_pk_mul_f32 v[6:7], v[10:11], v[6:7]
	s_delay_alu instid0(VALU_DEP_1) | instskip(NEXT) | instid1(VALU_DEP_1)
	v_add_f32_e32 v3, v3, v6
	v_add_f32_e32 v3, v3, v7
.LBB174_41:                             ;   in Loop: Header=BB174_3 Depth=1
	s_and_b32 vcc_lo, exec_lo, s18
	s_cbranch_vccz .LBB174_64
; %bb.42:                               ;   in Loop: Header=BB174_3 Depth=1
	s_load_b32 s18, s[20:21], 0x0
	v_mov_b32_e32 v107, 0
	s_wait_kmcnt 0x0
	s_cmp_lt_u32 s12, s18
	s_cselect_b32 s18, 12, 18
	s_delay_alu instid0(SALU_CYCLE_1)
	s_add_nc_u64 s[64:65], s[20:21], s[18:19]
	s_load_u16 s18, s[64:65], 0x0
	s_wait_kmcnt 0x0
	v_mad_u32_u24 v3, v104, s18, v105
	s_mov_b32 s18, exec_lo
	s_wait_dscnt 0x0
	s_delay_alu instid0(VALU_DEP_1) | instskip(NEXT) | instid1(VALU_DEP_1)
	v_and_b32_e32 v4, 31, v3
	v_cmpx_gt_u32_e32 16, v4
	s_cbranch_execz .LBB174_46
; %bb.43:                               ;   in Loop: Header=BB174_3 Depth=1
	v_dual_mov_b32 v5, v2 :: v_dual_mov_b32 v107, 0
	s_mov_b32 s33, exec_lo
	s_delay_alu instid0(VALU_DEP_1) | instskip(NEXT) | instid1(VALU_DEP_1)
	v_add_nc_u64_e32 v[4:5], v[102:103], v[4:5]
	v_add_nc_u64_e32 v[4:5], s[24:25], v[4:5]
	s_delay_alu instid0(VALU_DEP_1)
	v_cmpx_gt_i64_e64 s[4:5], v[4:5]
	s_cbranch_execz .LBB174_45
; %bb.44:                               ;   in Loop: Header=BB174_3 Depth=1
	v_lshl_add_u64 v[4:5], v[4:5], 2, s[14:15]
	global_load_b32 v107, v[4:5], off
.LBB174_45:                             ;   in Loop: Header=BB174_3 Depth=1
	s_wait_xcnt 0x0
	s_or_b32 exec_lo, exec_lo, s33
.LBB174_46:                             ;   in Loop: Header=BB174_3 Depth=1
	s_delay_alu instid0(SALU_CYCLE_1)
	s_or_b32 exec_lo, exec_lo, s18
	v_dual_mov_b32 v15, v2 :: v_dual_mov_b32 v16, v2
	v_dual_mov_b32 v17, v2 :: v_dual_mov_b32 v3, v2
	;; [unrolled: 1-line block ×7, first 2 shown]
	v_mov_b32_e32 v14, v2
	v_mov_b64_e32 v[34:35], v[16:17]
	s_delay_alu instid0(VALU_DEP_4)
	v_mov_b64_e32 v[28:29], v[10:11]
	v_mov_b64_e32 v[26:27], v[8:9]
	;; [unrolled: 1-line block ×15, first 2 shown]
	s_and_saveexec_b32 s18, s2
	s_cbranch_execnz .LBB174_66
; %bb.47:                               ;   in Loop: Header=BB174_3 Depth=1
	s_or_b32 exec_lo, exec_lo, s18
	s_and_saveexec_b32 s18, s2
	s_cbranch_execnz .LBB174_67
.LBB174_48:                             ;   in Loop: Header=BB174_3 Depth=1
	s_or_b32 exec_lo, exec_lo, s18
	s_and_saveexec_b32 s18, s2
	s_cbranch_execnz .LBB174_68
.LBB174_49:                             ;   in Loop: Header=BB174_3 Depth=1
	s_or_b32 exec_lo, exec_lo, s18
	s_and_saveexec_b32 s18, s2
	s_cbranch_execnz .LBB174_69
.LBB174_50:                             ;   in Loop: Header=BB174_3 Depth=1
	s_or_b32 exec_lo, exec_lo, s18
	s_and_saveexec_b32 s18, s2
	s_cbranch_execnz .LBB174_70
.LBB174_51:                             ;   in Loop: Header=BB174_3 Depth=1
	s_or_b32 exec_lo, exec_lo, s18
	s_and_saveexec_b32 s18, s2
	s_cbranch_execnz .LBB174_71
.LBB174_52:                             ;   in Loop: Header=BB174_3 Depth=1
	s_or_b32 exec_lo, exec_lo, s18
	s_and_saveexec_b32 s18, s2
	s_cbranch_execnz .LBB174_72
.LBB174_53:                             ;   in Loop: Header=BB174_3 Depth=1
	s_or_b32 exec_lo, exec_lo, s18
	s_and_saveexec_b32 s18, s2
	s_cbranch_execnz .LBB174_73
.LBB174_54:                             ;   in Loop: Header=BB174_3 Depth=1
	s_or_b32 exec_lo, exec_lo, s18
	s_and_saveexec_b32 s18, s2
	s_cbranch_execnz .LBB174_74
.LBB174_55:                             ;   in Loop: Header=BB174_3 Depth=1
	s_or_b32 exec_lo, exec_lo, s18
	s_and_saveexec_b32 s18, s2
	s_cbranch_execnz .LBB174_75
.LBB174_56:                             ;   in Loop: Header=BB174_3 Depth=1
	s_or_b32 exec_lo, exec_lo, s18
	s_and_saveexec_b32 s18, s2
	s_cbranch_execnz .LBB174_76
.LBB174_57:                             ;   in Loop: Header=BB174_3 Depth=1
	s_or_b32 exec_lo, exec_lo, s18
	s_and_saveexec_b32 s18, s2
	s_cbranch_execnz .LBB174_77
.LBB174_58:                             ;   in Loop: Header=BB174_3 Depth=1
	s_or_b32 exec_lo, exec_lo, s18
	s_and_saveexec_b32 s18, s2
	s_cbranch_execnz .LBB174_78
.LBB174_59:                             ;   in Loop: Header=BB174_3 Depth=1
	s_or_b32 exec_lo, exec_lo, s18
	s_and_saveexec_b32 s18, s2
	s_cbranch_execnz .LBB174_79
.LBB174_60:                             ;   in Loop: Header=BB174_3 Depth=1
	s_or_b32 exec_lo, exec_lo, s18
	s_and_saveexec_b32 s18, s2
	s_cbranch_execnz .LBB174_80
.LBB174_61:                             ;   in Loop: Header=BB174_3 Depth=1
	s_or_b32 exec_lo, exec_lo, s18
	s_and_saveexec_b32 s18, s2
	s_cbranch_execz .LBB174_63
.LBB174_62:                             ;   in Loop: Header=BB174_3 Depth=1
	v_add_nc_u64_e32 v[102:103], v[42:43], v[36:37]
	v_add_nc_u64_e32 v[108:109], v[44:45], v[36:37]
	global_load_u16 v3, v[102:103], off
	global_load_u16 v35, v[108:109], off
	s_wait_loadcnt 0x1
	v_cvt_f32_f16_e32 v19, v3
	s_wait_loadcnt 0x0
	v_cvt_f32_f16_e32 v35, v35
.LBB174_63:                             ;   in Loop: Header=BB174_3 Depth=1
	s_or_b32 exec_lo, exec_lo, s18
	s_wait_loadcnt 0x0
	ds_bpermute_b32 v3, v2, v107
	ds_bpermute_b32 v108, v2, v107 offset:4
	ds_bpermute_b32 v102, v2, v107 offset:12
	;; [unrolled: 1-line block ×4, first 2 shown]
	v_dual_mul_f32 v20, v20, v4 :: v_dual_mul_f32 v21, v21, v5
	v_pk_mul_f32 v[4:5], v[24:25], v[8:9]
	ds_bpermute_b32 v8, v2, v107 offset:20
	ds_bpermute_b32 v9, v2, v107 offset:24
	v_pk_mul_f32 v[10:11], v[26:27], v[10:11]
	v_pk_mul_f32 v[12:13], v[28:29], v[12:13]
	s_wait_dscnt 0x6
	v_dual_fmac_f32 v106, v20, v3 :: v_dual_mul_f32 v3, v22, v6
	v_dual_mul_f32 v6, v23, v7 :: v_dual_mov_b32 v7, v4
	ds_bpermute_b32 v20, v2, v107 offset:28
	s_wait_dscnt 0x6
	v_fmac_f32_e32 v106, v21, v108
	ds_bpermute_b32 v21, v2, v107 offset:32
	ds_bpermute_b32 v22, v2, v107 offset:36
	s_wait_dscnt 0x6
	v_pk_mul_f32 v[6:7], v[6:7], v[102:103]
	v_dual_mov_b32 v4, v5 :: v_dual_mov_b32 v5, v10
	s_wait_dscnt 0x5
	v_fmac_f32_e32 v106, v3, v109
	ds_bpermute_b32 v23, v2, v107 offset:40
	ds_bpermute_b32 v10, v2, v107 offset:44
	v_add_f32_e32 v3, v106, v6
	s_wait_dscnt 0x5
	v_pk_mul_f32 v[4:5], v[4:5], v[8:9]
	v_mov_b32_e32 v6, v11
	v_pk_mul_f32 v[8:9], v[30:31], v[14:15]
	ds_bpermute_b32 v11, v2, v107 offset:48
	v_dual_add_f32 v3, v3, v7 :: v_dual_mov_b32 v7, v12
	s_delay_alu instid0(VALU_DEP_1) | instskip(SKIP_1) | instid1(VALU_DEP_2)
	v_dual_add_f32 v3, v3, v4 :: v_dual_mov_b32 v4, v13
	s_wait_dscnt 0x4
	v_pk_mul_f32 v[6:7], v[6:7], v[20:21]
	v_pk_mul_f32 v[12:13], v[32:33], v[16:17]
	s_delay_alu instid0(VALU_DEP_3) | instskip(NEXT) | instid1(VALU_DEP_2)
	v_dual_add_f32 v3, v3, v5 :: v_dual_mov_b32 v5, v8
	v_dual_mov_b32 v8, v9 :: v_dual_mov_b32 v9, v12
	s_delay_alu instid0(VALU_DEP_2)
	v_add_f32_e32 v3, v3, v6
	ds_bpermute_b32 v6, v2, v107 offset:52
	s_wait_dscnt 0x3
	v_pk_mul_f32 v[4:5], v[4:5], v[22:23]
	s_wait_dscnt 0x1
	v_pk_mul_f32 v[8:9], v[8:9], v[10:11]
	v_add_f32_e32 v3, v3, v7
	ds_bpermute_b32 v7, v2, v107 offset:56
	v_dual_mul_f32 v11, v34, v18 :: v_dual_mov_b32 v10, v13
	v_add_f32_e32 v3, v3, v4
	ds_bpermute_b32 v4, v2, v107 offset:60
	v_add_f32_e32 v3, v3, v5
	s_delay_alu instid0(VALU_DEP_1) | instskip(NEXT) | instid1(VALU_DEP_1)
	v_add_f32_e32 v3, v3, v8
	v_add_f32_e32 v3, v3, v9
	s_wait_dscnt 0x1
	v_pk_mul_f32 v[6:7], v[10:11], v[6:7]
	s_delay_alu instid0(VALU_DEP_1) | instskip(NEXT) | instid1(VALU_DEP_1)
	v_add_f32_e32 v3, v3, v6
	v_add_f32_e32 v3, v3, v7
.LBB174_64:                             ;   in Loop: Header=BB174_3 Depth=1
	s_add_nc_u64 s[62:63], s[62:63], s[22:23]
	v_mul_f32_e32 v5, v19, v35
	v_cmp_lt_i64_e64 s18, s[62:63], s[4:5]
	v_add_nc_u64_e32 v[38:39], s[58:59], v[38:39]
	v_add_nc_u64_e32 v[40:41], s[58:59], v[40:41]
	;; [unrolled: 1-line block ×32, first 2 shown]
	s_wait_dscnt 0x0
	v_fmac_f32_e32 v3, v5, v4
	s_and_b32 vcc_lo, exec_lo, s18
	s_add_nc_u64 s[60:61], s[60:61], s[22:23]
	s_cbranch_vccz .LBB174_82
; %bb.65:                               ;   in Loop: Header=BB174_3 Depth=1
	s_delay_alu instid0(VALU_DEP_1)
	v_mov_b32_e32 v106, v3
	s_branch .LBB174_3
.LBB174_66:                             ;   in Loop: Header=BB174_3 Depth=1
	v_add_nc_u64_e32 v[4:5], v[38:39], v[36:37]
	v_add_nc_u64_e32 v[6:7], v[40:41], v[36:37]
	v_dual_mov_b32 v9, v2 :: v_dual_mov_b32 v10, v2
	v_dual_mov_b32 v11, v2 :: v_dual_mov_b32 v12, v2
	;; [unrolled: 1-line block ×3, first 2 shown]
	global_load_u16 v3, v[4:5], off
	global_load_u16 v20, v[6:7], off
	s_wait_xcnt 0x0
	v_dual_mov_b32 v5, v2 :: v_dual_mov_b32 v6, v2
	v_dual_mov_b32 v7, v2 :: v_dual_mov_b32 v8, v2
	;; [unrolled: 1-line block ×12, first 2 shown]
	s_wait_loadcnt 0x1
	v_cvt_f32_f16_e32 v4, v3
	s_wait_loadcnt 0x0
	v_cvt_f32_f16_e32 v20, v20
	s_or_b32 exec_lo, exec_lo, s18
	s_and_saveexec_b32 s18, s2
	s_cbranch_execz .LBB174_48
.LBB174_67:                             ;   in Loop: Header=BB174_3 Depth=1
	v_add_nc_u64_e32 v[102:103], v[98:99], v[36:37]
	v_add_nc_u64_e32 v[108:109], v[100:101], v[36:37]
	global_load_u16 v3, v[102:103], off
	global_load_u16 v21, v[108:109], off
	s_wait_loadcnt 0x1
	v_cvt_f32_f16_e32 v5, v3
	s_wait_loadcnt 0x0
	v_cvt_f32_f16_e32 v21, v21
	s_or_b32 exec_lo, exec_lo, s18
	s_and_saveexec_b32 s18, s2
	s_cbranch_execz .LBB174_49
.LBB174_68:                             ;   in Loop: Header=BB174_3 Depth=1
	v_add_nc_u64_e32 v[102:103], v[94:95], v[36:37]
	v_add_nc_u64_e32 v[108:109], v[96:97], v[36:37]
	global_load_u16 v3, v[102:103], off
	global_load_u16 v22, v[108:109], off
	s_wait_loadcnt 0x1
	v_cvt_f32_f16_e32 v6, v3
	s_wait_loadcnt 0x0
	v_cvt_f32_f16_e32 v22, v22
	s_or_b32 exec_lo, exec_lo, s18
	s_and_saveexec_b32 s18, s2
	s_cbranch_execz .LBB174_50
.LBB174_69:                             ;   in Loop: Header=BB174_3 Depth=1
	v_add_nc_u64_e32 v[102:103], v[90:91], v[36:37]
	v_add_nc_u64_e32 v[108:109], v[92:93], v[36:37]
	global_load_u16 v3, v[102:103], off
	global_load_u16 v23, v[108:109], off
	s_wait_loadcnt 0x1
	v_cvt_f32_f16_e32 v7, v3
	s_wait_loadcnt 0x0
	v_cvt_f32_f16_e32 v23, v23
	s_or_b32 exec_lo, exec_lo, s18
	s_and_saveexec_b32 s18, s2
	s_cbranch_execz .LBB174_51
.LBB174_70:                             ;   in Loop: Header=BB174_3 Depth=1
	v_add_nc_u64_e32 v[102:103], v[86:87], v[36:37]
	v_add_nc_u64_e32 v[108:109], v[88:89], v[36:37]
	global_load_u16 v3, v[102:103], off
	global_load_u16 v24, v[108:109], off
	s_wait_loadcnt 0x1
	v_cvt_f32_f16_e32 v8, v3
	s_wait_loadcnt 0x0
	v_cvt_f32_f16_e32 v24, v24
	s_or_b32 exec_lo, exec_lo, s18
	s_and_saveexec_b32 s18, s2
	s_cbranch_execz .LBB174_52
.LBB174_71:                             ;   in Loop: Header=BB174_3 Depth=1
	v_add_nc_u64_e32 v[102:103], v[82:83], v[36:37]
	v_add_nc_u64_e32 v[108:109], v[84:85], v[36:37]
	global_load_u16 v3, v[102:103], off
	global_load_u16 v25, v[108:109], off
	s_wait_loadcnt 0x1
	v_cvt_f32_f16_e32 v9, v3
	s_wait_loadcnt 0x0
	v_cvt_f32_f16_e32 v25, v25
	s_or_b32 exec_lo, exec_lo, s18
	s_and_saveexec_b32 s18, s2
	s_cbranch_execz .LBB174_53
.LBB174_72:                             ;   in Loop: Header=BB174_3 Depth=1
	v_add_nc_u64_e32 v[102:103], v[78:79], v[36:37]
	v_add_nc_u64_e32 v[108:109], v[80:81], v[36:37]
	global_load_u16 v3, v[102:103], off
	global_load_u16 v26, v[108:109], off
	s_wait_loadcnt 0x1
	v_cvt_f32_f16_e32 v10, v3
	s_wait_loadcnt 0x0
	v_cvt_f32_f16_e32 v26, v26
	s_or_b32 exec_lo, exec_lo, s18
	s_and_saveexec_b32 s18, s2
	s_cbranch_execz .LBB174_54
.LBB174_73:                             ;   in Loop: Header=BB174_3 Depth=1
	v_add_nc_u64_e32 v[102:103], v[74:75], v[36:37]
	v_add_nc_u64_e32 v[108:109], v[76:77], v[36:37]
	global_load_u16 v3, v[102:103], off
	global_load_u16 v27, v[108:109], off
	s_wait_loadcnt 0x1
	v_cvt_f32_f16_e32 v11, v3
	s_wait_loadcnt 0x0
	v_cvt_f32_f16_e32 v27, v27
	s_or_b32 exec_lo, exec_lo, s18
	s_and_saveexec_b32 s18, s2
	s_cbranch_execz .LBB174_55
.LBB174_74:                             ;   in Loop: Header=BB174_3 Depth=1
	v_add_nc_u64_e32 v[102:103], v[70:71], v[36:37]
	v_add_nc_u64_e32 v[108:109], v[72:73], v[36:37]
	global_load_u16 v3, v[102:103], off
	global_load_u16 v28, v[108:109], off
	s_wait_loadcnt 0x1
	v_cvt_f32_f16_e32 v12, v3
	s_wait_loadcnt 0x0
	v_cvt_f32_f16_e32 v28, v28
	s_or_b32 exec_lo, exec_lo, s18
	s_and_saveexec_b32 s18, s2
	s_cbranch_execz .LBB174_56
.LBB174_75:                             ;   in Loop: Header=BB174_3 Depth=1
	v_add_nc_u64_e32 v[102:103], v[66:67], v[36:37]
	v_add_nc_u64_e32 v[108:109], v[68:69], v[36:37]
	global_load_u16 v3, v[102:103], off
	global_load_u16 v29, v[108:109], off
	s_wait_loadcnt 0x1
	v_cvt_f32_f16_e32 v13, v3
	s_wait_loadcnt 0x0
	v_cvt_f32_f16_e32 v29, v29
	s_or_b32 exec_lo, exec_lo, s18
	s_and_saveexec_b32 s18, s2
	s_cbranch_execz .LBB174_57
.LBB174_76:                             ;   in Loop: Header=BB174_3 Depth=1
	v_add_nc_u64_e32 v[102:103], v[62:63], v[36:37]
	v_add_nc_u64_e32 v[108:109], v[64:65], v[36:37]
	global_load_u16 v3, v[102:103], off
	global_load_u16 v30, v[108:109], off
	s_wait_loadcnt 0x1
	v_cvt_f32_f16_e32 v14, v3
	s_wait_loadcnt 0x0
	v_cvt_f32_f16_e32 v30, v30
	s_or_b32 exec_lo, exec_lo, s18
	s_and_saveexec_b32 s18, s2
	s_cbranch_execz .LBB174_58
.LBB174_77:                             ;   in Loop: Header=BB174_3 Depth=1
	v_add_nc_u64_e32 v[102:103], v[58:59], v[36:37]
	v_add_nc_u64_e32 v[108:109], v[60:61], v[36:37]
	global_load_u16 v3, v[102:103], off
	global_load_u16 v31, v[108:109], off
	s_wait_loadcnt 0x1
	v_cvt_f32_f16_e32 v15, v3
	s_wait_loadcnt 0x0
	v_cvt_f32_f16_e32 v31, v31
	s_or_b32 exec_lo, exec_lo, s18
	s_and_saveexec_b32 s18, s2
	s_cbranch_execz .LBB174_59
.LBB174_78:                             ;   in Loop: Header=BB174_3 Depth=1
	v_add_nc_u64_e32 v[102:103], v[54:55], v[36:37]
	v_add_nc_u64_e32 v[108:109], v[56:57], v[36:37]
	global_load_u16 v3, v[102:103], off
	global_load_u16 v32, v[108:109], off
	s_wait_loadcnt 0x1
	v_cvt_f32_f16_e32 v16, v3
	s_wait_loadcnt 0x0
	v_cvt_f32_f16_e32 v32, v32
	s_or_b32 exec_lo, exec_lo, s18
	s_and_saveexec_b32 s18, s2
	s_cbranch_execz .LBB174_60
.LBB174_79:                             ;   in Loop: Header=BB174_3 Depth=1
	v_add_nc_u64_e32 v[102:103], v[50:51], v[36:37]
	v_add_nc_u64_e32 v[108:109], v[52:53], v[36:37]
	global_load_u16 v3, v[102:103], off
	global_load_u16 v33, v[108:109], off
	s_wait_loadcnt 0x1
	v_cvt_f32_f16_e32 v17, v3
	s_wait_loadcnt 0x0
	v_cvt_f32_f16_e32 v33, v33
	s_or_b32 exec_lo, exec_lo, s18
	s_and_saveexec_b32 s18, s2
	s_cbranch_execz .LBB174_61
.LBB174_80:                             ;   in Loop: Header=BB174_3 Depth=1
	v_add_nc_u64_e32 v[102:103], v[46:47], v[36:37]
	v_add_nc_u64_e32 v[108:109], v[48:49], v[36:37]
	global_load_u16 v3, v[102:103], off
	global_load_u16 v34, v[108:109], off
	s_wait_loadcnt 0x1
	v_cvt_f32_f16_e32 v18, v3
	s_wait_loadcnt 0x0
	v_cvt_f32_f16_e32 v34, v34
	s_or_b32 exec_lo, exec_lo, s18
	s_and_saveexec_b32 s18, s2
	s_cbranch_execnz .LBB174_62
	s_branch .LBB174_63
.LBB174_81:
                                        ; implicit-def: $vgpr3
	s_branch .LBB174_83
.LBB174_82:
	s_cbranch_execnz .LBB174_132
.LBB174_83:
	v_mov_b32_e32 v3, 0
	s_and_not1_b32 vcc_lo, exec_lo, s3
	s_cbranch_vccnz .LBB174_132
; %bb.84:
	v_bfe_u32 v1, v0, 10, 10
	v_mov_b32_e32 v2, 0
	scratch_store_b32 off, v0, off offset:168 ; 4-byte Folded Spill
	s_wait_xcnt 0x0
	v_and_b32_e32 v0, 0x3ff, v0
	s_load_b32 s2, s[0:1], 0x44
	v_dual_mov_b32 v5, v2 :: v_dual_lshlrev_b32 v4, 5, v1
	s_mov_b32 s3, 0
	s_add_nc_u64 s[20:21], s[0:1], 64
	s_mov_b32 s19, s3
	s_mov_b64 s[24:25], 0xffffffffffffff03
	v_lshl_add_u64 v[24:25], s[16:17], 1, v[4:5]
	s_mov_b64 s[26:27], 0xffffffffffffff04
	s_mov_b64 s[28:29], 0xffffffffffffff05
	;; [unrolled: 1-line block ×4, first 2 shown]
	v_add_nc_u64_e32 v[4:5], 2, v[24:25]
	v_add_nc_u64_e32 v[10:11], 4, v[24:25]
	;; [unrolled: 1-line block ×7, first 2 shown]
	v_mad_nc_u64_u32 v[26:27], s6, v4, s[8:9]
	v_mul_lo_u32 v3, s6, v5
	v_mul_lo_u32 v5, s7, v4
	v_mad_nc_u64_u32 v[28:29], s6, v10, s[8:9]
	v_mul_lo_u32 v11, s6, v11
	v_mul_lo_u32 v18, s7, v10
	;; [unrolled: 3-line block ×5, first 2 shown]
	v_mad_nc_u64_u32 v[38:39], s6, v4, s[10:11]
	v_add3_u32 v27, v5, v27, v3
	v_mad_nc_u64_u32 v[36:37], s6, v12, s[8:9]
	v_mul_lo_u32 v13, s6, v13
	v_mul_lo_u32 v22, s7, v12
	v_mad_nc_u64_u32 v[40:41], s6, v10, s[10:11]
	v_add3_u32 v29, v18, v29, v11
	scratch_store_b64 off, v[26:27], off    ; 8-byte Folded Spill
	v_add3_u32 v31, v19, v31, v7
	v_add3_u32 v33, v20, v33, v9
	s_wait_xcnt 0x0
	v_mad_nc_u64_u32 v[26:27], s6, v6, s[10:11]
	v_add3_u32 v35, v21, v35, v15
	v_add3_u32 v39, v5, v39, v3
	v_add_nc_u64_e32 v[4:5], 16, v[24:25]
	s_clause 0x2
	scratch_store_b64 off, v[28:29], off offset:8
	scratch_store_b64 off, v[30:31], off offset:16
	;; [unrolled: 1-line block ×3, first 2 shown]
	s_wait_xcnt 0x1
	v_mad_nc_u64_u32 v[30:31], s6, v8, s[10:11]
	s_wait_xcnt 0x0
	v_mad_nc_u64_u32 v[32:33], s6, v14, s[10:11]
	v_add3_u32 v37, v22, v37, v13
	scratch_store_b64 off, v[34:35], off offset:32 ; 8-byte Folded Spill
	v_mad_nc_u64_u32 v[28:29], s6, v16, s[8:9]
	v_mul_lo_u32 v3, s6, v17
	v_mul_lo_u32 v8, s7, v16
	s_wait_xcnt 0x0
	v_mad_nc_u64_u32 v[34:35], s6, v12, s[10:11]
	v_mad_nc_u64_u32 v[16:17], s6, v16, s[10:11]
	v_add3_u32 v41, v18, v41, v11
	v_add3_u32 v27, v19, v27, v7
	v_mad_nc_u64_u32 v[18:19], s6, v4, s[8:9]
	v_mul_lo_u32 v10, s6, v5
	v_mul_lo_u32 v11, s7, v4
	v_add_nc_u64_e32 v[6:7], 18, v[24:25]
	v_add3_u32 v31, v20, v31, v9
	v_add3_u32 v33, v21, v33, v15
	v_mad_nc_u64_u32 v[20:21], s6, v4, s[10:11]
	v_add3_u32 v29, v8, v29, v3
	s_clause 0x2
	scratch_store_b64 off, v[26:27], off offset:64
	scratch_store_b64 off, v[30:31], off offset:80
	;; [unrolled: 1-line block ×3, first 2 shown]
	v_add3_u32 v35, v22, v35, v13
	v_mad_nc_u64_u32 v[22:23], s6, v6, s[8:9]
	v_add_nc_u64_e32 v[4:5], 20, v[24:25]
	v_add3_u32 v17, v8, v17, v3
	v_mul_lo_u32 v3, s6, v7
	v_mul_lo_u32 v12, s7, v6
	s_wait_xcnt 0x2
	v_mad_nc_u64_u32 v[26:27], s6, v6, s[10:11]
	v_add_nc_u64_e32 v[6:7], 22, v[24:25]
	v_add3_u32 v19, v11, v19, v10
	v_add_nc_u64_e32 v[8:9], 24, v[24:25]
	s_clause 0x1
	scratch_store_b64 off, v[34:35], off offset:96
	scratch_store_b64 off, v[16:17], off offset:104
	v_mul_lo_u32 v13, s6, v5
	v_mul_lo_u32 v14, s7, v4
	v_mad_nc_u64_u32 v[74:75], s6, v4, s[10:11]
	v_mul_lo_u32 v7, s6, v7
	v_mul_lo_u32 v15, s7, v6
	v_mad_nc_u64_u32 v[76:77], s6, v6, s[8:9]
	v_mad_nc_u64_u32 v[82:83], s6, v6, s[10:11]
	v_add3_u32 v21, v11, v21, v10
	scratch_store_b64 off, v[18:19], off offset:112 ; 8-byte Folded Spill
	s_wait_xcnt 0x0
	v_mad_nc_u64_u32 v[18:19], s6, v4, s[8:9]
	v_mul_lo_u32 v9, s6, v9
	v_mul_lo_u32 v16, s7, v8
	v_mad_nc_u64_u32 v[78:79], s6, v8, s[8:9]
	v_add_nc_u64_e32 v[4:5], 26, v[24:25]
	v_mad_nc_u64_u32 v[80:81], s6, v8, s[10:11]
	v_add3_u32 v75, v14, v75, v13
	v_add3_u32 v77, v15, v77, v7
	;; [unrolled: 1-line block ×3, first 2 shown]
	v_mov_b32_e32 v15, v2
	v_add3_u32 v23, v12, v23, v3
	v_add3_u32 v19, v14, v19, v13
	v_lshlrev_b32_e32 v14, 4, v1
	v_add3_u32 v27, v12, v27, v3
	v_mul_lo_u32 v3, s6, v5
	v_mul_lo_u32 v8, s7, v4
	v_mad_nc_u64_u32 v[84:85], s6, v4, s[8:9]
	v_mad_nc_u64_u32 v[86:87], s6, v4, s[10:11]
	v_add_nc_u64_e32 v[6:7], 28, v[24:25]
	v_add3_u32 v79, v16, v79, v9
	v_add3_u32 v81, v16, v81, v9
	v_add_nc_u32_e32 v16, s13, v0
	v_add_nc_u64_e32 v[34:35], s[16:17], v[14:15]
	v_add_nc_u64_e32 v[4:5], 30, v[24:25]
	s_clause 0x1
	scratch_store_b64 off, v[14:15], off offset:156
	scratch_store_b32 off, v0, off offset:164
	v_mul_lo_u32 v7, s6, v7
	v_mul_lo_u32 v10, s7, v6
	v_mad_nc_u64_u32 v[90:91], s6, v6, s[8:9]
	v_mad_nc_u64_u32 v[92:93], s6, v6, s[10:11]
	v_add3_u32 v85, v8, v85, v3
	v_add3_u32 v87, v8, v87, v3
	v_mul_u64_e32 v[8:9], s[6:7], v[34:35]
	v_mul_lo_u32 v12, s6, v5
	v_mul_lo_u32 v13, s7, v4
	v_mad_nc_u64_u32 v[94:95], s6, v4, s[8:9]
	v_mad_nc_u64_u32 v[96:97], s6, v4, s[10:11]
	v_add_nc_u64_e32 v[4:5], 15, v[34:35]
	s_wait_xcnt 0x1
	v_add_nc_u64_e32 v[14:15], 11, v[34:35]
	v_add3_u32 v91, v10, v91, v7
	v_add3_u32 v93, v10, v93, v7
	v_add_nc_u64_e32 v[6:7], 14, v[34:35]
	s_clause 0x3
	scratch_store_b64 off, v[22:23], off offset:128
	scratch_store_b64 off, v[26:27], off offset:136
	scratch_store_b64 off, v[18:19], off offset:144
	scratch_store_b32 off, v1, off offset:152
	v_mul_u64_e32 v[4:5], s[6:7], v[4:5]
	v_add_nc_u64_e32 v[10:11], 13, v[34:35]
	v_mul_u64_e32 v[6:7], s[6:7], v[6:7]
	s_wait_xcnt 0x1
	v_add_nc_u64_e32 v[18:19], 10, v[34:35]
	v_mul_u64_e32 v[14:15], s[6:7], v[14:15]
	v_add_nc_u64_e32 v[22:23], 8, v[34:35]
	scratch_store_b64 off, v[28:29], off offset:72 ; 8-byte Folded Spill
	v_add3_u32 v95, v13, v95, v12
	v_add3_u32 v97, v13, v97, v12
	v_add_nc_u64_e32 v[12:13], 12, v[34:35]
	v_mul_u64_e32 v[10:11], s[6:7], v[10:11]
	v_add_nc_u64_e32 v[24:25], 7, v[34:35]
	v_mul_u64_e32 v[18:19], s[6:7], v[18:19]
	v_mul_u64_e32 v[22:23], s[6:7], v[22:23]
	v_add_nc_u64_e32 v[26:27], 6, v[34:35]
	s_wait_xcnt 0x0
	v_add_nc_u64_e32 v[28:29], 5, v[34:35]
	v_dual_mov_b32 v17, v2 :: v_dual_mov_b32 v70, 0
	scratch_store_b64 off, v[20:21], off offset:120 ; 8-byte Folded Spill
	v_mul_u64_e32 v[12:13], s[6:7], v[12:13]
	s_wait_xcnt 0x0
	v_add_nc_u64_e32 v[20:21], 9, v[34:35]
	v_mul_u64_e32 v[24:25], s[6:7], v[24:25]
	v_lshlrev_b64_e32 v[98:99], 1, v[16:17]
	v_add_nc_u64_e32 v[16:17], 4, v[34:35]
	v_lshlrev_b64_e32 v[30:31], 1, v[8:9]
	v_mul_u64_e32 v[26:27], s[6:7], v[26:27]
	v_mul_u64_e32 v[28:29], s[6:7], v[28:29]
	v_add_nc_u64_e32 v[32:33], 3, v[34:35]
	v_add_nc_u64_e32 v[0:1], 2, v[34:35]
	v_mul_u64_e32 v[20:21], s[6:7], v[20:21]
	v_mul_u64_e32 v[16:17], s[6:7], v[16:17]
	v_add_nc_u64_e32 v[100:101], s[8:9], v[30:31]
	v_add_nc_u64_e32 v[102:103], s[10:11], v[30:31]
	v_lshlrev_b64_e32 v[4:5], 1, v[4:5]
	v_mul_u64_e32 v[30:31], s[6:7], v[32:33]
	v_mul_u64_e32 v[32:33], s[6:7], v[0:1]
	v_lshlrev_b64_e32 v[6:7], 1, v[6:7]
	s_clause 0x2
	scratch_store_b64 off, v[36:37], off offset:40
	scratch_store_b64 off, v[38:39], off offset:48
	scratch_store_b64 off, v[40:41], off offset:56
	v_add_nc_u64_e32 v[104:105], s[8:9], v[4:5]
	v_add_nc_u64_e32 v[106:107], s[10:11], v[4:5]
	v_lshlrev_b64_e32 v[4:5], 1, v[14:15]
	v_lshlrev_b64_e32 v[10:11], 1, v[10:11]
	v_add_nc_u64_e32 v[108:109], s[8:9], v[6:7]
	v_add_nc_u64_e32 v[110:111], s[10:11], v[6:7]
	v_lshlrev_b64_e32 v[6:7], 1, v[18:19]
	v_add_nc_u64_e32 v[8:9], s[6:7], v[8:9]
	s_wait_kmcnt 0x0
	s_lshl_b32 s18, s2, 8
	v_add_nc_u64_e32 v[120:121], s[8:9], v[4:5]
	v_add_nc_u64_e32 v[122:123], s[10:11], v[4:5]
	v_lshlrev_b64_e32 v[4:5], 1, v[22:23]
	v_lshlrev_b64_e32 v[0:1], 1, v[12:13]
	v_add_nc_u64_e32 v[112:113], s[8:9], v[10:11]
	v_add_nc_u64_e32 v[114:115], s[10:11], v[10:11]
	v_lshlrev_b64_e32 v[10:11], 1, v[24:25]
	v_add_nc_u64_e32 v[124:125], s[8:9], v[6:7]
	v_add_nc_u64_e32 v[126:127], s[10:11], v[6:7]
	v_lshlrev_b64_e32 v[6:7], 1, v[26:27]
	s_wait_xcnt 0x2
	v_add_nc_u64_e32 v[36:37], s[8:9], v[4:5]
	s_wait_xcnt 0x1
	v_add_nc_u64_e32 v[38:39], s[10:11], v[4:5]
	v_lshlrev_b64_e32 v[4:5], 1, v[28:29]
	v_add_nc_u64_e32 v[116:117], s[8:9], v[0:1]
	v_add_nc_u64_e32 v[118:119], s[10:11], v[0:1]
	v_lshlrev_b64_e32 v[0:1], 1, v[20:21]
	s_wait_xcnt 0x0
	v_add_nc_u64_e32 v[40:41], s[8:9], v[10:11]
	v_add_nc_u64_e32 v[42:43], s[10:11], v[10:11]
	v_lshlrev_b64_e32 v[10:11], 1, v[16:17]
	v_add_nc_u64_e32 v[44:45], s[8:9], v[6:7]
	v_add_nc_u64_e32 v[46:47], s[10:11], v[6:7]
	v_lshlrev_b64_e32 v[6:7], 1, v[30:31]
	v_lshlrev_b64_e32 v[12:13], 1, v[32:33]
	v_add_nc_u64_e32 v[48:49], s[8:9], v[4:5]
	v_add_nc_u64_e32 v[50:51], s[10:11], v[4:5]
	v_lshlrev_b64_e32 v[4:5], 1, v[8:9]
	v_add_nc_u64_e32 v[88:89], s[8:9], v[0:1]
	v_add_nc_u64_e32 v[0:1], s[10:11], v[0:1]
	;; [unrolled: 1-line block ×10, first 2 shown]
	s_mul_u64 s[22:23], s[6:7], s[18:19]
	s_mov_b64 s[8:9], 0xffffffffffffff01
	s_lshl_b64 s[22:23], s[22:23], 1
	s_mov_b64 s[10:11], 0xffffffffffffff02
	s_mov_b64 s[36:37], 0xffffffffffffff08
	s_mov_b64 s[38:39], 0xffffffffffffff09
	s_mov_b64 s[40:41], 0xffffffffffffff0a
	s_mov_b64 s[42:43], 0xffffffffffffff0b
	s_mov_b64 s[44:45], 0xffffffffffffff0c
	s_mov_b64 s[46:47], 0xffffffffffffff0d
	s_mov_b64 s[48:49], 0xffffffffffffff0e
	s_mov_b64 s[50:51], 0xffffffffffffff0f
	s_mov_b64 s[52:53], 0xffffffffffffff10
	s_add_nc_u64 s[54:55], s[16:17], 0xff
.LBB174_85:                             ; =>This Inner Loop Header: Depth=1
	scratch_load_b64 v[4:5], off, off offset:156 ; 8-byte Folded Reload
	v_cmp_ge_i64_e64 s13, s[54:55], s[4:5]
	s_mov_b32 s2, -1
                                        ; implicit-def: $vgpr3
	s_and_b32 vcc_lo, exec_lo, s13
	s_wait_loadcnt 0x0
	v_add_nc_u64_e32 v[68:69], s[54:55], v[4:5]
	s_cbranch_vccz .LBB174_123
; %bb.86:                               ;   in Loop: Header=BB174_85 Depth=1
	s_load_b32 s2, s[20:21], 0xc
	s_clause 0x1
	scratch_load_b32 v3, off, off offset:152
	scratch_load_b32 v4, off, off offset:164
	v_mov_b32_e32 v71, 0
	s_wait_kmcnt 0x0
	s_and_b32 s2, s2, 0xffff
	s_wait_loadcnt 0x0
	v_mad_u32_u24 v3, v3, s2, v4
	s_mov_b32 s2, exec_lo
	s_delay_alu instid0(VALU_DEP_1) | instskip(SKIP_1) | instid1(VALU_DEP_1)
	v_and_b32_e32 v4, 31, v3
	s_wait_xcnt 0x0
	v_cmpx_gt_u32_e32 16, v4
	s_cbranch_execz .LBB174_90
; %bb.87:                               ;   in Loop: Header=BB174_85 Depth=1
	v_dual_mov_b32 v5, v2 :: v_dual_mov_b32 v71, 0
	s_mov_b32 s13, exec_lo
	s_delay_alu instid0(VALU_DEP_1) | instskip(NEXT) | instid1(VALU_DEP_1)
	v_add_nc_u64_e32 v[4:5], v[68:69], v[4:5]
	v_add_nc_u64_e32 v[4:5], s[8:9], v[4:5]
	s_delay_alu instid0(VALU_DEP_1)
	v_cmpx_gt_i64_e64 s[4:5], v[4:5]
	s_cbranch_execz .LBB174_89
; %bb.88:                               ;   in Loop: Header=BB174_85 Depth=1
	v_lshl_add_u64 v[4:5], v[4:5], 2, s[14:15]
	global_load_b32 v71, v[4:5], off
.LBB174_89:                             ;   in Loop: Header=BB174_85 Depth=1
	s_wait_xcnt 0x0
	s_or_b32 exec_lo, exec_lo, s13
.LBB174_90:                             ;   in Loop: Header=BB174_85 Depth=1
	s_delay_alu instid0(SALU_CYCLE_1)
	s_or_b32 exec_lo, exec_lo, s2
	v_add_nc_u64_e32 v[18:19], s[8:9], v[68:69]
	v_dual_mov_b32 v15, v2 :: v_dual_mov_b32 v16, v2
	v_dual_mov_b32 v17, v2 :: v_dual_mov_b32 v3, v2
	;; [unrolled: 1-line block ×7, first 2 shown]
	v_mov_b32_e32 v14, v2
	v_mov_b64_e32 v[34:35], v[16:17]
	v_cmp_gt_i64_e32 vcc_lo, s[4:5], v[18:19]
	v_mov_b64_e32 v[28:29], v[10:11]
	v_mov_b64_e32 v[30:31], v[12:13]
	;; [unrolled: 1-line block ×15, first 2 shown]
	s_and_saveexec_b32 s2, vcc_lo
	s_cbranch_execz .LBB174_92
; %bb.91:                               ;   in Loop: Header=BB174_85 Depth=1
	v_add_nc_u64_e32 v[4:5], v[100:101], v[98:99]
	v_add_nc_u64_e32 v[6:7], v[102:103], v[98:99]
	v_dual_mov_b32 v9, v2 :: v_dual_mov_b32 v10, v2
	v_dual_mov_b32 v11, v2 :: v_dual_mov_b32 v12, v2
	;; [unrolled: 1-line block ×3, first 2 shown]
	global_load_u16 v3, v[4:5], off
	global_load_u16 v20, v[6:7], off
	s_wait_xcnt 0x0
	v_dual_mov_b32 v5, v2 :: v_dual_mov_b32 v6, v2
	v_dual_mov_b32 v7, v2 :: v_dual_mov_b32 v8, v2
	;; [unrolled: 1-line block ×12, first 2 shown]
	s_wait_loadcnt 0x1
	v_cvt_f32_f16_e32 v4, v3
	s_wait_loadcnt 0x0
	v_cvt_f32_f16_e32 v20, v20
.LBB174_92:                             ;   in Loop: Header=BB174_85 Depth=1
	s_or_b32 exec_lo, exec_lo, s2
	v_add_nc_u64_e32 v[72:73], s[10:11], v[68:69]
	s_mov_b32 s2, exec_lo
	s_delay_alu instid0(VALU_DEP_1)
	v_cmpx_gt_i64_e64 s[4:5], v[72:73]
	s_cbranch_execz .LBB174_94
; %bb.93:                               ;   in Loop: Header=BB174_85 Depth=1
	v_add_nc_u64_e32 v[72:73], v[64:65], v[98:99]
	global_load_u16 v3, v[72:73], off
	s_wait_xcnt 0x0
	v_add_nc_u64_e32 v[72:73], v[66:67], v[98:99]
	s_wait_loadcnt 0x0
	v_cvt_f32_f16_e32 v5, v3
	global_load_u16 v3, v[72:73], off
	s_wait_loadcnt 0x0
	v_cvt_f32_f16_e32 v21, v3
.LBB174_94:                             ;   in Loop: Header=BB174_85 Depth=1
	s_wait_xcnt 0x0
	s_or_b32 exec_lo, exec_lo, s2
	v_add_nc_u64_e32 v[72:73], s[24:25], v[68:69]
	s_mov_b32 s2, exec_lo
	s_delay_alu instid0(VALU_DEP_1)
	v_cmpx_gt_i64_e64 s[4:5], v[72:73]
	s_cbranch_execz .LBB174_96
; %bb.95:                               ;   in Loop: Header=BB174_85 Depth=1
	v_add_nc_u64_e32 v[72:73], v[60:61], v[98:99]
	global_load_u16 v3, v[72:73], off
	s_wait_xcnt 0x0
	v_add_nc_u64_e32 v[72:73], v[62:63], v[98:99]
	s_wait_loadcnt 0x0
	v_cvt_f32_f16_e32 v6, v3
	global_load_u16 v3, v[72:73], off
	s_wait_loadcnt 0x0
	v_cvt_f32_f16_e32 v22, v3
.LBB174_96:                             ;   in Loop: Header=BB174_85 Depth=1
	s_wait_xcnt 0x0
	;; [unrolled: 18-line block ×3, first 2 shown]
	s_or_b32 exec_lo, exec_lo, s2
	v_add_nc_u64_e32 v[72:73], s[28:29], v[68:69]
	s_mov_b32 s2, exec_lo
	s_delay_alu instid0(VALU_DEP_1)
	v_cmpx_gt_i64_e64 s[4:5], v[72:73]
	s_cbranch_execz .LBB174_100
; %bb.99:                               ;   in Loop: Header=BB174_85 Depth=1
	v_add_nc_u64_e32 v[72:73], v[52:53], v[98:99]
	global_load_u16 v3, v[72:73], off
	s_wait_xcnt 0x0
	v_add_nc_u64_e32 v[72:73], v[54:55], v[98:99]
	s_wait_loadcnt 0x0
	v_cvt_f32_f16_e32 v8, v3
	global_load_u16 v3, v[72:73], off
	s_wait_loadcnt 0x0
	v_cvt_f32_f16_e32 v24, v3
.LBB174_100:                            ;   in Loop: Header=BB174_85 Depth=1
	s_wait_xcnt 0x0
	s_or_b32 exec_lo, exec_lo, s2
	v_add_nc_u64_e32 v[72:73], s[30:31], v[68:69]
	s_mov_b32 s2, exec_lo
	s_delay_alu instid0(VALU_DEP_1)
	v_cmpx_gt_i64_e64 s[4:5], v[72:73]
	s_cbranch_execz .LBB174_102
; %bb.101:                              ;   in Loop: Header=BB174_85 Depth=1
	v_add_nc_u64_e32 v[72:73], v[48:49], v[98:99]
	global_load_u16 v3, v[72:73], off
	s_wait_xcnt 0x0
	v_add_nc_u64_e32 v[72:73], v[50:51], v[98:99]
	s_wait_loadcnt 0x0
	v_cvt_f32_f16_e32 v9, v3
	global_load_u16 v3, v[72:73], off
	s_wait_loadcnt 0x0
	v_cvt_f32_f16_e32 v25, v3
.LBB174_102:                            ;   in Loop: Header=BB174_85 Depth=1
	s_wait_xcnt 0x0
	s_or_b32 exec_lo, exec_lo, s2
	v_add_nc_u64_e32 v[72:73], s[34:35], v[68:69]
	s_mov_b32 s2, exec_lo
	s_delay_alu instid0(VALU_DEP_1)
	v_cmpx_gt_i64_e64 s[4:5], v[72:73]
	s_cbranch_execz .LBB174_104
; %bb.103:                              ;   in Loop: Header=BB174_85 Depth=1
	v_add_nc_u64_e32 v[72:73], v[44:45], v[98:99]
	global_load_u16 v3, v[72:73], off
	s_wait_xcnt 0x0
	v_add_nc_u64_e32 v[72:73], v[46:47], v[98:99]
	s_wait_loadcnt 0x0
	v_cvt_f32_f16_e32 v10, v3
	global_load_u16 v3, v[72:73], off
	s_wait_loadcnt 0x0
	v_cvt_f32_f16_e32 v26, v3
.LBB174_104:                            ;   in Loop: Header=BB174_85 Depth=1
	;; [unrolled: 18-line block ×11, first 2 shown]
	s_wait_xcnt 0x0
	s_or_b32 exec_lo, exec_lo, s2
	s_wait_loadcnt 0x0
	ds_bpermute_b32 v3, v2, v71
	v_dual_mul_f32 v4, v20, v4 :: v_dual_mul_f32 v5, v21, v5
	ds_bpermute_b32 v20, v2, v71 offset:16
	ds_bpermute_b32 v21, v2, v71 offset:20
	v_pk_mul_f32 v[8:9], v[24:25], v[8:9]
	v_pk_mul_f32 v[10:11], v[26:27], v[10:11]
	;; [unrolled: 1-line block ×4, first 2 shown]
	s_mov_b32 s2, 0
	s_wait_dscnt 0x2
	v_fma_f32 v3, v4, v3, v70
	ds_bpermute_b32 v4, v2, v71 offset:4
	s_wait_dscnt 0x1
	v_pk_mul_f32 v[8:9], v[8:9], v[20:21]
	s_wait_dscnt 0x0
	v_fmac_f32_e32 v3, v5, v4
	ds_bpermute_b32 v4, v2, v71 offset:8
	v_mul_f32_e32 v5, v22, v6
	s_wait_dscnt 0x0
	s_delay_alu instid0(VALU_DEP_1) | instskip(SKIP_4) | instid1(VALU_DEP_2)
	v_fmac_f32_e32 v3, v5, v4
	ds_bpermute_b32 v4, v2, v71 offset:12
	v_mul_f32_e32 v5, v23, v7
	v_pk_mul_f32 v[6:7], v[32:33], v[16:17]
	s_wait_dscnt 0x0
	v_fmac_f32_e32 v3, v5, v4
	v_pk_mul_f32 v[4:5], v[34:35], v[18:19]
	s_delay_alu instid0(VALU_DEP_2)
	v_add_f32_e32 v3, v3, v8
	ds_bpermute_b32 v8, v2, v71 offset:24
	v_add_f32_e32 v3, v3, v9
	ds_bpermute_b32 v9, v2, v71 offset:28
	s_wait_dscnt 0x0
	v_pk_mul_f32 v[8:9], v[10:11], v[8:9]
	s_delay_alu instid0(VALU_DEP_1)
	v_add_f32_e32 v3, v3, v8
	ds_bpermute_b32 v8, v2, v71 offset:32
	v_add_f32_e32 v3, v3, v9
	ds_bpermute_b32 v9, v2, v71 offset:36
	s_wait_dscnt 0x0
	v_pk_mul_f32 v[8:9], v[12:13], v[8:9]
	s_delay_alu instid0(VALU_DEP_1)
	;; [unrolled: 7-line block ×4, first 2 shown]
	v_add_f32_e32 v3, v3, v6
	ds_bpermute_b32 v6, v2, v71 offset:56
	v_add_f32_e32 v3, v3, v7
	ds_bpermute_b32 v7, v2, v71 offset:60
	s_wait_dscnt 0x0
	v_pk_mul_f32 v[4:5], v[4:5], v[6:7]
	s_delay_alu instid0(VALU_DEP_1) | instskip(NEXT) | instid1(VALU_DEP_1)
	v_add_f32_e32 v3, v3, v4
	v_add_f32_e32 v3, v3, v5
.LBB174_123:                            ;   in Loop: Header=BB174_85 Depth=1
	s_and_b32 vcc_lo, exec_lo, s2
	s_cbranch_vccz .LBB174_129
; %bb.124:                              ;   in Loop: Header=BB174_85 Depth=1
	s_load_b32 s2, s[20:21], 0x0
	s_wait_kmcnt 0x0
	s_cmp_lt_u32 s12, s2
	s_cselect_b32 s2, 12, 18
	s_delay_alu instid0(SALU_CYCLE_1)
	s_add_nc_u64 s[56:57], s[20:21], s[2:3]
	s_load_u16 s2, s[56:57], 0x0
	s_clause 0x1
	scratch_load_b32 v3, off, off offset:152
	scratch_load_b32 v4, off, off offset:164
	s_wait_loadcnt 0x0
	s_wait_kmcnt 0x0
	v_mad_u32_u24 v3, v3, s2, v4
	s_mov_b32 s2, exec_lo
	s_delay_alu instid0(VALU_DEP_1) | instskip(SKIP_1) | instid1(VALU_DEP_1)
	v_dual_mov_b32 v3, 0 :: v_dual_bitop2_b32 v4, 31, v3 bitop3:0x40
	s_wait_xcnt 0x0
	v_cmpx_gt_u32_e32 16, v4
	s_cbranch_execz .LBB174_128
; %bb.125:                              ;   in Loop: Header=BB174_85 Depth=1
	v_dual_mov_b32 v5, v2 :: v_dual_mov_b32 v3, 0
	s_mov_b32 s13, exec_lo
	s_delay_alu instid0(VALU_DEP_1) | instskip(NEXT) | instid1(VALU_DEP_1)
	v_add_nc_u64_e32 v[4:5], v[68:69], v[4:5]
	v_add_nc_u64_e32 v[4:5], s[8:9], v[4:5]
	s_delay_alu instid0(VALU_DEP_1)
	v_cmpx_gt_i64_e64 s[4:5], v[4:5]
	s_cbranch_execz .LBB174_127
; %bb.126:                              ;   in Loop: Header=BB174_85 Depth=1
	v_lshl_add_u64 v[4:5], v[4:5], 2, s[14:15]
	global_load_b32 v3, v[4:5], off
.LBB174_127:                            ;   in Loop: Header=BB174_85 Depth=1
	s_wait_xcnt 0x0
	s_or_b32 exec_lo, exec_lo, s13
.LBB174_128:                            ;   in Loop: Header=BB174_85 Depth=1
	s_delay_alu instid0(SALU_CYCLE_1)
	s_or_b32 exec_lo, exec_lo, s2
	v_add_nc_u64_e32 v[4:5], v[100:101], v[98:99]
	v_add_nc_u64_e32 v[6:7], v[92:93], v[98:99]
	;; [unrolled: 1-line block ×3, first 2 shown]
	global_load_u16 v4, v[4:5], off
	s_wait_loadcnt 0x0
	v_cvt_f32_f16_e32 v20, v4
	s_wait_xcnt 0x0
	v_add_nc_u64_e32 v[4:5], v[102:103], v[98:99]
	global_load_u16 v4, v[4:5], off
	s_wait_loadcnt 0x0
	v_cvt_f32_f16_e32 v23, v4
	scratch_load_b64 v[4:5], off, off       ; 8-byte Folded Reload
	s_wait_loadcnt 0x0
	v_add_nc_u64_e32 v[4:5], v[4:5], v[98:99]
	global_load_u16 v4, v[4:5], off
	s_wait_loadcnt 0x0
	v_cvt_f32_f16_e32 v21, v4
	scratch_load_b64 v[4:5], off, off offset:48 ; 8-byte Folded Reload
	s_wait_loadcnt 0x0
	v_add_nc_u64_e32 v[4:5], v[4:5], v[98:99]
	global_load_u16 v4, v[4:5], off
	s_wait_loadcnt 0x0
	v_cvt_f32_f16_e32 v24, v4
	scratch_load_b64 v[4:5], off, off offset:8 ; 8-byte Folded Reload
	v_dual_mul_f32 v20, v20, v23 :: v_dual_mul_f32 v21, v21, v24
	s_wait_loadcnt 0x0
	v_add_nc_u64_e32 v[4:5], v[4:5], v[98:99]
	global_load_u16 v4, v[4:5], off
	s_wait_loadcnt 0x0
	v_cvt_f32_f16_e32 v25, v4
	scratch_load_b64 v[4:5], off, off offset:56 ; 8-byte Folded Reload
	s_wait_loadcnt 0x0
	v_add_nc_u64_e32 v[4:5], v[4:5], v[98:99]
	global_load_u16 v4, v[4:5], off
	s_wait_loadcnt 0x0
	v_cvt_f32_f16_e32 v26, v4
	scratch_load_b64 v[4:5], off, off offset:16 ; 8-byte Folded Reload
	;; [unrolled: 6-line block ×4, first 2 shown]
	s_wait_loadcnt 0x0
	v_add_nc_u64_e32 v[4:5], v[4:5], v[98:99]
	global_load_u16 v32, v[4:5], off
	scratch_load_b64 v[4:5], off, off offset:80 ; 8-byte Folded Reload
	s_wait_loadcnt 0x1
	v_cvt_f32_f16_e32 v24, v32
	s_wait_loadcnt 0x0
	v_add_nc_u64_e32 v[4:5], v[4:5], v[98:99]
	global_load_u16 v33, v[4:5], off
	scratch_load_b64 v[4:5], off, off offset:32 ; 8-byte Folded Reload
	s_wait_loadcnt 0x0
	v_add_nc_u64_e32 v[4:5], v[4:5], v[98:99]
	global_load_u16 v34, v[4:5], off
	scratch_load_b64 v[4:5], off, off offset:88 ; 8-byte Folded Reload
	;; [unrolled: 4-line block ×11, first 2 shown]
	s_wait_loadcnt 0x0
	v_add_nc_u64_e32 v[4:5], v[4:5], v[98:99]
	global_load_u16 v11, v[4:5], off
	s_wait_xcnt 0x0
	v_add_nc_u64_e32 v[4:5], v[74:75], v[98:99]
	global_load_u16 v12, v[4:5], off
	s_wait_xcnt 0x0
	;; [unrolled: 3-line block ×8, first 2 shown]
	v_add_nc_u64_e32 v[4:5], v[90:91], v[98:99]
	global_load_u16 v5, v[4:5], off
	global_load_u16 v4, v[6:7], off
	s_wait_xcnt 0x0
	v_add_nc_u64_e32 v[6:7], v[94:95], v[98:99]
	global_load_u16 v6, v[6:7], off
	global_load_u16 v7, v[68:69], off
	s_wait_xcnt 0x0
	ds_bpermute_b32 v68, v2, v3
	s_wait_dscnt 0x0
	v_fmac_f32_e32 v70, v20, v68
	ds_bpermute_b32 v20, v2, v3 offset:4
	s_wait_dscnt 0x0
	v_fmac_f32_e32 v70, v21, v20
	ds_bpermute_b32 v20, v2, v3 offset:8
	v_mul_f32_e32 v21, v25, v26
	v_cvt_f32_f16_e32 v25, v34
	v_cvt_f32_f16_e32 v26, v33
	s_wait_dscnt 0x0
	s_delay_alu instid0(VALU_DEP_3) | instskip(SKIP_3) | instid1(VALU_DEP_1)
	v_fmac_f32_e32 v70, v21, v20
	ds_bpermute_b32 v20, v2, v3 offset:12
	v_mul_f32_e32 v21, v27, v28
	v_cvt_f32_f16_e32 v27, v35
	v_pk_mul_f32 v[24:25], v[24:25], v[26:27]
	v_cvt_f32_f16_e32 v27, v31
	v_cvt_f32_f16_e32 v26, v18
	s_wait_dscnt 0x0
	v_fmac_f32_e32 v70, v21, v20
	ds_bpermute_b32 v20, v2, v3 offset:16
	ds_bpermute_b32 v21, v2, v3 offset:20
	s_wait_dscnt 0x0
	v_pk_mul_f32 v[20:21], v[24:25], v[20:21]
	v_cvt_f32_f16_e32 v25, v30
	v_cvt_f32_f16_e32 v24, v17
	s_delay_alu instid0(VALU_DEP_3) | instskip(NEXT) | instid1(VALU_DEP_2)
	v_add_f32_e32 v20, v70, v20
	v_pk_mul_f32 v[24:25], v[24:25], v[26:27]
	s_delay_alu instid0(VALU_DEP_2)
	v_add_f32_e32 v23, v20, v21
	ds_bpermute_b32 v20, v2, v3 offset:24
	ds_bpermute_b32 v21, v2, v3 offset:28
	s_wait_dscnt 0x0
	v_pk_mul_f32 v[20:21], v[24:25], v[20:21]
	v_cvt_f32_f16_e32 v25, v29
	v_cvt_f32_f16_e32 v24, v15
	s_delay_alu instid0(VALU_DEP_3)
	v_add_f32_e32 v17, v23, v20
	ds_bpermute_b32 v20, v2, v3 offset:32
	v_cvt_f32_f16_e32 v23, v22
	v_cvt_f32_f16_e32 v22, v14
	v_add_f32_e32 v17, v17, v21
	ds_bpermute_b32 v21, v2, v3 offset:36
	v_pk_mul_f32 v[14:15], v[22:23], v[24:25]
	s_wait_dscnt 0x0
	s_delay_alu instid0(VALU_DEP_1) | instskip(NEXT) | instid1(VALU_DEP_1)
	v_pk_mul_f32 v[14:15], v[14:15], v[20:21]
	v_add_f32_e32 v14, v17, v14
	s_delay_alu instid0(VALU_DEP_1)
	v_add_f32_e32 v20, v14, v15
	ds_bpermute_b32 v14, v2, v3 offset:40
	ds_bpermute_b32 v15, v2, v3 offset:44
	s_wait_loadcnt 0xa
	v_cvt_f32_f16_e32 v18, v12
	s_wait_loadcnt 0x9
	v_cvt_f32_f16_e32 v17, v16
	v_cvt_f32_f16_e32 v16, v11
	s_wait_loadcnt 0x8
	v_cvt_f32_f16_e32 v19, v19
	s_delay_alu instid0(VALU_DEP_1) | instskip(SKIP_1) | instid1(VALU_DEP_1)
	v_pk_mul_f32 v[16:17], v[16:17], v[18:19]
	s_wait_dscnt 0x0
	v_pk_mul_f32 v[14:15], v[16:17], v[14:15]
	s_delay_alu instid0(VALU_DEP_1)
	v_add_f32_e32 v11, v20, v14
	ds_bpermute_b32 v14, v2, v3 offset:48
	s_wait_loadcnt 0x6
	v_cvt_f32_f16_e32 v12, v9
	v_add_f32_e32 v16, v11, v15
	ds_bpermute_b32 v15, v2, v3 offset:52
	s_wait_loadcnt 0x5
	v_cvt_f32_f16_e32 v11, v10
	v_cvt_f32_f16_e32 v10, v8
	s_wait_loadcnt 0x4
	v_cvt_f32_f16_e32 v13, v13
	s_delay_alu instid0(VALU_DEP_1)
	v_pk_mul_f32 v[8:9], v[10:11], v[12:13]
	s_wait_loadcnt 0x3
	v_cvt_f32_f16_e32 v10, v5
	s_wait_loadcnt 0x2
	v_cvt_f32_f16_e32 v4, v4
	s_wait_dscnt 0x0
	v_pk_mul_f32 v[8:9], v[8:9], v[14:15]
	s_delay_alu instid0(VALU_DEP_1)
	v_add_f32_e32 v8, v16, v8
	s_wait_loadcnt 0x1
	v_cvt_f32_f16_e32 v11, v6
	s_wait_loadcnt 0x0
	v_cvt_f32_f16_e32 v5, v7
	v_add_f32_e32 v12, v8, v9
	ds_bpermute_b32 v8, v2, v3 offset:56
	ds_bpermute_b32 v9, v2, v3 offset:60
	v_pk_mul_f32 v[4:5], v[10:11], v[4:5]
	s_wait_dscnt 0x0
	s_delay_alu instid0(VALU_DEP_1) | instskip(NEXT) | instid1(VALU_DEP_1)
	v_pk_mul_f32 v[4:5], v[4:5], v[8:9]
	v_add_f32_e32 v3, v12, v4
	s_delay_alu instid0(VALU_DEP_1)
	v_add_f32_e32 v3, v3, v5
.LBB174_129:                            ;   in Loop: Header=BB174_85 Depth=1
	scratch_load_b64 v[4:5], off, off       ; 8-byte Folded Reload
	s_add_nc_u64 s[16:17], s[16:17], s[18:19]
	v_add_nc_u64_e32 v[100:101], s[22:23], v[100:101]
	v_cmp_ge_i64_e64 s2, s[16:17], s[4:5]
	v_add_nc_u64_e32 v[102:103], s[22:23], v[102:103]
	v_add_nc_u64_e32 v[76:77], s[22:23], v[76:77]
	v_add_nc_u64_e32 v[78:79], s[22:23], v[78:79]
	v_add_nc_u64_e32 v[84:85], s[22:23], v[84:85]
	v_add_nc_u64_e32 v[90:91], s[22:23], v[90:91]
	v_add_nc_u64_e32 v[94:95], s[22:23], v[94:95]
	v_add_nc_u64_e32 v[74:75], s[22:23], v[74:75]
	v_add_nc_u64_e32 v[82:83], s[22:23], v[82:83]
	v_add_nc_u64_e32 v[80:81], s[22:23], v[80:81]
	v_add_nc_u64_e32 v[86:87], s[22:23], v[86:87]
	v_add_nc_u64_e32 v[92:93], s[22:23], v[92:93]
	v_add_nc_u64_e32 v[96:97], s[22:23], v[96:97]
	v_add_nc_u64_e32 v[104:105], s[22:23], v[104:105]
	v_add_nc_u64_e32 v[106:107], s[22:23], v[106:107]
	v_add_nc_u64_e32 v[108:109], s[22:23], v[108:109]
	v_add_nc_u64_e32 v[110:111], s[22:23], v[110:111]
	v_add_nc_u64_e32 v[112:113], s[22:23], v[112:113]
	v_add_nc_u64_e32 v[114:115], s[22:23], v[114:115]
	v_add_nc_u64_e32 v[116:117], s[22:23], v[116:117]
	v_add_nc_u64_e32 v[118:119], s[22:23], v[118:119]
	v_add_nc_u64_e32 v[120:121], s[22:23], v[120:121]
	v_add_nc_u64_e32 v[122:123], s[22:23], v[122:123]
	v_add_nc_u64_e32 v[124:125], s[22:23], v[124:125]
	v_add_nc_u64_e32 v[126:127], s[22:23], v[126:127]
	v_add_nc_u64_e32 v[88:89], s[22:23], v[88:89]
	v_add_nc_u64_e32 v[0:1], s[22:23], v[0:1]
	v_add_nc_u64_e32 v[36:37], s[22:23], v[36:37]
	v_add_nc_u64_e32 v[38:39], s[22:23], v[38:39]
	v_add_nc_u64_e32 v[40:41], s[22:23], v[40:41]
	v_add_nc_u64_e32 v[42:43], s[22:23], v[42:43]
	v_add_nc_u64_e32 v[44:45], s[22:23], v[44:45]
	v_add_nc_u64_e32 v[46:47], s[22:23], v[46:47]
	v_add_nc_u64_e32 v[48:49], s[22:23], v[48:49]
	v_add_nc_u64_e32 v[50:51], s[22:23], v[50:51]
	v_add_nc_u64_e32 v[52:53], s[22:23], v[52:53]
	v_add_nc_u64_e32 v[54:55], s[22:23], v[54:55]
	v_add_nc_u64_e32 v[56:57], s[22:23], v[56:57]
	v_add_nc_u64_e32 v[58:59], s[22:23], v[58:59]
	v_add_nc_u64_e32 v[60:61], s[22:23], v[60:61]
	v_add_nc_u64_e32 v[62:63], s[22:23], v[62:63]
	v_add_nc_u64_e32 v[64:65], s[22:23], v[64:65]
	v_add_nc_u64_e32 v[66:67], s[22:23], v[66:67]
	s_and_b32 vcc_lo, exec_lo, s2
	s_add_nc_u64 s[54:55], s[54:55], s[18:19]
	s_wait_loadcnt 0x0
	v_add_nc_u64_e32 v[4:5], s[22:23], v[4:5]
	s_clause 0x1
	scratch_store_b64 off, v[4:5], off
	scratch_load_b64 v[4:5], off, off offset:8
	s_wait_loadcnt 0x0
	v_add_nc_u64_e32 v[4:5], s[22:23], v[4:5]
	s_clause 0x1
	scratch_store_b64 off, v[4:5], off offset:8
	scratch_load_b64 v[4:5], off, off offset:16
	s_wait_loadcnt 0x0
	v_add_nc_u64_e32 v[4:5], s[22:23], v[4:5]
	s_clause 0x1
	scratch_store_b64 off, v[4:5], off offset:16
	;; [unrolled: 5-line block ×17, first 2 shown]
	scratch_load_b64 v[4:5], off, off offset:136
	s_wait_loadcnt 0x0
	v_add_nc_u64_e32 v[4:5], s[22:23], v[4:5]
	scratch_store_b64 off, v[4:5], off offset:136 ; 8-byte Folded Spill
	s_cbranch_vccnz .LBB174_131
; %bb.130:                              ;   in Loop: Header=BB174_85 Depth=1
	v_mov_b32_e32 v70, v3
	s_branch .LBB174_85
.LBB174_131:
	scratch_load_b32 v0, off, off offset:168 ; 4-byte Folded Reload
.LBB174_132:
	s_wait_loadcnt 0x0
	s_wait_xcnt 0x1
	v_and_b32_e32 v5, 0x3ff, v0
	v_bfe_u32 v0, v0, 10, 10
	s_mov_b32 s2, exec_lo
	s_delay_alu instid0(VALU_DEP_1) | instskip(SKIP_1) | instid1(VALU_DEP_2)
	v_mad_u32_u24 v1, 0x41, v0, v5
	v_mov_b32_e32 v4, 0
	v_lshl_add_u32 v2, v1, 2, 0
	v_sub_nc_u32_e32 v1, v1, v0
	ds_store_b32 v2, v3
	ds_store_b32 v2, v4 offset:4160
	s_wait_storecnt_dscnt 0x0
	s_barrier_signal -1
	s_barrier_wait -1
	s_wait_xcnt 0x0
	v_cmpx_gt_u32_e32 0x800, v1
	s_cbranch_execz .LBB174_142
; %bb.133:
	s_load_b64 s[2:3], s[0:1], 0x30
	v_and_b32_e32 v2, 31, v5
	v_lshrrev_b32_e32 v0, 5, v1
	s_delay_alu instid0(VALU_DEP_2)
	v_cmp_gt_u32_e32 vcc_lo, 16, v2
	v_mul_u32_u24_e32 v4, 0x41, v2
                                        ; implicit-def: $vgpr2
	s_wait_xcnt 0x0
	s_and_saveexec_b32 s0, vcc_lo
	s_cbranch_execz .LBB174_135
; %bb.134:
	v_lshlrev_b32_e32 v2, 2, v0
	v_lshlrev_b32_e32 v3, 2, v4
	s_delay_alu instid0(VALU_DEP_1)
	v_add3_u32 v2, 0, v2, v3
	ds_load_b32 v2, v2
.LBB174_135:
	s_or_b32 exec_lo, exec_lo, s0
	v_mbcnt_lo_u32_b32 v3, -1, 0
	s_mov_b32 s13, 0
	s_delay_alu instid0(SALU_CYCLE_1)
	s_lshl_b64 s[4:5], s[12:13], 6
	s_wait_kmcnt 0x0
	s_cmp_eq_u64 s[2:3], 0
	v_xor_b32_e32 v6, 8, v3
	s_cselect_b32 s8, -1, 0
	v_xor_b32_e32 v7, 4, v3
	v_xor_b32_e32 v10, 1, v3
	s_delay_alu instid0(VALU_DEP_3) | instskip(NEXT) | instid1(VALU_DEP_1)
	v_cmp_gt_i32_e64 s0, 32, v6
	v_cndmask_b32_e64 v6, v3, v6, s0
	s_delay_alu instid0(VALU_DEP_4) | instskip(NEXT) | instid1(VALU_DEP_1)
	v_cmp_gt_i32_e64 s0, 32, v7
	v_dual_lshlrev_b32 v6, 2, v6 :: v_dual_cndmask_b32 v7, v3, v7, s0
	s_wait_dscnt 0x0
	ds_bpermute_b32 v8, v6, v2
	s_wait_dscnt 0x0
	v_dual_add_f32 v2, v2, v8 :: v_dual_bitop2_b32 v8, 2, v3 bitop3:0x14
	s_delay_alu instid0(VALU_DEP_1) | instskip(NEXT) | instid1(VALU_DEP_1)
	v_cmp_gt_i32_e64 s0, 32, v8
	v_dual_lshlrev_b32 v7, 2, v7 :: v_dual_cndmask_b32 v8, v3, v8, s0
	ds_bpermute_b32 v9, v7, v2
	v_cmp_gt_i32_e64 s0, 32, v10
	s_wait_dscnt 0x0
	v_dual_lshlrev_b32 v8, 2, v8 :: v_dual_add_f32 v2, v2, v9
	ds_bpermute_b32 v9, v8, v2
	v_cndmask_b32_e64 v3, v3, v10, s0
	v_cmp_ne_u32_e64 s0, 0, v5
	s_wait_dscnt 0x0
	s_delay_alu instid0(VALU_DEP_2) | instskip(SKIP_4) | instid1(VALU_DEP_1)
	v_dual_add_f32 v10, v2, v9 :: v_dual_lshlrev_b32 v9, 2, v3
	v_or_b32_e32 v2, s4, v0
	ds_bpermute_b32 v11, v9, v10
	s_wait_dscnt 0x0
	v_dual_mov_b32 v3, s5 :: v_dual_add_f32 v5, v10, v11
	v_cmp_le_i64_e64 s1, s[6:7], v[2:3]
	s_or_b32 s1, s0, s1
	s_delay_alu instid0(SALU_CYCLE_1) | instskip(NEXT) | instid1(SALU_CYCLE_1)
	s_nor_b32 s9, s8, s1
	s_and_saveexec_b32 s1, s9
	s_cbranch_execz .LBB174_137
; %bb.136:
	v_lshl_add_u64 v[2:3], v[2:3], 1, s[2:3]
	v_cvt_f16_f32_e32 v10, v5
	global_store_b16 v[2:3], v10, off
.LBB174_137:
	s_wait_xcnt 0x0
	s_or_b32 exec_lo, exec_lo, s1
	v_cmp_gt_u32_e64 s1, 0x400, v1
	s_and_b32 exec_lo, exec_lo, s1
	s_cbranch_execz .LBB174_142
; %bb.138:
	s_and_saveexec_b32 s1, vcc_lo
	s_cbranch_execz .LBB174_140
; %bb.139:
	v_lshlrev_b32_e32 v1, 2, v0
	v_lshlrev_b32_e32 v2, 2, v4
	s_delay_alu instid0(VALU_DEP_1)
	v_add3_u32 v1, 0, v1, v2
	ds_load_b32 v5, v1 offset:128
.LBB174_140:
	s_or_b32 exec_lo, exec_lo, s1
	s_wait_dscnt 0x0
	ds_bpermute_b32 v1, v6, v5
	s_wait_dscnt 0x0
	v_dual_add_f32 v1, v5, v1 :: v_dual_mov_b32 v5, s5
	ds_bpermute_b32 v2, v7, v1
	s_wait_dscnt 0x0
	v_add_f32_e32 v1, v1, v2
	ds_bpermute_b32 v2, v8, v1
	s_wait_dscnt 0x0
	v_dual_add_f32 v2, v1, v2 :: v_dual_add_nc_u32 v1, 32, v0
	ds_bpermute_b32 v3, v9, v2
	v_or_b32_e32 v4, s4, v1
	s_delay_alu instid0(VALU_DEP_1) | instskip(SKIP_1) | instid1(SALU_CYCLE_1)
	v_cmp_le_i64_e32 vcc_lo, s[6:7], v[4:5]
	s_or_b32 s0, s0, vcc_lo
	s_nor_b32 s0, s8, s0
	s_delay_alu instid0(SALU_CYCLE_1) | instskip(NEXT) | instid1(SALU_CYCLE_1)
	s_and_saveexec_b32 s1, s0
	s_xor_b32 s1, exec_lo, s1
	s_cbranch_execz .LBB174_142
; %bb.141:
	s_wait_dscnt 0x0
	v_dual_mov_b32 v1, 0 :: v_dual_add_f32 v2, v2, v3
	s_delay_alu instid0(VALU_DEP_1) | instskip(NEXT) | instid1(VALU_DEP_2)
	v_add_nc_u64_e32 v[0:1], s[4:5], v[0:1]
	v_cvt_f16_f32_e32 v2, v2
	s_delay_alu instid0(VALU_DEP_2)
	v_lshl_add_u64 v[0:1], v[0:1], 1, s[2:3]
	global_store_b16 v[0:1], v2, off offset:64
.LBB174_142:
	s_sendmsg sendmsg(MSG_DEALLOC_VGPRS)
	s_endpgm
	.section	.rodata,"a",@progbits
	.p2align	6, 0x0
	.amdhsa_kernel _ZN2at6native12_GLOBAL__N_135GammaBetaBackwardCUDAKernelTemplateIN3c104HalfEfLj64ELj16ELj256ELb0ELb0ELb1EEEvllPKT_S7_PKT0_SA_PS5_SB_
		.amdhsa_group_segment_fixed_size 0
		.amdhsa_private_segment_fixed_size 176
		.amdhsa_kernarg_size 320
		.amdhsa_user_sgpr_count 2
		.amdhsa_user_sgpr_dispatch_ptr 0
		.amdhsa_user_sgpr_queue_ptr 0
		.amdhsa_user_sgpr_kernarg_segment_ptr 1
		.amdhsa_user_sgpr_dispatch_id 0
		.amdhsa_user_sgpr_kernarg_preload_length 0
		.amdhsa_user_sgpr_kernarg_preload_offset 0
		.amdhsa_user_sgpr_private_segment_size 0
		.amdhsa_wavefront_size32 1
		.amdhsa_uses_dynamic_stack 0
		.amdhsa_enable_private_segment 1
		.amdhsa_system_sgpr_workgroup_id_x 1
		.amdhsa_system_sgpr_workgroup_id_y 1
		.amdhsa_system_sgpr_workgroup_id_z 0
		.amdhsa_system_sgpr_workgroup_info 0
		.amdhsa_system_vgpr_workitem_id 1
		.amdhsa_next_free_vgpr 128
		.amdhsa_next_free_sgpr 66
		.amdhsa_named_barrier_count 0
		.amdhsa_reserve_vcc 1
		.amdhsa_float_round_mode_32 0
		.amdhsa_float_round_mode_16_64 0
		.amdhsa_float_denorm_mode_32 3
		.amdhsa_float_denorm_mode_16_64 3
		.amdhsa_fp16_overflow 0
		.amdhsa_memory_ordered 1
		.amdhsa_forward_progress 1
		.amdhsa_inst_pref_size 95
		.amdhsa_round_robin_scheduling 0
		.amdhsa_exception_fp_ieee_invalid_op 0
		.amdhsa_exception_fp_denorm_src 0
		.amdhsa_exception_fp_ieee_div_zero 0
		.amdhsa_exception_fp_ieee_overflow 0
		.amdhsa_exception_fp_ieee_underflow 0
		.amdhsa_exception_fp_ieee_inexact 0
		.amdhsa_exception_int_div_zero 0
	.end_amdhsa_kernel
	.section	.text._ZN2at6native12_GLOBAL__N_135GammaBetaBackwardCUDAKernelTemplateIN3c104HalfEfLj64ELj16ELj256ELb0ELb0ELb1EEEvllPKT_S7_PKT0_SA_PS5_SB_,"axG",@progbits,_ZN2at6native12_GLOBAL__N_135GammaBetaBackwardCUDAKernelTemplateIN3c104HalfEfLj64ELj16ELj256ELb0ELb0ELb1EEEvllPKT_S7_PKT0_SA_PS5_SB_,comdat
.Lfunc_end174:
	.size	_ZN2at6native12_GLOBAL__N_135GammaBetaBackwardCUDAKernelTemplateIN3c104HalfEfLj64ELj16ELj256ELb0ELb0ELb1EEEvllPKT_S7_PKT0_SA_PS5_SB_, .Lfunc_end174-_ZN2at6native12_GLOBAL__N_135GammaBetaBackwardCUDAKernelTemplateIN3c104HalfEfLj64ELj16ELj256ELb0ELb0ELb1EEEvllPKT_S7_PKT0_SA_PS5_SB_
                                        ; -- End function
	.set _ZN2at6native12_GLOBAL__N_135GammaBetaBackwardCUDAKernelTemplateIN3c104HalfEfLj64ELj16ELj256ELb0ELb0ELb1EEEvllPKT_S7_PKT0_SA_PS5_SB_.num_vgpr, 128
	.set _ZN2at6native12_GLOBAL__N_135GammaBetaBackwardCUDAKernelTemplateIN3c104HalfEfLj64ELj16ELj256ELb0ELb0ELb1EEEvllPKT_S7_PKT0_SA_PS5_SB_.num_agpr, 0
	.set _ZN2at6native12_GLOBAL__N_135GammaBetaBackwardCUDAKernelTemplateIN3c104HalfEfLj64ELj16ELj256ELb0ELb0ELb1EEEvllPKT_S7_PKT0_SA_PS5_SB_.numbered_sgpr, 66
	.set _ZN2at6native12_GLOBAL__N_135GammaBetaBackwardCUDAKernelTemplateIN3c104HalfEfLj64ELj16ELj256ELb0ELb0ELb1EEEvllPKT_S7_PKT0_SA_PS5_SB_.num_named_barrier, 0
	.set _ZN2at6native12_GLOBAL__N_135GammaBetaBackwardCUDAKernelTemplateIN3c104HalfEfLj64ELj16ELj256ELb0ELb0ELb1EEEvllPKT_S7_PKT0_SA_PS5_SB_.private_seg_size, 176
	.set _ZN2at6native12_GLOBAL__N_135GammaBetaBackwardCUDAKernelTemplateIN3c104HalfEfLj64ELj16ELj256ELb0ELb0ELb1EEEvllPKT_S7_PKT0_SA_PS5_SB_.uses_vcc, 1
	.set _ZN2at6native12_GLOBAL__N_135GammaBetaBackwardCUDAKernelTemplateIN3c104HalfEfLj64ELj16ELj256ELb0ELb0ELb1EEEvllPKT_S7_PKT0_SA_PS5_SB_.uses_flat_scratch, 1
	.set _ZN2at6native12_GLOBAL__N_135GammaBetaBackwardCUDAKernelTemplateIN3c104HalfEfLj64ELj16ELj256ELb0ELb0ELb1EEEvllPKT_S7_PKT0_SA_PS5_SB_.has_dyn_sized_stack, 0
	.set _ZN2at6native12_GLOBAL__N_135GammaBetaBackwardCUDAKernelTemplateIN3c104HalfEfLj64ELj16ELj256ELb0ELb0ELb1EEEvllPKT_S7_PKT0_SA_PS5_SB_.has_recursion, 0
	.set _ZN2at6native12_GLOBAL__N_135GammaBetaBackwardCUDAKernelTemplateIN3c104HalfEfLj64ELj16ELj256ELb0ELb0ELb1EEEvllPKT_S7_PKT0_SA_PS5_SB_.has_indirect_call, 0
	.section	.AMDGPU.csdata,"",@progbits
; Kernel info:
; codeLenInByte = 12044
; TotalNumSgprs: 68
; NumVgprs: 128
; ScratchSize: 176
; MemoryBound: 0
; FloatMode: 240
; IeeeMode: 1
; LDSByteSize: 0 bytes/workgroup (compile time only)
; SGPRBlocks: 0
; VGPRBlocks: 7
; NumSGPRsForWavesPerEU: 68
; NumVGPRsForWavesPerEU: 128
; NamedBarCnt: 0
; Occupancy: 8
; WaveLimiterHint : 0
; COMPUTE_PGM_RSRC2:SCRATCH_EN: 1
; COMPUTE_PGM_RSRC2:USER_SGPR: 2
; COMPUTE_PGM_RSRC2:TRAP_HANDLER: 0
; COMPUTE_PGM_RSRC2:TGID_X_EN: 1
; COMPUTE_PGM_RSRC2:TGID_Y_EN: 1
; COMPUTE_PGM_RSRC2:TGID_Z_EN: 0
; COMPUTE_PGM_RSRC2:TIDIG_COMP_CNT: 1
	.section	.text._ZN2at6native12_GLOBAL__N_135GammaBetaBackwardCUDAKernelTemplateIN3c104HalfEfLj32ELj1ELj32ELb1ELb1ELb1EEEvllPKT_S7_PKT0_SA_PS5_SB_,"axG",@progbits,_ZN2at6native12_GLOBAL__N_135GammaBetaBackwardCUDAKernelTemplateIN3c104HalfEfLj32ELj1ELj32ELb1ELb1ELb1EEEvllPKT_S7_PKT0_SA_PS5_SB_,comdat
	.globl	_ZN2at6native12_GLOBAL__N_135GammaBetaBackwardCUDAKernelTemplateIN3c104HalfEfLj32ELj1ELj32ELb1ELb1ELb1EEEvllPKT_S7_PKT0_SA_PS5_SB_ ; -- Begin function _ZN2at6native12_GLOBAL__N_135GammaBetaBackwardCUDAKernelTemplateIN3c104HalfEfLj32ELj1ELj32ELb1ELb1ELb1EEEvllPKT_S7_PKT0_SA_PS5_SB_
	.p2align	8
	.type	_ZN2at6native12_GLOBAL__N_135GammaBetaBackwardCUDAKernelTemplateIN3c104HalfEfLj32ELj1ELj32ELb1ELb1ELb1EEEvllPKT_S7_PKT0_SA_PS5_SB_,@function
_ZN2at6native12_GLOBAL__N_135GammaBetaBackwardCUDAKernelTemplateIN3c104HalfEfLj32ELj1ELj32ELb1ELb1ELb1EEEvllPKT_S7_PKT0_SA_PS5_SB_: ; @_ZN2at6native12_GLOBAL__N_135GammaBetaBackwardCUDAKernelTemplateIN3c104HalfEfLj32ELj1ELj32ELb1ELb1ELb1EEEvllPKT_S7_PKT0_SA_PS5_SB_
; %bb.0:
	s_load_b128 s[4:7], s[0:1], 0x0
	s_bfe_u32 s2, ttmp6, 0x40010
	s_bfe_u32 s3, ttmp6, 0x40004
	s_add_co_i32 s2, s2, 1
	s_getreg_b32 s20, hwreg(HW_REG_IB_STS2, 6, 4)
	s_mul_i32 s2, ttmp7, s2
	v_mov_b32_e32 v1, 0
	s_add_co_i32 s3, s3, s2
	s_cmp_eq_u32 s20, 0
	v_bfe_u32 v2, v0, 10, 10
	s_cselect_b32 s21, ttmp7, s3
	s_mov_b32 s3, 0
	s_lshl_b32 s2, s21, 5
	v_and_b32_e32 v10, 0x3ff, v0
	s_wait_kmcnt 0x0
	v_cmp_le_i64_e64 s8, s[4:5], s[2:3]
	s_and_b32 vcc_lo, exec_lo, s8
	s_cbranch_vccnz .LBB175_6
; %bb.1:
	v_dual_mov_b32 v1, 0 :: v_dual_lshlrev_b32 v0, 5, v2
	s_clause 0x3
	s_load_b32 s12, s[0:1], 0x4c
	s_load_b32 s13, s[0:1], 0x44
	s_load_b128 s[8:11], s[0:1], 0x10
	s_load_b64 s[14:15], s[0:1], 0x28
	s_bfe_u32 s17, ttmp6, 0x4000c
	s_and_b32 s16, ttmp6, 15
	s_add_co_i32 s17, s17, 1
	v_add_nc_u64_e32 v[4:5], s[2:3], v[0:1]
	s_mul_i32 s17, ttmp9, s17
	v_dual_mov_b32 v16, 28 :: v_dual_mov_b32 v7, v1
	s_add_co_i32 s16, s16, s17
	v_dual_mov_b32 v3, 4 :: v_dual_mov_b32 v11, 8
	s_delay_alu instid0(VALU_DEP_3)
	v_mul_u64_e32 v[8:9], s[6:7], v[4:5]
	v_dual_mov_b32 v12, 12 :: v_dual_mov_b32 v13, 16
	v_dual_mov_b32 v14, 20 :: v_dual_mov_b32 v15, 24
	;; [unrolled: 1-line block ×3, first 2 shown]
	s_wait_kmcnt 0x0
	s_and_b32 s12, s12, 0xffff
	s_cmp_eq_u32 s20, 0
	v_mad_u32_u24 v0, v2, s12, v10
	s_cselect_b32 s12, ttmp9, s16
	v_mov_b32_e32 v39, v1
	v_lshl_or_b32 v38, s12, 5, v10
	s_lshl_b32 s12, s13, 5
	v_and_b32_e32 v6, 31, v0
	s_mov_b32 s13, s3
	v_dual_mov_b32 v0, 32 :: v_dual_mov_b32 v17, 36
	v_lshlrev_b64_e32 v[40:41], 1, v[38:39]
	s_delay_alu instid0(VALU_DEP_3)
	v_add_nc_u64_e32 v[4:5], v[4:5], v[6:7]
	v_dual_mov_b32 v20, 48 :: v_dual_mov_b32 v21, 52
	v_dual_mov_b32 v22, 56 :: v_dual_mov_b32 v23, 60
	;; [unrolled: 1-line block ×3, first 2 shown]
	v_mov_b32_e32 v26, 0x48
	v_mov_b32_e32 v27, 0x4c
	;; [unrolled: 1-line block ×14, first 2 shown]
	v_lshl_add_u64 v[6:7], v[8:9], 1, v[40:41]
	v_lshl_add_u64 v[8:9], v[4:5], 2, s[14:15]
	v_mov_b32_e32 v41, 0
	s_mul_u64 s[16:17], s[6:7], s[12:13]
	s_lshl_b64 s[18:19], s[6:7], 1
	s_lshl_b64 s[14:15], s[16:17], 1
	;; [unrolled: 1-line block ×3, first 2 shown]
	s_branch .LBB175_3
.LBB175_2:                              ;   in Loop: Header=BB175_3 Depth=1
	s_wait_xcnt 0x0
	s_or_b32 exec_lo, exec_lo, s22
	v_add_nc_u64_e32 v[42:43], s[8:9], v[6:7]
	v_add_nc_u64_e32 v[44:45], s[10:11], v[6:7]
	s_wait_loadcnt 0x0
	ds_bpermute_b32 v56, v1, v40
	ds_bpermute_b32 v59, v3, v40
	s_add_nc_u64 s[2:3], s[2:3], s[12:13]
	v_add_nc_u64_e32 v[6:7], s[14:15], v[6:7]
	v_cmp_lt_i64_e64 s22, s[2:3], s[4:5]
	global_load_u16 v46, v[42:43], off
	global_load_u16 v47, v[44:45], off
	s_wait_xcnt 0x1
	v_add_nc_u64_e32 v[42:43], s[18:19], v[42:43]
	s_wait_xcnt 0x0
	v_add_nc_u64_e32 v[44:45], s[18:19], v[44:45]
	v_add_nc_u64_e32 v[8:9], s[16:17], v[8:9]
	;; [unrolled: 1-line block ×3, first 2 shown]
	global_load_u16 v48, v[42:43], off
	global_load_u16 v49, v[44:45], off
	s_wait_xcnt 0x1
	v_add_nc_u64_e32 v[42:43], s[18:19], v[42:43]
	s_wait_xcnt 0x0
	v_add_nc_u64_e32 v[44:45], s[18:19], v[44:45]
	s_and_b32 vcc_lo, exec_lo, s22
	global_load_u16 v50, v[42:43], off
	global_load_u16 v51, v[44:45], off
	s_wait_xcnt 0x1
	v_add_nc_u64_e32 v[42:43], s[18:19], v[42:43]
	s_wait_xcnt 0x0
	v_add_nc_u64_e32 v[44:45], s[18:19], v[44:45]
	global_load_u16 v52, v[42:43], off
	global_load_u16 v53, v[44:45], off
	s_wait_xcnt 0x1
	v_add_nc_u64_e32 v[42:43], s[18:19], v[42:43]
	s_wait_xcnt 0x0
	v_add_nc_u64_e32 v[44:45], s[18:19], v[44:45]
	;; [unrolled: 6-line block ×4, first 2 shown]
	global_load_u16 v60, v[42:43], off
	s_wait_xcnt 0x0
	v_add_nc_u64_e32 v[42:43], s[18:19], v[42:43]
	s_wait_loadcnt 0xc
	v_cvt_f32_f16_e32 v46, v46
	s_wait_loadcnt 0xb
	v_cvt_f32_f16_e32 v47, v47
	;; [unrolled: 2-line block ×4, first 2 shown]
	v_mul_f32_e32 v46, v46, v47
	global_load_u16 v47, v[44:45], off
	s_wait_xcnt 0x0
	v_add_nc_u64_e32 v[44:45], s[18:19], v[44:45]
	v_mul_f32_e32 v48, v48, v49
	ds_bpermute_b32 v49, v11, v40
	s_wait_loadcnt 0x9
	v_cvt_f32_f16_e32 v50, v50
	s_wait_loadcnt 0x8
	v_cvt_f32_f16_e32 v51, v51
	;; [unrolled: 2-line block ×4, first 2 shown]
	s_wait_dscnt 0x2
	v_fmac_f32_e32 v41, v46, v56
	global_load_u16 v46, v[42:43], off
	global_load_u16 v56, v[44:45], off
	s_wait_xcnt 0x1
	v_add_nc_u64_e32 v[42:43], s[18:19], v[42:43]
	s_wait_xcnt 0x0
	v_add_nc_u64_e32 v[44:45], s[18:19], v[44:45]
	v_mul_f32_e32 v52, v52, v53
	ds_bpermute_b32 v53, v13, v40
	s_wait_loadcnt 0x7
	v_cvt_f32_f16_e32 v54, v54
	s_wait_loadcnt 0x6
	v_cvt_f32_f16_e32 v55, v55
	s_delay_alu instid0(VALU_DEP_1)
	v_mul_f32_e32 v54, v54, v55
	s_wait_loadcnt 0x5
	v_cvt_f32_f16_e32 v57, v57
	s_wait_loadcnt 0x4
	v_cvt_f32_f16_e32 v58, v58
	s_wait_dscnt 0x2
	v_fmac_f32_e32 v41, v48, v59
	global_load_u16 v48, v[42:43], off
	global_load_u16 v59, v[44:45], off
	s_wait_xcnt 0x1
	v_add_nc_u64_e32 v[42:43], s[18:19], v[42:43]
	s_wait_xcnt 0x0
	v_add_nc_u64_e32 v[44:45], s[18:19], v[44:45]
	v_mul_f32_e32 v57, v57, v58
	s_wait_loadcnt 0x5
	v_cvt_f32_f16_e32 v60, v60
	s_wait_loadcnt 0x4
	v_cvt_f32_f16_e32 v47, v47
	s_delay_alu instid0(VALU_DEP_1)
	v_mul_f32_e32 v47, v60, v47
	v_mul_f32_e32 v50, v50, v51
	global_load_u16 v51, v[42:43], off
	s_wait_xcnt 0x0
	v_add_nc_u64_e32 v[42:43], s[18:19], v[42:43]
	s_wait_loadcnt 0x4
	v_cvt_f32_f16_e32 v46, v46
	s_wait_loadcnt 0x3
	v_cvt_f32_f16_e32 v56, v56
	s_delay_alu instid0(VALU_DEP_1)
	v_mul_f32_e32 v46, v46, v56
	s_wait_loadcnt 0x2
	v_cvt_f32_f16_e32 v48, v48
	s_wait_loadcnt 0x1
	v_cvt_f32_f16_e32 v59, v59
	s_wait_dscnt 0x1
	v_fmac_f32_e32 v41, v50, v49
	ds_bpermute_b32 v50, v12, v40
	global_load_u16 v49, v[44:45], off
	s_wait_xcnt 0x0
	v_add_nc_u64_e32 v[44:45], s[18:19], v[44:45]
	global_load_u16 v55, v[44:45], off
	s_wait_xcnt 0x0
	v_add_nc_u64_e32 v[44:45], s[18:19], v[44:45]
	;; [unrolled: 3-line block ×3, first 2 shown]
	s_wait_dscnt 0x0
	v_fmac_f32_e32 v41, v52, v50
	ds_bpermute_b32 v50, v14, v40
	global_load_u16 v52, v[42:43], off
	s_wait_xcnt 0x0
	v_add_nc_u64_e32 v[42:43], s[18:19], v[42:43]
	v_fmac_f32_e32 v41, v54, v53
	ds_bpermute_b32 v53, v15, v40
	global_load_u16 v60, v[44:45], off
	s_wait_xcnt 0x0
	v_add_nc_u64_e32 v[44:45], s[18:19], v[44:45]
	global_load_u16 v54, v[42:43], off
	s_wait_xcnt 0x0
	v_add_nc_u64_e32 v[42:43], s[18:19], v[42:43]
	;; [unrolled: 3-line block ×3, first 2 shown]
	s_wait_dscnt 0x1
	v_fmac_f32_e32 v41, v57, v50
	ds_bpermute_b32 v50, v16, v40
	global_load_u16 v57, v[42:43], off
	s_wait_xcnt 0x0
	v_add_nc_u64_e32 v[42:43], s[18:19], v[42:43]
	s_wait_dscnt 0x1
	v_fmac_f32_e32 v41, v47, v53
	ds_bpermute_b32 v47, v0, v40
	global_load_u16 v53, v[42:43], off
	s_wait_xcnt 0x0
	v_add_nc_u64_e32 v[42:43], s[18:19], v[42:43]
	s_wait_dscnt 0x1
	v_fmac_f32_e32 v41, v46, v50
	global_load_u16 v50, v[42:43], off
	global_load_u16 v61, v[44:45], off
	s_wait_xcnt 0x1
	v_add_nc_u64_e32 v[42:43], s[18:19], v[42:43]
	s_wait_xcnt 0x0
	v_add_nc_u64_e32 v[44:45], s[18:19], v[44:45]
	v_mul_f32_e32 v46, v48, v59
	ds_bpermute_b32 v48, v17, v40
	global_load_u16 v59, v[42:43], off
	s_wait_xcnt 0x0
	v_add_nc_u64_e32 v[42:43], s[18:19], v[42:43]
	s_wait_dscnt 0x1
	v_fmac_f32_e32 v41, v46, v47
	global_load_u16 v62, v[42:43], off
	s_wait_xcnt 0x0
	v_add_nc_u64_e32 v[42:43], s[18:19], v[42:43]
	s_wait_loadcnt 0xd
	v_cvt_f32_f16_e32 v46, v51
	global_load_u16 v51, v[44:45], off
	s_wait_xcnt 0x0
	v_add_nc_u64_e32 v[44:45], s[18:19], v[44:45]
	global_load_u16 v63, v[44:45], off
	s_wait_xcnt 0x0
	v_add_nc_u64_e32 v[44:45], s[18:19], v[44:45]
	s_wait_loadcnt 0xe
	v_cvt_f32_f16_e32 v47, v49
	s_delay_alu instid0(VALU_DEP_1) | instskip(SKIP_1) | instid1(VALU_DEP_1)
	v_mul_f32_e32 v46, v46, v47
	s_wait_dscnt 0x0
	v_fmac_f32_e32 v41, v46, v48
	ds_bpermute_b32 v46, v18, v40
	s_wait_loadcnt 0xd
	v_cvt_f32_f16_e32 v48, v55
	ds_bpermute_b32 v55, v22, v40
	s_wait_loadcnt 0xb
	v_cvt_f32_f16_e32 v47, v52
	v_cvt_f32_f16_e32 v52, v58
	ds_bpermute_b32 v58, v23, v40
	v_mul_f32_e32 v47, v47, v48
	ds_bpermute_b32 v48, v19, v40
	s_wait_loadcnt 0x9
	v_cvt_f32_f16_e32 v49, v54
	global_load_u16 v54, v[44:45], off
	s_wait_dscnt 0x3
	v_fmac_f32_e32 v41, v47, v46
	ds_bpermute_b32 v46, v20, v40
	s_wait_xcnt 0x0
	v_add_nc_u64_e32 v[44:45], s[18:19], v[44:45]
	v_mul_f32_e32 v47, v49, v52
	global_load_u16 v52, v[42:43], off
	s_wait_xcnt 0x0
	v_add_nc_u64_e32 v[42:43], s[18:19], v[42:43]
	ds_bpermute_b32 v49, v21, v40
	s_wait_dscnt 0x2
	v_fmac_f32_e32 v41, v47, v48
	s_wait_loadcnt 0x9
	v_cvt_f32_f16_e32 v47, v57
	v_cvt_f32_f16_e32 v48, v60
	global_load_u16 v57, v[44:45], off
	v_mul_f32_e32 v47, v47, v48
	s_wait_loadcnt 0x9
	v_cvt_f32_f16_e32 v48, v53
	v_cvt_f32_f16_e32 v53, v56
	global_load_u16 v56, v[42:43], off
	s_wait_xcnt 0x0
	v_add_nc_u64_e32 v[42:43], s[18:19], v[42:43]
	v_mul_f32_e32 v48, v48, v53
	s_wait_loadcnt 0x9
	v_cvt_f32_f16_e32 v50, v50
	s_wait_loadcnt 0x8
	v_cvt_f32_f16_e32 v53, v61
	s_wait_dscnt 0x1
	v_fmac_f32_e32 v41, v47, v46
	v_add_nc_u64_e32 v[46:47], s[18:19], v[44:45]
	v_add_nc_u64_e32 v[44:45], s[18:19], v[42:43]
	v_mul_f32_e32 v50, v50, v53
	s_wait_dscnt 0x0
	v_fmac_f32_e32 v41, v48, v49
	global_load_u16 v53, v[42:43], off
	global_load_u16 v60, v[46:47], off
	;; [unrolled: 1-line block ×3, first 2 shown]
	v_add_nc_u64_e32 v[48:49], s[18:19], v[46:47]
	s_wait_xcnt 0x2
	v_add_nc_u64_e32 v[42:43], s[18:19], v[44:45]
	s_wait_loadcnt 0xa
	s_wait_xcnt 0x1
	v_cvt_f32_f16_e32 v46, v59
	s_wait_xcnt 0x0
	v_add_nc_u64_e32 v[44:45], s[18:19], v[48:49]
	s_wait_loadcnt 0x8
	v_cvt_f32_f16_e32 v47, v51
	s_delay_alu instid0(VALU_DEP_1)
	v_mul_f32_e32 v46, v46, v47
	v_cvt_f32_f16_e32 v47, v62
	v_fmac_f32_e32 v41, v50, v55
	global_load_u16 v51, v[48:49], off
	global_load_u16 v55, v[42:43], off
	;; [unrolled: 1-line block ×3, first 2 shown]
	s_wait_xcnt 0x0
	v_add_nc_u64_e32 v[44:45], s[18:19], v[44:45]
	v_add_nc_u64_e32 v[42:43], s[18:19], v[42:43]
	s_wait_loadcnt 0xa
	v_cvt_f32_f16_e32 v48, v63
	ds_bpermute_b32 v50, v24, v40
	v_dual_mul_f32 v48, v47, v48 :: v_dual_fmac_f32 v41, v46, v58
	v_add_nc_u64_e32 v[46:47], s[18:19], v[44:45]
	global_load_u16 v58, v[42:43], off
	s_wait_xcnt 0x0
	v_add_nc_u64_e32 v[42:43], s[18:19], v[42:43]
	global_load_u16 v62, v[44:45], off
	global_load_u16 v63, v[42:43], off
	;; [unrolled: 1-line block ×3, first 2 shown]
	s_wait_xcnt 0x2
	ds_bpermute_b32 v44, v25, v40
	s_wait_xcnt 0x1
	v_add_nc_u64_e32 v[42:43], s[18:19], v[42:43]
	s_wait_loadcnt 0xc
	v_cvt_f32_f16_e32 v45, v52
	s_wait_loadcnt 0xb
	v_cvt_f32_f16_e32 v52, v57
	;; [unrolled: 2-line block ×3, first 2 shown]
	s_wait_dscnt 0x1
	v_fmac_f32_e32 v41, v48, v50
	v_cvt_f32_f16_e32 v48, v54
	ds_bpermute_b32 v50, v27, v40
	global_load_u16 v54, v[42:43], off
	s_wait_xcnt 0x0
	v_add_nc_u64_e32 v[42:43], s[18:19], v[42:43]
	v_mul_f32_e32 v45, v45, v48
	ds_bpermute_b32 v48, v26, v40
	s_wait_dscnt 0x2
	v_fmac_f32_e32 v41, v45, v44
	v_add_nc_u64_e32 v[44:45], s[18:19], v[46:47]
	v_mul_f32_e32 v46, v49, v52
	s_wait_loadcnt 0xa
	v_cvt_f32_f16_e32 v49, v53
	s_wait_loadcnt 0x9
	v_cvt_f32_f16_e32 v52, v60
	global_load_u16 v56, v[44:45], off
	global_load_u16 v57, v[42:43], off
	s_wait_xcnt 0x0
	v_add_nc_u64_e32 v[42:43], s[18:19], v[42:43]
	v_mul_f32_e32 v52, v49, v52
	ds_bpermute_b32 v49, v29, v40
	s_wait_dscnt 0x1
	v_fmac_f32_e32 v41, v46, v48
	v_add_nc_u64_e32 v[46:47], s[18:19], v[44:45]
	ds_bpermute_b32 v48, v28, v40
	v_fmac_f32_e32 v41, v52, v50
	global_load_u16 v60, v[46:47], off
	v_add_nc_u64_e32 v[44:45], s[18:19], v[46:47]
	s_wait_loadcnt 0xb
	s_wait_xcnt 0x0
	v_cvt_f32_f16_e32 v46, v61
	s_wait_loadcnt 0xa
	v_cvt_f32_f16_e32 v50, v51
	s_wait_loadcnt 0x9
	v_cvt_f32_f16_e32 v47, v55
	global_load_u16 v55, v[42:43], off
	s_wait_xcnt 0x0
	v_add_nc_u64_e32 v[42:43], s[18:19], v[42:43]
	s_wait_loadcnt 0x9
	v_cvt_f32_f16_e32 v51, v59
	global_load_u16 v59, v[44:45], off
	s_wait_xcnt 0x0
	v_add_nc_u64_e32 v[44:45], s[18:19], v[44:45]
	v_pk_mul_f32 v[46:47], v[46:47], v[50:51]
	s_wait_loadcnt 0x9
	v_cvt_f32_f16_e32 v50, v58
	global_load_u16 v58, v[42:43], off
	s_wait_xcnt 0x0
	v_add_nc_u64_e32 v[42:43], s[18:19], v[42:43]
	s_wait_dscnt 0x0
	v_pk_mul_f32 v[46:47], v[46:47], v[48:49]
	ds_bpermute_b32 v48, v30, v40
	ds_bpermute_b32 v49, v31, v40
	s_wait_loadcnt 0x9
	v_cvt_f32_f16_e32 v52, v62
	s_wait_loadcnt 0x8
	v_cvt_f32_f16_e32 v51, v63
	;; [unrolled: 2-line block ×3, first 2 shown]
	v_add_f32_e32 v41, v41, v46
	s_delay_alu instid0(VALU_DEP_2)
	v_pk_mul_f32 v[50:51], v[50:51], v[52:53]
	global_load_u16 v52, v[44:45], off
	s_wait_xcnt 0x0
	v_add_nc_u64_e32 v[44:45], s[18:19], v[44:45]
	global_load_u16 v53, v[42:43], off
	s_wait_xcnt 0x0
	v_add_nc_u64_e32 v[42:43], s[18:19], v[42:43]
	v_add_f32_e32 v41, v41, v47
	global_load_u16 v61, v[44:45], off
	s_wait_xcnt 0x0
	v_add_nc_u64_e32 v[44:45], s[18:19], v[44:45]
	global_load_u16 v62, v[42:43], off
	s_wait_xcnt 0x0
	v_add_nc_u64_e32 v[42:43], s[18:19], v[42:43]
	global_load_u16 v63, v[44:45], off
	global_load_u16 v64, v[42:43], off
	s_wait_xcnt 0x0
	v_add_nc_u64_e32 v[42:43], s[18:19], v[42:43]
	v_add_nc_u64_e32 v[44:45], s[18:19], v[44:45]
	global_load_u16 v65, v[42:43], off
	global_load_u16 v66, v[44:45], off
	s_wait_xcnt 0x1
	v_add_nc_u64_e32 v[42:43], s[18:19], v[44:45]
	s_wait_dscnt 0x0
	v_pk_mul_f32 v[46:47], v[50:51], v[48:49]
	ds_bpermute_b32 v50, v36, v40
	ds_bpermute_b32 v51, v37, v40
	v_add_f32_e32 v41, v41, v46
	global_load_u16 v67, v[42:43], off
	ds_bpermute_b32 v46, v34, v40
	v_add_f32_e32 v41, v41, v47
	ds_bpermute_b32 v47, v35, v40
	s_wait_loadcnt 0xf
	s_wait_xcnt 0x0
	v_cvt_f32_f16_e32 v42, v54
	s_wait_loadcnt 0xe
	v_cvt_f32_f16_e32 v44, v56
	s_wait_loadcnt 0xd
	;; [unrolled: 2-line block ×3, first 2 shown]
	v_cvt_f32_f16_e32 v45, v60
	s_delay_alu instid0(VALU_DEP_1) | instskip(SKIP_4) | instid1(VALU_DEP_1)
	v_pk_mul_f32 v[42:43], v[42:43], v[44:45]
	ds_bpermute_b32 v44, v32, v40
	ds_bpermute_b32 v45, v33, v40
	s_wait_dscnt 0x0
	v_pk_mul_f32 v[42:43], v[42:43], v[44:45]
	v_add_f32_e32 v41, v41, v42
	ds_bpermute_b32 v42, v38, v40
	v_add_f32_e32 v41, v41, v43
	ds_bpermute_b32 v43, v39, v40
	s_wait_loadcnt 0xb
	v_cvt_f32_f16_e32 v48, v55
	s_wait_loadcnt 0xa
	v_cvt_f32_f16_e32 v44, v59
	s_wait_loadcnt 0x9
	v_cvt_f32_f16_e32 v49, v58
	s_wait_loadcnt 0x8
	v_cvt_f32_f16_e32 v45, v52
	s_delay_alu instid0(VALU_DEP_1) | instskip(SKIP_2) | instid1(VALU_DEP_2)
	v_pk_mul_f32 v[44:45], v[48:49], v[44:45]
	s_wait_loadcnt 0x7
	v_cvt_f32_f16_e32 v48, v53
	v_pk_mul_f32 v[44:45], v[44:45], v[46:47]
	s_wait_loadcnt 0x6
	v_cvt_f32_f16_e32 v46, v61
	s_wait_loadcnt 0x5
	v_cvt_f32_f16_e32 v49, v62
	v_add_f32_e32 v44, v41, v44
	s_wait_loadcnt 0x4
	v_cvt_f32_f16_e32 v47, v63
	s_delay_alu instid0(VALU_DEP_1) | instskip(NEXT) | instid1(VALU_DEP_3)
	v_pk_mul_f32 v[40:41], v[48:49], v[46:47]
	v_add_f32_e32 v48, v44, v45
	s_wait_loadcnt 0x3
	v_cvt_f32_f16_e32 v44, v64
	s_wait_loadcnt 0x2
	v_cvt_f32_f16_e32 v45, v65
	;; [unrolled: 2-line block ×3, first 2 shown]
	v_pk_mul_f32 v[40:41], v[40:41], v[50:51]
	s_delay_alu instid0(VALU_DEP_1) | instskip(SKIP_2) | instid1(VALU_DEP_1)
	v_add_f32_e32 v40, v48, v40
	s_wait_loadcnt 0x0
	v_cvt_f32_f16_e32 v47, v67
	v_pk_mul_f32 v[44:45], v[44:45], v[46:47]
	s_delay_alu instid0(VALU_DEP_3) | instskip(SKIP_1) | instid1(VALU_DEP_2)
	v_add_f32_e32 v46, v40, v41
	s_wait_dscnt 0x0
	v_pk_mul_f32 v[40:41], v[44:45], v[42:43]
	s_delay_alu instid0(VALU_DEP_1) | instskip(NEXT) | instid1(VALU_DEP_1)
	v_add_f32_e32 v40, v46, v40
	v_add_f32_e32 v41, v40, v41
	s_cbranch_vccz .LBB175_5
.LBB175_3:                              ; =>This Inner Loop Header: Depth=1
	v_mov_b32_e32 v40, 0
	s_mov_b32 s22, exec_lo
	v_cmpx_gt_i64_e64 s[4:5], v[4:5]
	s_cbranch_execz .LBB175_2
; %bb.4:                                ;   in Loop: Header=BB175_3 Depth=1
	global_load_b32 v40, v[8:9], off
	s_branch .LBB175_2
.LBB175_5:
	s_delay_alu instid0(VALU_DEP_1)
	v_cvt_f16_f32_e32 v1, v41
.LBB175_6:
	s_load_b64 s[2:3], s[0:1], 0x30
	s_wait_kmcnt 0x0
	s_cmp_eq_u64 s[2:3], 0
	s_cbranch_scc1 .LBB175_8
; %bb.7:
	s_load_u16 s0, s[0:1], 0x4e
	v_mov_b32_e32 v3, 0
	s_and_b32 s4, ttmp6, 15
	s_wait_xcnt 0x0
	s_mov_b32 s1, 0
	s_wait_kmcnt 0x0
	v_mad_nc_u64_u32 v[4:5], s0, s21, v[2:3]
	s_bfe_u32 s0, ttmp6, 0x4000c
	v_lshlrev_b32_e32 v2, 1, v10
	s_add_co_i32 s0, s0, 1
	s_delay_alu instid0(SALU_CYCLE_1) | instskip(NEXT) | instid1(SALU_CYCLE_1)
	s_mul_i32 s0, ttmp9, s0
	s_add_co_i32 s4, s4, s0
	s_cmp_eq_u32 s20, 0
	s_cselect_b32 s0, ttmp9, s4
	s_delay_alu instid0(VALU_DEP_2) | instskip(SKIP_1) | instid1(VALU_DEP_1)
	v_mul_u64_e32 v[4:5], s[6:7], v[4:5]
	s_lshl_b64 s[0:1], s[0:1], 6
	v_lshl_add_u64 v[4:5], v[4:5], 1, s[2:3]
	s_delay_alu instid0(VALU_DEP_1) | instskip(NEXT) | instid1(VALU_DEP_1)
	v_add_nc_u64_e32 v[4:5], s[0:1], v[4:5]
	v_add_nc_u64_e32 v[2:3], v[4:5], v[2:3]
	global_store_b16 v[2:3], v1, off
.LBB175_8:
	s_sendmsg sendmsg(MSG_DEALLOC_VGPRS)
	s_endpgm
	.section	.rodata,"a",@progbits
	.p2align	6, 0x0
	.amdhsa_kernel _ZN2at6native12_GLOBAL__N_135GammaBetaBackwardCUDAKernelTemplateIN3c104HalfEfLj32ELj1ELj32ELb1ELb1ELb1EEEvllPKT_S7_PKT0_SA_PS5_SB_
		.amdhsa_group_segment_fixed_size 0
		.amdhsa_private_segment_fixed_size 0
		.amdhsa_kernarg_size 320
		.amdhsa_user_sgpr_count 2
		.amdhsa_user_sgpr_dispatch_ptr 0
		.amdhsa_user_sgpr_queue_ptr 0
		.amdhsa_user_sgpr_kernarg_segment_ptr 1
		.amdhsa_user_sgpr_dispatch_id 0
		.amdhsa_user_sgpr_kernarg_preload_length 0
		.amdhsa_user_sgpr_kernarg_preload_offset 0
		.amdhsa_user_sgpr_private_segment_size 0
		.amdhsa_wavefront_size32 1
		.amdhsa_uses_dynamic_stack 0
		.amdhsa_enable_private_segment 0
		.amdhsa_system_sgpr_workgroup_id_x 1
		.amdhsa_system_sgpr_workgroup_id_y 1
		.amdhsa_system_sgpr_workgroup_id_z 0
		.amdhsa_system_sgpr_workgroup_info 0
		.amdhsa_system_vgpr_workitem_id 1
		.amdhsa_next_free_vgpr 68
		.amdhsa_next_free_sgpr 23
		.amdhsa_named_barrier_count 0
		.amdhsa_reserve_vcc 1
		.amdhsa_float_round_mode_32 0
		.amdhsa_float_round_mode_16_64 0
		.amdhsa_float_denorm_mode_32 3
		.amdhsa_float_denorm_mode_16_64 3
		.amdhsa_fp16_overflow 0
		.amdhsa_memory_ordered 1
		.amdhsa_forward_progress 1
		.amdhsa_inst_pref_size 25
		.amdhsa_round_robin_scheduling 0
		.amdhsa_exception_fp_ieee_invalid_op 0
		.amdhsa_exception_fp_denorm_src 0
		.amdhsa_exception_fp_ieee_div_zero 0
		.amdhsa_exception_fp_ieee_overflow 0
		.amdhsa_exception_fp_ieee_underflow 0
		.amdhsa_exception_fp_ieee_inexact 0
		.amdhsa_exception_int_div_zero 0
	.end_amdhsa_kernel
	.section	.text._ZN2at6native12_GLOBAL__N_135GammaBetaBackwardCUDAKernelTemplateIN3c104HalfEfLj32ELj1ELj32ELb1ELb1ELb1EEEvllPKT_S7_PKT0_SA_PS5_SB_,"axG",@progbits,_ZN2at6native12_GLOBAL__N_135GammaBetaBackwardCUDAKernelTemplateIN3c104HalfEfLj32ELj1ELj32ELb1ELb1ELb1EEEvllPKT_S7_PKT0_SA_PS5_SB_,comdat
.Lfunc_end175:
	.size	_ZN2at6native12_GLOBAL__N_135GammaBetaBackwardCUDAKernelTemplateIN3c104HalfEfLj32ELj1ELj32ELb1ELb1ELb1EEEvllPKT_S7_PKT0_SA_PS5_SB_, .Lfunc_end175-_ZN2at6native12_GLOBAL__N_135GammaBetaBackwardCUDAKernelTemplateIN3c104HalfEfLj32ELj1ELj32ELb1ELb1ELb1EEEvllPKT_S7_PKT0_SA_PS5_SB_
                                        ; -- End function
	.set _ZN2at6native12_GLOBAL__N_135GammaBetaBackwardCUDAKernelTemplateIN3c104HalfEfLj32ELj1ELj32ELb1ELb1ELb1EEEvllPKT_S7_PKT0_SA_PS5_SB_.num_vgpr, 68
	.set _ZN2at6native12_GLOBAL__N_135GammaBetaBackwardCUDAKernelTemplateIN3c104HalfEfLj32ELj1ELj32ELb1ELb1ELb1EEEvllPKT_S7_PKT0_SA_PS5_SB_.num_agpr, 0
	.set _ZN2at6native12_GLOBAL__N_135GammaBetaBackwardCUDAKernelTemplateIN3c104HalfEfLj32ELj1ELj32ELb1ELb1ELb1EEEvllPKT_S7_PKT0_SA_PS5_SB_.numbered_sgpr, 23
	.set _ZN2at6native12_GLOBAL__N_135GammaBetaBackwardCUDAKernelTemplateIN3c104HalfEfLj32ELj1ELj32ELb1ELb1ELb1EEEvllPKT_S7_PKT0_SA_PS5_SB_.num_named_barrier, 0
	.set _ZN2at6native12_GLOBAL__N_135GammaBetaBackwardCUDAKernelTemplateIN3c104HalfEfLj32ELj1ELj32ELb1ELb1ELb1EEEvllPKT_S7_PKT0_SA_PS5_SB_.private_seg_size, 0
	.set _ZN2at6native12_GLOBAL__N_135GammaBetaBackwardCUDAKernelTemplateIN3c104HalfEfLj32ELj1ELj32ELb1ELb1ELb1EEEvllPKT_S7_PKT0_SA_PS5_SB_.uses_vcc, 1
	.set _ZN2at6native12_GLOBAL__N_135GammaBetaBackwardCUDAKernelTemplateIN3c104HalfEfLj32ELj1ELj32ELb1ELb1ELb1EEEvllPKT_S7_PKT0_SA_PS5_SB_.uses_flat_scratch, 0
	.set _ZN2at6native12_GLOBAL__N_135GammaBetaBackwardCUDAKernelTemplateIN3c104HalfEfLj32ELj1ELj32ELb1ELb1ELb1EEEvllPKT_S7_PKT0_SA_PS5_SB_.has_dyn_sized_stack, 0
	.set _ZN2at6native12_GLOBAL__N_135GammaBetaBackwardCUDAKernelTemplateIN3c104HalfEfLj32ELj1ELj32ELb1ELb1ELb1EEEvllPKT_S7_PKT0_SA_PS5_SB_.has_recursion, 0
	.set _ZN2at6native12_GLOBAL__N_135GammaBetaBackwardCUDAKernelTemplateIN3c104HalfEfLj32ELj1ELj32ELb1ELb1ELb1EEEvllPKT_S7_PKT0_SA_PS5_SB_.has_indirect_call, 0
	.section	.AMDGPU.csdata,"",@progbits
; Kernel info:
; codeLenInByte = 3136
; TotalNumSgprs: 25
; NumVgprs: 68
; ScratchSize: 0
; MemoryBound: 0
; FloatMode: 240
; IeeeMode: 1
; LDSByteSize: 0 bytes/workgroup (compile time only)
; SGPRBlocks: 0
; VGPRBlocks: 4
; NumSGPRsForWavesPerEU: 25
; NumVGPRsForWavesPerEU: 68
; NamedBarCnt: 0
; Occupancy: 12
; WaveLimiterHint : 0
; COMPUTE_PGM_RSRC2:SCRATCH_EN: 0
; COMPUTE_PGM_RSRC2:USER_SGPR: 2
; COMPUTE_PGM_RSRC2:TRAP_HANDLER: 0
; COMPUTE_PGM_RSRC2:TGID_X_EN: 1
; COMPUTE_PGM_RSRC2:TGID_Y_EN: 1
; COMPUTE_PGM_RSRC2:TGID_Z_EN: 0
; COMPUTE_PGM_RSRC2:TIDIG_COMP_CNT: 1
	.section	.text._ZN2at6native12_GLOBAL__N_135GammaBetaBackwardCUDAKernelTemplateIN3c104HalfEfLj32ELj1ELj32ELb1ELb0ELb1EEEvllPKT_S7_PKT0_SA_PS5_SB_,"axG",@progbits,_ZN2at6native12_GLOBAL__N_135GammaBetaBackwardCUDAKernelTemplateIN3c104HalfEfLj32ELj1ELj32ELb1ELb0ELb1EEEvllPKT_S7_PKT0_SA_PS5_SB_,comdat
	.globl	_ZN2at6native12_GLOBAL__N_135GammaBetaBackwardCUDAKernelTemplateIN3c104HalfEfLj32ELj1ELj32ELb1ELb0ELb1EEEvllPKT_S7_PKT0_SA_PS5_SB_ ; -- Begin function _ZN2at6native12_GLOBAL__N_135GammaBetaBackwardCUDAKernelTemplateIN3c104HalfEfLj32ELj1ELj32ELb1ELb0ELb1EEEvllPKT_S7_PKT0_SA_PS5_SB_
	.p2align	8
	.type	_ZN2at6native12_GLOBAL__N_135GammaBetaBackwardCUDAKernelTemplateIN3c104HalfEfLj32ELj1ELj32ELb1ELb0ELb1EEEvllPKT_S7_PKT0_SA_PS5_SB_,@function
_ZN2at6native12_GLOBAL__N_135GammaBetaBackwardCUDAKernelTemplateIN3c104HalfEfLj32ELj1ELj32ELb1ELb0ELb1EEEvllPKT_S7_PKT0_SA_PS5_SB_: ; @_ZN2at6native12_GLOBAL__N_135GammaBetaBackwardCUDAKernelTemplateIN3c104HalfEfLj32ELj1ELj32ELb1ELb0ELb1EEEvllPKT_S7_PKT0_SA_PS5_SB_
; %bb.0:
	s_load_b256 s[4:11], s[0:1], 0x0
	s_bfe_u32 s3, ttmp6, 0x4000c
	s_bfe_u32 s12, ttmp6, 0x40010
	s_add_co_i32 s3, s3, 1
	s_add_co_i32 s12, s12, 1
	s_and_b32 s2, ttmp6, 15
	s_bfe_u32 s13, ttmp6, 0x40004
	s_mul_i32 s3, ttmp9, s3
	s_mul_i32 s12, ttmp7, s12
	s_getreg_b32 s14, hwreg(HW_REG_IB_STS2, 6, 4)
	s_add_co_i32 s2, s2, s3
	s_add_co_i32 s13, s13, s12
	s_cmp_eq_u32 s14, 0
	s_mov_b32 s17, 0
	s_cselect_b32 s12, ttmp9, s2
	s_cselect_b32 s30, ttmp7, s13
	s_lshl_b32 s13, s12, 5
	s_load_b64 s[14:15], s[0:1], 0x28
	s_or_b32 s16, s13, 31
	s_wait_kmcnt 0x0
	v_cmp_le_i64_e64 s2, s[6:7], s[16:17]
	s_lshl_b32 s16, s30, 5
	s_delay_alu instid0(SALU_CYCLE_1) | instskip(SKIP_2) | instid1(VALU_DEP_1)
	v_cmp_gt_i64_e64 s31, s[4:5], s[16:17]
	s_and_b32 vcc_lo, exec_lo, s2
	v_cndmask_b32_e64 v1, 0, 1, s31
	v_cmp_ne_u32_e64 s2, 1, v1
	s_cbranch_vccz .LBB176_141
; %bb.1:
	s_set_vgpr_msb 64                       ;  msbs: dst=1 src0=0 src1=0 src2=0
	v_mov_b32_e32 v38 /*v294*/, 0
	s_and_b32 vcc_lo, exec_lo, s2
	s_set_vgpr_msb 0                        ;  msbs: dst=0 src0=0 src1=0 src2=0
	s_cbranch_vccnz .LBB176_142
; %bb.2:
	v_bfe_u32 v1, v0, 10, 10
	v_mov_b32_e32 v2, 0
	v_and_b32_e32 v182, 0x3ff, v0
	s_load_b32 s3, s[0:1], 0x44
	s_mov_b32 s19, 0
	s_delay_alu instid0(VALU_DEP_2) | instskip(NEXT) | instid1(VALU_DEP_2)
	v_dual_mov_b32 v37, v2 :: v_dual_lshlrev_b32 v36, 5, v1
	v_dual_mov_b32 v9, v2 :: v_dual_add_nc_u32 v8, s13, v182
	v_mov_b32_e32 v183, 0
	s_mov_b32 s23, s19
	s_delay_alu instid0(VALU_DEP_3)
	v_add_nc_u64_e32 v[4:5], s[16:17], v[36:37]
	s_add_nc_u64 s[20:21], s[0:1], 64
	v_cmp_gt_i64_e64 s2, s[6:7], v[8:9]
	v_lshlrev_b64_e32 v[38:39], 1, v[8:9]
	s_mov_b64 s[26:27], 31
	s_mov_b64 s[28:29], s[16:17]
	v_add_nc_u64_e32 v[10:11], 31, v[4:5]
	v_add_nc_u64_e32 v[14:15], 29, v[4:5]
	;; [unrolled: 1-line block ×7, first 2 shown]
	v_mul_u64_e32 v[10:11], s[6:7], v[10:11]
	v_mul_u64_e32 v[14:15], s[6:7], v[14:15]
	;; [unrolled: 1-line block ×6, first 2 shown]
	v_add_nc_u64_e32 v[18:19], 27, v[4:5]
	v_add_nc_u64_e32 v[22:23], 25, v[4:5]
	;; [unrolled: 1-line block ×3, first 2 shown]
	v_mul_u64_e32 v[24:25], s[6:7], v[24:25]
	v_add_nc_u64_e32 v[30:31], 20, v[4:5]
	v_add_nc_u64_e32 v[32:33], 19, v[4:5]
	;; [unrolled: 1-line block ×3, first 2 shown]
	v_mul_u64_e32 v[18:19], s[6:7], v[18:19]
	v_mul_u64_e32 v[22:23], s[6:7], v[22:23]
	;; [unrolled: 1-line block ×3, first 2 shown]
	v_add_nc_u64_e32 v[20:21], 26, v[4:5]
	v_mul_u64_e32 v[30:31], s[6:7], v[30:31]
	v_mul_u64_e32 v[32:33], s[6:7], v[32:33]
	;; [unrolled: 1-line block ×4, first 2 shown]
	s_wait_kmcnt 0x0
	s_lshl_b32 s22, s3, 5
	v_mul_u64_e32 v[20:21], s[6:7], v[20:21]
	s_mul_u64 s[24:25], s[6:7], s[22:23]
	s_delay_alu instid0(SALU_CYCLE_1)
	s_lshl_b64 s[24:25], s[24:25], 1
	v_lshlrev_b64_e32 v[10:11], 1, v[10:11]
	v_lshlrev_b64_e32 v[14:15], 1, v[14:15]
	v_lshlrev_b64_e32 v[16:17], 1, v[16:17]
	v_lshlrev_b64_e32 v[8:9], 1, v[8:9]
	v_lshlrev_b64_e32 v[12:13], 1, v[12:13]
	v_add_nc_u64_e32 v[44:45], s[8:9], v[10:11]
	v_add_nc_u64_e32 v[46:47], s[10:11], v[10:11]
	;; [unrolled: 1-line block ×8, first 2 shown]
	v_lshlrev_b64_e32 v[16:17], 1, v[26:27]
	v_mul_u64_e32 v[10:11], s[6:7], v[10:11]
	v_add_nc_u64_e32 v[76:77], s[8:9], v[8:9]
	v_add_nc_u64_e32 v[78:79], s[10:11], v[8:9]
	;; [unrolled: 1-line block ×4, first 2 shown]
	v_mul_u64_e32 v[8:9], s[6:7], v[14:15]
	v_add_nc_u64_e32 v[80:81], s[8:9], v[16:17]
	v_add_nc_u64_e32 v[82:83], s[10:11], v[16:17]
	;; [unrolled: 1-line block ×3, first 2 shown]
	v_lshlrev_b64_e32 v[12:13], 1, v[24:25]
	v_lshlrev_b64_e32 v[18:19], 1, v[18:19]
	;; [unrolled: 1-line block ×3, first 2 shown]
	v_add_nc_u64_e32 v[14:15], 15, v[4:5]
	v_add_nc_u64_e32 v[24:25], 11, v[4:5]
	;; [unrolled: 1-line block ×3, first 2 shown]
	v_mul_u64_e32 v[16:17], s[6:7], v[16:17]
	v_add_nc_u64_e32 v[72:73], s[8:9], v[12:13]
	v_add_nc_u64_e32 v[74:75], s[10:11], v[12:13]
	v_lshlrev_b64_e32 v[12:13], 1, v[28:29]
	v_add_nc_u64_e32 v[60:61], s[8:9], v[18:19]
	v_add_nc_u64_e32 v[62:63], s[10:11], v[18:19]
	;; [unrolled: 1-line block ×4, first 2 shown]
	v_lshlrev_b64_e32 v[18:19], 1, v[30:31]
	v_lshlrev_b64_e32 v[22:23], 1, v[34:35]
	v_add_nc_u64_e32 v[84:85], s[8:9], v[12:13]
	v_add_nc_u64_e32 v[86:87], s[10:11], v[12:13]
	v_lshlrev_b64_e32 v[12:13], 1, v[32:33]
	v_lshlrev_b64_e32 v[20:21], 1, v[20:21]
	v_mul_u64_e32 v[14:15], s[6:7], v[14:15]
	v_add_nc_u64_e32 v[88:89], s[8:9], v[18:19]
	v_add_nc_u64_e32 v[90:91], s[10:11], v[18:19]
	v_add_nc_u64_e32 v[18:19], 12, v[4:5]
	v_add_nc_u64_e32 v[96:97], s[8:9], v[22:23]
	v_add_nc_u64_e32 v[92:93], s[8:9], v[12:13]
	v_add_nc_u64_e32 v[94:95], s[10:11], v[12:13]
	v_add_nc_u64_e32 v[12:13], 10, v[4:5]
	v_mul_u64_e32 v[24:25], s[6:7], v[24:25]
	v_lshlrev_b64_e32 v[10:11], 1, v[10:11]
	v_add_nc_u64_e32 v[28:29], 8, v[4:5]
	v_add_nc_u64_e32 v[98:99], s[10:11], v[22:23]
	v_mul_u64_e32 v[22:23], s[6:7], v[26:27]
	v_add_nc_u64_e32 v[26:27], 6, v[4:5]
	v_add_nc_u64_e32 v[64:65], s[8:9], v[20:21]
	;; [unrolled: 1-line block ×4, first 2 shown]
	v_mul_u64_e32 v[18:19], s[6:7], v[18:19]
	v_mul_u64_e32 v[12:13], s[6:7], v[12:13]
	v_add_nc_u64_e32 v[30:31], 7, v[4:5]
	v_lshlrev_b64_e32 v[8:9], 1, v[8:9]
	v_mul_u64_e32 v[28:29], s[6:7], v[28:29]
	v_add_nc_u64_e32 v[100:101], s[8:9], v[10:11]
	v_add_nc_u64_e32 v[32:33], 5, v[4:5]
	;; [unrolled: 1-line block ×3, first 2 shown]
	v_mul_u64_e32 v[10:11], s[6:7], v[26:27]
	v_add_nc_u64_e32 v[26:27], 4, v[4:5]
	v_add_nc_u64_e32 v[34:35], 3, v[4:5]
	;; [unrolled: 1-line block ×3, first 2 shown]
	v_mul_u64_e32 v[20:21], s[6:7], v[20:21]
	v_mul_u64_e32 v[30:31], s[6:7], v[30:31]
	v_add_nc_u64_e32 v[104:105], s[8:9], v[8:9]
	v_mul_u64_e32 v[32:33], s[6:7], v[32:33]
	v_add_nc_u64_e32 v[106:107], s[10:11], v[8:9]
	v_lshlrev_b64_e32 v[8:9], 1, v[16:17]
	v_mul_u64_e32 v[16:17], s[6:7], v[26:27]
	v_mul_u64_e32 v[26:27], s[6:7], v[34:35]
	;; [unrolled: 1-line block ×3, first 2 shown]
	v_lshlrev_b64_e32 v[14:15], 1, v[14:15]
	v_lshlrev_b64_e32 v[42:43], 1, v[6:7]
	v_add_nc_u64_e32 v[6:7], s[6:7], v[6:7]
	v_add_nc_u64_e32 v[112:113], s[8:9], v[8:9]
	;; [unrolled: 1-line block ×3, first 2 shown]
	v_lshlrev_b64_e32 v[8:9], 1, v[24:25]
	v_add_nc_u64_e32 v[108:109], s[8:9], v[14:15]
	v_add_nc_u64_e32 v[110:111], s[10:11], v[14:15]
	v_lshlrev_b64_e32 v[6:7], 1, v[6:7]
	v_add_nc_u64_e32 v[40:41], s[8:9], v[42:43]
	v_lshlrev_b64_e32 v[14:15], 1, v[18:19]
	v_lshlrev_b64_e32 v[12:13], 1, v[12:13]
	v_add_nc_u64_e32 v[124:125], s[8:9], v[8:9]
	v_add_nc_u64_e32 v[126:127], s[10:11], v[8:9]
	v_lshlrev_b64_e32 v[8:9], 1, v[28:29]
	v_add_nc_u64_e32 v[42:43], s[10:11], v[42:43]
	v_add_nc_u64_e32 v[164:165], s[8:9], v[6:7]
	;; [unrolled: 1-line block ×3, first 2 shown]
	v_lshlrev_b64_e32 v[10:11], 1, v[10:11]
	v_add_nc_u64_e32 v[122:123], s[10:11], v[14:15]
	v_lshlrev_b64_e32 v[14:15], 1, v[22:23]
	v_add_nc_u64_e32 v[128:129], s[8:9], v[12:13]
	v_lshlrev_b64_e32 v[20:21], 1, v[20:21]
	v_lshlrev_b64_e32 v[18:19], 1, v[30:31]
	v_add_nc_u64_e32 v[130:131], s[10:11], v[12:13]
	v_add_nc_u64_e32 v[136:137], s[8:9], v[8:9]
	;; [unrolled: 1-line block ×3, first 2 shown]
	v_lshlrev_b64_e32 v[8:9], 1, v[32:33]
	v_add_nc_u64_e32 v[144:145], s[8:9], v[10:11]
	v_lshlrev_b64_e32 v[12:13], 1, v[16:17]
	v_add_nc_u64_e32 v[146:147], s[10:11], v[10:11]
	v_lshlrev_b64_e32 v[10:11], 1, v[26:27]
	v_lshlrev_b64_e32 v[4:5], 1, v[4:5]
	v_add_nc_u64_e32 v[116:117], s[8:9], v[20:21]
	v_add_nc_u64_e32 v[118:119], s[10:11], v[20:21]
	;; [unrolled: 1-line block ×15, first 2 shown]
.LBB176_3:                              ; =>This Inner Loop Header: Depth=1
	s_add_nc_u64 s[34:35], s[16:17], s[26:27]
	v_add_nc_u64_e32 v[168:169], s[16:17], v[36:37]
	v_cmp_ge_i64_e64 s3, s[34:35], s[4:5]
                                        ; implicit-def: $vgpr294
                                        ; implicit-def: $vgpr203
                                        ; implicit-def: $vgpr4_vgpr5_vgpr6_vgpr7_vgpr8_vgpr9_vgpr10_vgpr11_vgpr12_vgpr13_vgpr14_vgpr15_vgpr16_vgpr17_vgpr18_vgpr19_vgpr20_vgpr21_vgpr22_vgpr23_vgpr24_vgpr25_vgpr26_vgpr27_vgpr28_vgpr29_vgpr30_vgpr31_vgpr32_vgpr33_vgpr34_vgpr35
                                        ; implicit-def: $vgpr3
	s_and_b32 vcc_lo, exec_lo, s3
	s_mov_b32 s3, -1
	s_cbranch_vccz .LBB176_71
; %bb.4:                                ;   in Loop: Header=BB176_3 Depth=1
	s_load_b32 s3, s[20:21], 0xc
	v_dual_mov_b32 v185, 0 :: v_dual_mov_b32 v184, 0
	v_mov_b32_e32 v5, v2
	s_wait_kmcnt 0x0
	s_and_b32 s3, s3, 0xffff
	s_delay_alu instid0(SALU_CYCLE_1) | instskip(SKIP_1) | instid1(VALU_DEP_1)
	v_mad_u32_u24 v3, v1, s3, v182
	s_mov_b32 s3, exec_lo
	v_and_b32_e32 v4, 31, v3
	s_delay_alu instid0(VALU_DEP_1) | instskip(NEXT) | instid1(VALU_DEP_1)
	v_add_nc_u64_e32 v[4:5], v[168:169], v[4:5]
	v_cmpx_gt_i64_e64 s[4:5], v[4:5]
	s_cbranch_execz .LBB176_6
; %bb.5:                                ;   in Loop: Header=BB176_3 Depth=1
	v_lshl_add_u64 v[4:5], v[4:5], 2, s[14:15]
	global_load_b32 v184, v[4:5], off
.LBB176_6:                              ;   in Loop: Header=BB176_3 Depth=1
	s_wait_xcnt 0x0
	s_or_b32 exec_lo, exec_lo, s3
	v_dual_mov_b32 v31, v2 :: v_dual_mov_b32 v32, v2
	v_dual_mov_b32 v33, v2 :: v_dual_mov_b32 v3, v2
	;; [unrolled: 1-line block ×15, first 2 shown]
	v_mov_b32_e32 v30, v2
	v_cmp_gt_i64_e32 vcc_lo, s[4:5], v[168:169]
	v_mov_b64_e32 v[34:35], v[32:33]
	s_delay_alu instid0(VALU_DEP_3)
	v_mov_b64_e32 v[32:33], v[30:31]
	v_mov_b64_e32 v[30:31], v[28:29]
	;; [unrolled: 1-line block ×15, first 2 shown]
	s_and_b32 s18, s2, vcc_lo
	s_delay_alu instid0(SALU_CYCLE_1)
	s_and_saveexec_b32 s3, s18
	s_cbranch_execz .LBB176_8
; %bb.7:                                ;   in Loop: Header=BB176_3 Depth=1
	v_add_nc_u64_e32 v[4:5], v[40:41], v[38:39]
	v_add_nc_u64_e32 v[6:7], v[42:43], v[38:39]
	v_dual_mov_b32 v9, v2 :: v_dual_mov_b32 v10, v2
	v_dual_mov_b32 v11, v2 :: v_dual_mov_b32 v12, v2
	;; [unrolled: 1-line block ×3, first 2 shown]
	global_load_u16 v3, v[4:5], off
	global_load_u16 v170, v[6:7], off
	s_wait_xcnt 0x0
	v_dual_mov_b32 v5, v2 :: v_dual_mov_b32 v6, v2
	v_dual_mov_b32 v7, v2 :: v_dual_mov_b32 v8, v2
	;; [unrolled: 1-line block ×12, first 2 shown]
	v_mov_b32_e32 v35, v2
	s_wait_loadcnt 0x1
	v_cvt_f32_f16_e32 v4, v3
	s_wait_loadcnt 0x0
	v_cvt_f32_f16_e64 v185, v170
.LBB176_8:                              ;   in Loop: Header=BB176_3 Depth=1
	s_or_b32 exec_lo, exec_lo, s3
	v_add_nc_u64_e32 v[170:171], 1, v[168:169]
	v_dual_mov_b32 v3, 0 :: v_dual_mov_b32 v186, 0
	s_delay_alu instid0(VALU_DEP_2) | instskip(SKIP_1) | instid1(SALU_CYCLE_1)
	v_cmp_gt_i64_e32 vcc_lo, s[4:5], v[170:171]
	s_and_b32 s18, s2, vcc_lo
	s_and_saveexec_b32 s3, s18
	s_cbranch_execz .LBB176_10
; %bb.9:                                ;   in Loop: Header=BB176_3 Depth=1
	v_add_nc_u64_e32 v[170:171], v[164:165], v[38:39]
	v_add_nc_u64_e32 v[172:173], v[166:167], v[38:39]
	global_load_u16 v5, v[170:171], off
	global_load_u16 v174, v[172:173], off
	s_wait_loadcnt 0x1
	v_cvt_f32_f16_e32 v5, v5
	s_wait_loadcnt 0x0
	v_cvt_f32_f16_e64 v186, v174
.LBB176_10:                             ;   in Loop: Header=BB176_3 Depth=1
	s_or_b32 exec_lo, exec_lo, s3
	v_add_nc_u64_e32 v[170:171], 2, v[168:169]
	s_delay_alu instid0(VALU_DEP_1) | instskip(SKIP_1) | instid1(SALU_CYCLE_1)
	v_cmp_gt_i64_e32 vcc_lo, s[4:5], v[170:171]
	s_and_b32 s18, s2, vcc_lo
	s_and_saveexec_b32 s3, s18
	s_cbranch_execz .LBB176_12
; %bb.11:                               ;   in Loop: Header=BB176_3 Depth=1
	v_add_nc_u64_e32 v[170:171], v[160:161], v[38:39]
	v_add_nc_u64_e32 v[172:173], v[162:163], v[38:39]
	global_load_u16 v3, v[170:171], off
	global_load_u16 v174, v[172:173], off
	s_wait_loadcnt 0x1
	v_cvt_f32_f16_e32 v6, v3
	s_wait_loadcnt 0x0
	v_cvt_f32_f16_e64 v3, v174
.LBB176_12:                             ;   in Loop: Header=BB176_3 Depth=1
	s_or_b32 exec_lo, exec_lo, s3
	v_add_nc_u64_e32 v[170:171], 3, v[168:169]
	v_dual_mov_b32 v187, 0 :: v_dual_mov_b32 v188, 0
	s_delay_alu instid0(VALU_DEP_2) | instskip(SKIP_1) | instid1(SALU_CYCLE_1)
	v_cmp_gt_i64_e32 vcc_lo, s[4:5], v[170:171]
	s_and_b32 s18, s2, vcc_lo
	s_and_saveexec_b32 s3, s18
	s_cbranch_execz .LBB176_14
; %bb.13:                               ;   in Loop: Header=BB176_3 Depth=1
	v_add_nc_u64_e32 v[170:171], v[156:157], v[38:39]
	v_add_nc_u64_e32 v[172:173], v[158:159], v[38:39]
	global_load_u16 v7, v[170:171], off
	global_load_u16 v174, v[172:173], off
	s_wait_loadcnt 0x1
	v_cvt_f32_f16_e32 v7, v7
	s_wait_loadcnt 0x0
	v_cvt_f32_f16_e64 v188, v174
.LBB176_14:                             ;   in Loop: Header=BB176_3 Depth=1
	s_or_b32 exec_lo, exec_lo, s3
	v_add_nc_u64_e32 v[170:171], 4, v[168:169]
	s_delay_alu instid0(VALU_DEP_1) | instskip(SKIP_1) | instid1(SALU_CYCLE_1)
	v_cmp_gt_i64_e32 vcc_lo, s[4:5], v[170:171]
	s_and_b32 s18, s2, vcc_lo
	s_and_saveexec_b32 s3, s18
	s_cbranch_execz .LBB176_16
; %bb.15:                               ;   in Loop: Header=BB176_3 Depth=1
	v_add_nc_u64_e32 v[170:171], v[152:153], v[38:39]
	v_add_nc_u64_e32 v[172:173], v[154:155], v[38:39]
	global_load_u16 v8, v[170:171], off
	global_load_u16 v174, v[172:173], off
	s_wait_loadcnt 0x1
	v_cvt_f32_f16_e32 v8, v8
	s_wait_loadcnt 0x0
	v_cvt_f32_f16_e64 v187, v174
.LBB176_16:                             ;   in Loop: Header=BB176_3 Depth=1
	s_or_b32 exec_lo, exec_lo, s3
	v_add_nc_u64_e32 v[170:171], 5, v[168:169]
	v_dual_mov_b32 v189, 0 :: v_dual_mov_b32 v190, 0
	s_delay_alu instid0(VALU_DEP_2) | instskip(SKIP_1) | instid1(SALU_CYCLE_1)
	v_cmp_gt_i64_e32 vcc_lo, s[4:5], v[170:171]
	s_and_b32 s18, s2, vcc_lo
	s_and_saveexec_b32 s3, s18
	s_cbranch_execz .LBB176_18
; %bb.17:                               ;   in Loop: Header=BB176_3 Depth=1
	v_add_nc_u64_e32 v[170:171], v[148:149], v[38:39]
	v_add_nc_u64_e32 v[172:173], v[150:151], v[38:39]
	global_load_u16 v9, v[170:171], off
	global_load_u16 v174, v[172:173], off
	s_wait_loadcnt 0x1
	v_cvt_f32_f16_e32 v9, v9
	s_wait_loadcnt 0x0
	v_cvt_f32_f16_e64 v190, v174
.LBB176_18:                             ;   in Loop: Header=BB176_3 Depth=1
	;; [unrolled: 35-line block ×8, first 2 shown]
	s_or_b32 exec_lo, exec_lo, s3
	v_add_nc_u64_e32 v[170:171], 18, v[168:169]
	s_delay_alu instid0(VALU_DEP_1) | instskip(SKIP_1) | instid1(SALU_CYCLE_1)
	v_cmp_gt_i64_e32 vcc_lo, s[4:5], v[170:171]
	s_and_b32 s18, s2, vcc_lo
	s_and_saveexec_b32 s3, s18
	s_cbranch_execz .LBB176_44
; %bb.43:                               ;   in Loop: Header=BB176_3 Depth=1
	v_add_nc_u64_e32 v[170:171], v[96:97], v[38:39]
	v_add_nc_u64_e32 v[172:173], v[98:99], v[38:39]
	global_load_u16 v22, v[170:171], off
	global_load_u16 v174, v[172:173], off
	s_wait_loadcnt 0x1
	v_cvt_f32_f16_e32 v22, v22
	s_wait_loadcnt 0x0
	v_cvt_f32_f16_e64 v201, v174
.LBB176_44:                             ;   in Loop: Header=BB176_3 Depth=1
	s_or_b32 exec_lo, exec_lo, s3
	v_add_nc_u64_e32 v[170:171], 19, v[168:169]
	s_delay_alu instid0(VALU_DEP_1) | instskip(SKIP_2) | instid1(SALU_CYCLE_1)
	v_cmp_gt_i64_e32 vcc_lo, s[4:5], v[170:171]
	v_dual_mov_b32 v171, 0 :: v_dual_mov_b32 v170, 0
	s_and_b32 s18, s2, vcc_lo
	s_and_saveexec_b32 s3, s18
	s_cbranch_execz .LBB176_46
; %bb.45:                               ;   in Loop: Header=BB176_3 Depth=1
	v_add_nc_u64_e32 v[172:173], v[92:93], v[38:39]
	v_add_nc_u64_e32 v[174:175], v[94:95], v[38:39]
	global_load_u16 v23, v[172:173], off
	global_load_u16 v170, v[174:175], off
	s_wait_loadcnt 0x1
	v_cvt_f32_f16_e32 v23, v23
	s_wait_loadcnt 0x0
	v_cvt_f32_f16_e64 v170, v170
.LBB176_46:                             ;   in Loop: Header=BB176_3 Depth=1
	s_or_b32 exec_lo, exec_lo, s3
	v_add_nc_u64_e32 v[172:173], 20, v[168:169]
	s_delay_alu instid0(VALU_DEP_1) | instskip(SKIP_1) | instid1(SALU_CYCLE_1)
	v_cmp_gt_i64_e32 vcc_lo, s[4:5], v[172:173]
	s_and_b32 s18, s2, vcc_lo
	s_and_saveexec_b32 s3, s18
	s_cbranch_execz .LBB176_48
; %bb.47:                               ;   in Loop: Header=BB176_3 Depth=1
	v_add_nc_u64_e32 v[172:173], v[88:89], v[38:39]
	v_add_nc_u64_e32 v[174:175], v[90:91], v[38:39]
	global_load_u16 v24, v[172:173], off
	global_load_u16 v171, v[174:175], off
	s_wait_loadcnt 0x1
	v_cvt_f32_f16_e32 v24, v24
	s_wait_loadcnt 0x0
	v_cvt_f32_f16_e64 v171, v171
.LBB176_48:                             ;   in Loop: Header=BB176_3 Depth=1
	s_or_b32 exec_lo, exec_lo, s3
	v_add_nc_u64_e32 v[172:173], 21, v[168:169]
	s_delay_alu instid0(VALU_DEP_1) | instskip(SKIP_2) | instid1(SALU_CYCLE_1)
	v_cmp_gt_i64_e32 vcc_lo, s[4:5], v[172:173]
	v_dual_mov_b32 v173, 0 :: v_dual_mov_b32 v172, 0
	s_and_b32 s18, s2, vcc_lo
	s_and_saveexec_b32 s3, s18
	s_cbranch_execz .LBB176_50
; %bb.49:                               ;   in Loop: Header=BB176_3 Depth=1
	v_add_nc_u64_e32 v[174:175], v[84:85], v[38:39]
	v_add_nc_u64_e32 v[176:177], v[86:87], v[38:39]
	global_load_u16 v25, v[174:175], off
	global_load_u16 v172, v[176:177], off
	s_wait_loadcnt 0x1
	v_cvt_f32_f16_e32 v25, v25
	s_wait_loadcnt 0x0
	v_cvt_f32_f16_e64 v172, v172
.LBB176_50:                             ;   in Loop: Header=BB176_3 Depth=1
	;; [unrolled: 35-line block ×6, first 2 shown]
	s_or_b32 exec_lo, exec_lo, s3
	v_add_nc_u64_e32 v[204:205], 30, v[168:169]
	s_delay_alu instid0(VALU_DEP_1) | instskip(SKIP_1) | instid1(SALU_CYCLE_1)
	v_cmp_gt_i64_e32 vcc_lo, s[4:5], v[204:205]
	s_and_b32 s18, s2, vcc_lo
	s_and_saveexec_b32 s3, s18
	s_cbranch_execz .LBB176_68
; %bb.67:                               ;   in Loop: Header=BB176_3 Depth=1
	v_add_nc_u64_e32 v[204:205], v[48:49], v[38:39]
	v_add_nc_u64_e32 v[206:207], v[50:51], v[38:39]
	global_load_u16 v34, v[204:205], off
	global_load_u16 v181, v[206:207], off
	s_wait_loadcnt 0x1
	v_cvt_f32_f16_e32 v34, v34
	s_wait_loadcnt 0x0
	v_cvt_f32_f16_e64 v181, v181
.LBB176_68:                             ;   in Loop: Header=BB176_3 Depth=1
	s_or_b32 exec_lo, exec_lo, s3
	v_add_nc_u64_e32 v[204:205], 31, v[168:169]
	v_mov_b32_e32 v203, 0
	s_delay_alu instid0(VALU_DEP_2) | instskip(SKIP_1) | instid1(SALU_CYCLE_1)
	v_cmp_gt_i64_e32 vcc_lo, s[4:5], v[204:205]
	s_and_b32 s18, s2, vcc_lo
	s_and_saveexec_b32 s3, s18
	s_cbranch_execz .LBB176_70
; %bb.69:                               ;   in Loop: Header=BB176_3 Depth=1
	v_add_nc_u64_e32 v[204:205], v[44:45], v[38:39]
	v_add_nc_u64_e32 v[206:207], v[46:47], v[38:39]
	global_load_u16 v35, v[204:205], off
	global_load_u16 v203, v[206:207], off
	s_wait_loadcnt 0x1
	v_cvt_f32_f16_e32 v35, v35
	s_wait_loadcnt 0x0
	v_cvt_f32_f16_e64 v203, v203
.LBB176_70:                             ;   in Loop: Header=BB176_3 Depth=1
	s_or_b32 exec_lo, exec_lo, s3
	s_wait_loadcnt 0x0
	ds_bpermute_b32 v204, v2, v184
	ds_bpermute_b32 v205, v2, v184 offset:4
	ds_bpermute_b32 v206, v2, v184 offset:8
	v_dual_mul_f32 v4, v185, v4 :: v_dual_mul_f32 v5, v186, v5
	ds_bpermute_b32 v185, v2, v184 offset:12
	ds_bpermute_b32 v186, v2, v184 offset:16
	s_mov_b32 s3, 0
	v_mul_f32_e32 v3, v3, v6
	ds_bpermute_b32 v6, v2, v184 offset:24
	s_wait_dscnt 0x5
	v_fma_f32 v204, v4, v204, v183
	ds_bpermute_b32 v4, v2, v184 offset:20
	s_wait_dscnt 0x5
	v_dual_fmac_f32 v204, v5, v205 :: v_dual_mul_f32 v5, v188, v7
	ds_bpermute_b32 v7, v2, v184 offset:28
	s_wait_dscnt 0x5
	v_fmac_f32_e32 v204, v3, v206
	v_mul_f32_e32 v3, v187, v8
	ds_bpermute_b32 v8, v2, v184 offset:32
	s_wait_dscnt 0x5
	v_fmac_f32_e32 v204, v5, v185
	v_mul_f32_e32 v5, v190, v9
	ds_bpermute_b32 v9, v2, v184 offset:36
	s_wait_dscnt 0x5
	v_fmac_f32_e32 v204, v3, v186
	s_wait_dscnt 0x3
	s_delay_alu instid0(VALU_DEP_1)
	v_dual_fmac_f32 v204, v5, v4 :: v_dual_mul_f32 v4, v192, v11
	v_mul_f32_e32 v3, v189, v10
	ds_bpermute_b32 v5, v2, v184 offset:40
	ds_bpermute_b32 v10, v2, v184 offset:60
	;; [unrolled: 1-line block ×3, first 2 shown]
	v_fmac_f32_e32 v204, v3, v6
	ds_bpermute_b32 v6, v2, v184 offset:44
	s_wait_dscnt 0x6
	v_dual_fmac_f32 v204, v4, v7 :: v_dual_mul_f32 v4, v194, v13
	v_mul_f32_e32 v3, v191, v12
	ds_bpermute_b32 v7, v2, v184 offset:48
	ds_bpermute_b32 v12, v2, v184 offset:68
	s_wait_dscnt 0x7
	v_dual_mul_f32 v13, v202, v21 :: v_dual_fmac_f32 v204, v3, v8
	v_mul_f32_e32 v3, v193, v14
	ds_bpermute_b32 v8, v2, v184 offset:52
	ds_bpermute_b32 v14, v2, v184 offset:72
	s_wait_dscnt 0x8
	v_fmac_f32_e32 v204, v4, v9
	v_mul_f32_e32 v4, v196, v15
	ds_bpermute_b32 v9, v2, v184 offset:56
	ds_bpermute_b32 v15, v2, v184 offset:104
	s_wait_dscnt 0x9
	v_fmac_f32_e32 v204, v3, v5
	v_mul_f32_e32 v3, v195, v16
	ds_bpermute_b32 v5, v2, v184 offset:80
	s_wait_dscnt 0x7
	v_dual_fmac_f32 v204, v4, v6 :: v_dual_mul_f32 v4, v198, v17
	s_wait_dscnt 0x6
	s_delay_alu instid0(VALU_DEP_1) | instskip(SKIP_2) | instid1(VALU_DEP_2)
	v_dual_fmac_f32 v204, v3, v7 :: v_dual_mul_f32 v3, v197, v18
	v_mov_b32_e32 v7, v24
	s_wait_dscnt 0x4
	v_fmac_f32_e32 v204, v4, v8
	v_mul_f32_e32 v6, v200, v19
	ds_bpermute_b32 v4, v2, v184 offset:76
	ds_bpermute_b32 v8, v2, v184 offset:84
	s_wait_dscnt 0x4
	v_fmac_f32_e32 v204, v3, v9
	v_mul_f32_e32 v3, v199, v20
	ds_bpermute_b32 v9, v2, v184 offset:88
	v_dual_fmac_f32 v204, v6, v10 :: v_dual_mov_b32 v6, v23
	s_delay_alu instid0(VALU_DEP_1) | instskip(SKIP_1) | instid1(VALU_DEP_3)
	v_dual_mov_b32 v10, v25 :: v_dual_fmac_f32 v204, v3, v11
	v_mul_f32_e32 v3, v201, v22
	v_pk_mul_f32 v[6:7], v[170:171], v[6:7]
	s_delay_alu instid0(VALU_DEP_3)
	v_dual_mov_b32 v11, v26 :: v_dual_fmac_f32 v204, v13, v12
	ds_bpermute_b32 v12, v2, v184 offset:92
	ds_bpermute_b32 v13, v2, v184 offset:96
	s_wait_dscnt 0x4
	v_pk_mul_f32 v[4:5], v[6:7], v[4:5]
	v_mov_b32_e32 v6, v27
	v_dual_fmac_f32 v204, v3, v14 :: v_dual_mov_b32 v7, v28
	v_pk_mul_f32 v[10:11], v[172:173], v[10:11]
	ds_bpermute_b32 v14, v2, v184 offset:100
	v_dual_add_f32 v3, v204, v4 :: v_dual_mov_b32 v4, v29
	s_wait_dscnt 0x3
	v_pk_mul_f32 v[8:9], v[10:11], v[8:9]
	ds_bpermute_b32 v10, v2, v184 offset:108
	ds_bpermute_b32 v11, v2, v184 offset:112
	v_dual_add_f32 v3, v3, v5 :: v_dual_mov_b32 v5, v30
	v_pk_mul_f32 v[6:7], v[174:175], v[6:7]
	s_delay_alu instid0(VALU_DEP_2) | instskip(SKIP_2) | instid1(VALU_DEP_3)
	v_add_f32_e32 v3, v3, v8
	v_mov_b32_e32 v8, v31
	s_wait_dscnt 0x3
	v_pk_mul_f32 v[6:7], v[6:7], v[12:13]
	v_pk_mul_f32 v[4:5], v[176:177], v[4:5]
	v_dual_add_f32 v3, v3, v9 :: v_dual_mov_b32 v9, v32
	s_wait_dscnt 0x2
	s_delay_alu instid0(VALU_DEP_2) | instskip(NEXT) | instid1(VALU_DEP_2)
	v_pk_mul_f32 v[4:5], v[4:5], v[14:15]
	v_add_f32_e32 v3, v3, v6
	s_delay_alu instid0(VALU_DEP_3)
	v_pk_mul_f32 v[8:9], v[178:179], v[8:9]
	ds_bpermute_b32 v6, v2, v184 offset:116
	s_wait_dscnt 0x1
	v_pk_mul_f32 v[8:9], v[8:9], v[10:11]
	v_add_f32_e32 v3, v3, v7
	ds_bpermute_b32 v7, v2, v184 offset:120
	v_dual_add_f32 v3, v3, v4 :: v_dual_mov_b32 v4, v33
	s_delay_alu instid0(VALU_DEP_1) | instskip(SKIP_3) | instid1(VALU_DEP_2)
	v_dual_add_f32 v10, v3, v5 :: v_dual_mov_b32 v5, v34
	ds_bpermute_b32 v3, v2, v184 offset:124
	v_add_f32_e32 v8, v10, v8
	v_pk_mul_f32 v[4:5], v[180:181], v[4:5]
	v_add_f32_e32 v8, v8, v9
	s_wait_dscnt 0x1
	s_delay_alu instid0(VALU_DEP_2) | instskip(NEXT) | instid1(VALU_DEP_1)
	v_pk_mul_f32 v[4:5], v[4:5], v[6:7]
	v_add_f32_e32 v4, v8, v4
	s_set_vgpr_msb 64                       ;  msbs: dst=1 src0=0 src1=0 src2=0
	s_delay_alu instid0(VALU_DEP_1)
	v_add_f32_e32 v38 /*v294*/, v4, v5
.LBB176_71:                             ;   in Loop: Header=BB176_3 Depth=1
	s_and_b32 vcc_lo, exec_lo, s3
	s_set_vgpr_msb 0                        ;  msbs: dst=0 src0=0 src1=0 src2=0
	s_cbranch_vccz .LBB176_137
; %bb.72:                               ;   in Loop: Header=BB176_3 Depth=1
	s_load_b32 s3, s[20:21], 0x0
	v_dual_mov_b32 v181, 0 :: v_dual_mov_b32 v180, 0
	v_mov_b32_e32 v5, v2
	s_wait_kmcnt 0x0
	s_cmp_lt_u32 s12, s3
	s_cselect_b32 s18, 12, 18
	s_delay_alu instid0(SALU_CYCLE_1)
	s_add_nc_u64 s[34:35], s[20:21], s[18:19]
	s_load_u16 s3, s[34:35], 0x0
	s_wait_dscnt 0x0
	s_wait_kmcnt 0x0
	v_mad_u32_u24 v3, v1, s3, v182
	s_mov_b32 s3, exec_lo
	s_delay_alu instid0(VALU_DEP_1) | instskip(NEXT) | instid1(VALU_DEP_1)
	v_and_b32_e32 v4, 31, v3
	v_add_nc_u64_e32 v[4:5], v[168:169], v[4:5]
	s_delay_alu instid0(VALU_DEP_1)
	v_cmpx_gt_i64_e64 s[4:5], v[4:5]
	s_cbranch_execz .LBB176_74
; %bb.73:                               ;   in Loop: Header=BB176_3 Depth=1
	v_lshl_add_u64 v[4:5], v[4:5], 2, s[14:15]
	global_load_b32 v180, v[4:5], off
.LBB176_74:                             ;   in Loop: Header=BB176_3 Depth=1
	s_wait_xcnt 0x0
	s_or_b32 exec_lo, exec_lo, s3
	v_dual_mov_b32 v31, v2 :: v_dual_mov_b32 v32, v2
	v_dual_mov_b32 v33, v2 :: v_dual_mov_b32 v3, v2
	;; [unrolled: 1-line block ×15, first 2 shown]
	v_mov_b32_e32 v30, v2
	v_mov_b64_e32 v[34:35], v[32:33]
	s_delay_alu instid0(VALU_DEP_2) | instskip(NEXT) | instid1(VALU_DEP_4)
	v_mov_b64_e32 v[32:33], v[30:31]
	v_mov_b64_e32 v[30:31], v[28:29]
	;; [unrolled: 1-line block ×15, first 2 shown]
	s_and_saveexec_b32 s3, s2
	s_cbranch_execz .LBB176_76
; %bb.75:                               ;   in Loop: Header=BB176_3 Depth=1
	v_add_nc_u64_e32 v[4:5], v[40:41], v[38:39]
	v_add_nc_u64_e32 v[6:7], v[42:43], v[38:39]
	v_dual_mov_b32 v9, v2 :: v_dual_mov_b32 v10, v2
	v_dual_mov_b32 v11, v2 :: v_dual_mov_b32 v12, v2
	v_dual_mov_b32 v13, v2 :: v_dual_mov_b32 v14, v2
	global_load_u16 v3, v[4:5], off
	global_load_u16 v168, v[6:7], off
	s_wait_xcnt 0x0
	v_dual_mov_b32 v5, v2 :: v_dual_mov_b32 v6, v2
	v_dual_mov_b32 v7, v2 :: v_dual_mov_b32 v8, v2
	;; [unrolled: 1-line block ×12, first 2 shown]
	v_mov_b32_e32 v35, v2
	s_wait_loadcnt 0x1
	v_cvt_f32_f16_e32 v4, v3
	s_wait_loadcnt 0x0
	v_cvt_f32_f16_e64 v181, v168
.LBB176_76:                             ;   in Loop: Header=BB176_3 Depth=1
	s_or_b32 exec_lo, exec_lo, s3
	v_dual_mov_b32 v3, 0 :: v_dual_mov_b32 v184, 0
	s_and_saveexec_b32 s3, s2
	s_cbranch_execz .LBB176_78
; %bb.77:                               ;   in Loop: Header=BB176_3 Depth=1
	v_add_nc_u64_e32 v[168:169], v[164:165], v[38:39]
	v_add_nc_u64_e32 v[170:171], v[166:167], v[38:39]
	global_load_u16 v5, v[168:169], off
	global_load_u16 v172, v[170:171], off
	s_wait_loadcnt 0x1
	v_cvt_f32_f16_e32 v5, v5
	s_wait_loadcnt 0x0
	v_cvt_f32_f16_e64 v184, v172
.LBB176_78:                             ;   in Loop: Header=BB176_3 Depth=1
	s_or_b32 exec_lo, exec_lo, s3
	s_and_saveexec_b32 s3, s2
	s_cbranch_execz .LBB176_80
; %bb.79:                               ;   in Loop: Header=BB176_3 Depth=1
	v_add_nc_u64_e32 v[168:169], v[160:161], v[38:39]
	v_add_nc_u64_e32 v[170:171], v[162:163], v[38:39]
	global_load_u16 v3, v[168:169], off
	global_load_u16 v172, v[170:171], off
	s_wait_loadcnt 0x1
	v_cvt_f32_f16_e32 v6, v3
	s_wait_loadcnt 0x0
	v_cvt_f32_f16_e64 v3, v172
.LBB176_80:                             ;   in Loop: Header=BB176_3 Depth=1
	s_or_b32 exec_lo, exec_lo, s3
	v_dual_mov_b32 v185, 0 :: v_dual_mov_b32 v186, 0
	s_and_saveexec_b32 s3, s2
	s_cbranch_execz .LBB176_82
; %bb.81:                               ;   in Loop: Header=BB176_3 Depth=1
	v_add_nc_u64_e32 v[168:169], v[156:157], v[38:39]
	v_add_nc_u64_e32 v[170:171], v[158:159], v[38:39]
	global_load_u16 v7, v[168:169], off
	global_load_u16 v172, v[170:171], off
	s_wait_loadcnt 0x1
	v_cvt_f32_f16_e32 v7, v7
	s_wait_loadcnt 0x0
	v_cvt_f32_f16_e64 v186, v172
.LBB176_82:                             ;   in Loop: Header=BB176_3 Depth=1
	s_or_b32 exec_lo, exec_lo, s3
	s_and_saveexec_b32 s3, s2
	s_cbranch_execz .LBB176_84
; %bb.83:                               ;   in Loop: Header=BB176_3 Depth=1
	v_add_nc_u64_e32 v[168:169], v[152:153], v[38:39]
	v_add_nc_u64_e32 v[170:171], v[154:155], v[38:39]
	global_load_u16 v8, v[168:169], off
	global_load_u16 v172, v[170:171], off
	s_wait_loadcnt 0x1
	v_cvt_f32_f16_e32 v8, v8
	s_wait_loadcnt 0x0
	v_cvt_f32_f16_e64 v185, v172
.LBB176_84:                             ;   in Loop: Header=BB176_3 Depth=1
	;; [unrolled: 27-line block ×5, first 2 shown]
	s_or_b32 exec_lo, exec_lo, s3
	v_dual_mov_b32 v193, 0 :: v_dual_mov_b32 v194, 0
	s_and_saveexec_b32 s3, s2
	s_cbranch_execz .LBB176_98
; %bb.97:                               ;   in Loop: Header=BB176_3 Depth=1
	v_add_nc_u64_e32 v[168:169], v[124:125], v[38:39]
	v_add_nc_u64_e32 v[170:171], v[126:127], v[38:39]
	global_load_u16 v15, v[168:169], off
	global_load_u16 v172, v[170:171], off
	s_wait_loadcnt 0x1
	v_cvt_f32_f16_e32 v15, v15
	s_wait_loadcnt 0x0
	v_cvt_f32_f16_e64 v194, v172
.LBB176_98:                             ;   in Loop: Header=BB176_3 Depth=1
	s_or_b32 exec_lo, exec_lo, s3
	s_and_saveexec_b32 s3, s2
	s_cbranch_execz .LBB176_100
; %bb.99:                               ;   in Loop: Header=BB176_3 Depth=1
	v_add_nc_u64_e32 v[168:169], v[120:121], v[38:39]
	v_add_nc_u64_e32 v[170:171], v[122:123], v[38:39]
	global_load_u16 v16, v[168:169], off
	global_load_u16 v172, v[170:171], off
	s_wait_loadcnt 0x1
	v_cvt_f32_f16_e32 v16, v16
	s_wait_loadcnt 0x0
	v_cvt_f32_f16_e64 v193, v172
.LBB176_100:                            ;   in Loop: Header=BB176_3 Depth=1
	s_or_b32 exec_lo, exec_lo, s3
	v_dual_mov_b32 v195, 0 :: v_dual_mov_b32 v196, 0
	s_and_saveexec_b32 s3, s2
	s_cbranch_execz .LBB176_102
; %bb.101:                              ;   in Loop: Header=BB176_3 Depth=1
	v_add_nc_u64_e32 v[168:169], v[116:117], v[38:39]
	v_add_nc_u64_e32 v[170:171], v[118:119], v[38:39]
	global_load_u16 v17, v[168:169], off
	global_load_u16 v172, v[170:171], off
	s_wait_loadcnt 0x1
	v_cvt_f32_f16_e32 v17, v17
	s_wait_loadcnt 0x0
	v_cvt_f32_f16_e64 v196, v172
.LBB176_102:                            ;   in Loop: Header=BB176_3 Depth=1
	s_or_b32 exec_lo, exec_lo, s3
	s_and_saveexec_b32 s3, s2
	s_cbranch_execz .LBB176_104
; %bb.103:                              ;   in Loop: Header=BB176_3 Depth=1
	v_add_nc_u64_e32 v[168:169], v[112:113], v[38:39]
	v_add_nc_u64_e32 v[170:171], v[114:115], v[38:39]
	global_load_u16 v18, v[168:169], off
	global_load_u16 v172, v[170:171], off
	s_wait_loadcnt 0x1
	v_cvt_f32_f16_e32 v18, v18
	s_wait_loadcnt 0x0
	v_cvt_f32_f16_e64 v195, v172
.LBB176_104:                            ;   in Loop: Header=BB176_3 Depth=1
	s_or_b32 exec_lo, exec_lo, s3
	v_dual_mov_b32 v197, 0 :: v_dual_mov_b32 v198, 0
	s_and_saveexec_b32 s3, s2
	s_cbranch_execz .LBB176_106
; %bb.105:                              ;   in Loop: Header=BB176_3 Depth=1
	v_add_nc_u64_e32 v[168:169], v[108:109], v[38:39]
	v_add_nc_u64_e32 v[170:171], v[110:111], v[38:39]
	global_load_u16 v19, v[168:169], off
	global_load_u16 v172, v[170:171], off
	s_wait_loadcnt 0x1
	v_cvt_f32_f16_e32 v19, v19
	s_wait_loadcnt 0x0
	v_cvt_f32_f16_e64 v198, v172
.LBB176_106:                            ;   in Loop: Header=BB176_3 Depth=1
	s_or_b32 exec_lo, exec_lo, s3
	s_and_saveexec_b32 s3, s2
	s_cbranch_execz .LBB176_108
; %bb.107:                              ;   in Loop: Header=BB176_3 Depth=1
	v_add_nc_u64_e32 v[168:169], v[104:105], v[38:39]
	v_add_nc_u64_e32 v[170:171], v[106:107], v[38:39]
	global_load_u16 v20, v[168:169], off
	global_load_u16 v172, v[170:171], off
	s_wait_loadcnt 0x1
	v_cvt_f32_f16_e32 v20, v20
	s_wait_loadcnt 0x0
	v_cvt_f32_f16_e64 v197, v172
.LBB176_108:                            ;   in Loop: Header=BB176_3 Depth=1
	;; [unrolled: 27-line block ×8, first 2 shown]
	s_or_b32 exec_lo, exec_lo, s3
	v_dual_mov_b32 v179, 0 :: v_dual_mov_b32 v178, 0
	s_and_saveexec_b32 s3, s2
	s_cbranch_execnz .LBB176_139
; %bb.133:                              ;   in Loop: Header=BB176_3 Depth=1
	s_or_b32 exec_lo, exec_lo, s3
	s_and_saveexec_b32 s3, s2
	s_cbranch_execnz .LBB176_140
.LBB176_134:                            ;   in Loop: Header=BB176_3 Depth=1
	s_or_b32 exec_lo, exec_lo, s3
	v_mov_b32_e32 v203, 0
	s_and_saveexec_b32 s3, s2
	s_cbranch_execz .LBB176_136
.LBB176_135:                            ;   in Loop: Header=BB176_3 Depth=1
	v_add_nc_u64_e32 v[202:203], v[44:45], v[38:39]
	v_add_nc_u64_e32 v[204:205], v[46:47], v[38:39]
	global_load_u16 v35, v[202:203], off
	global_load_u16 v201, v[204:205], off
	s_wait_loadcnt 0x1
	v_cvt_f32_f16_e32 v35, v35
	s_wait_loadcnt 0x0
	v_cvt_f32_f16_e64 v203, v201
.LBB176_136:                            ;   in Loop: Header=BB176_3 Depth=1
	s_or_b32 exec_lo, exec_lo, s3
	s_wait_loadcnt 0x0
	ds_bpermute_b32 v201, v2, v180
	ds_bpermute_b32 v202, v2, v180 offset:4
	ds_bpermute_b32 v204, v2, v180 offset:8
	v_dual_mul_f32 v4, v181, v4 :: v_dual_mul_f32 v5, v184, v5
	ds_bpermute_b32 v181, v2, v180 offset:12
	ds_bpermute_b32 v184, v2, v180 offset:16
	v_mul_f32_e32 v3, v3, v6
	ds_bpermute_b32 v6, v2, v180 offset:24
	s_wait_dscnt 0x5
	v_fmac_f32_e32 v183, v4, v201
	ds_bpermute_b32 v4, v2, v180 offset:20
	s_wait_dscnt 0x5
	v_dual_fmac_f32 v183, v5, v202 :: v_dual_mul_f32 v5, v186, v7
	ds_bpermute_b32 v7, v2, v180 offset:28
	s_wait_dscnt 0x5
	v_fmac_f32_e32 v183, v3, v204
	v_mul_f32_e32 v3, v185, v8
	ds_bpermute_b32 v8, v2, v180 offset:32
	s_wait_dscnt 0x5
	v_fmac_f32_e32 v183, v5, v181
	v_mul_f32_e32 v5, v188, v9
	;; [unrolled: 4-line block ×3, first 2 shown]
	ds_bpermute_b32 v10, v2, v180 offset:60
	s_wait_dscnt 0x4
	v_dual_fmac_f32 v183, v5, v4 :: v_dual_mul_f32 v4, v190, v11
	ds_bpermute_b32 v5, v2, v180 offset:40
	ds_bpermute_b32 v11, v2, v180 offset:64
	v_dual_fmac_f32 v183, v3, v6 :: v_dual_mul_f32 v3, v189, v12
	ds_bpermute_b32 v6, v2, v180 offset:44
	ds_bpermute_b32 v12, v2, v180 offset:68
	s_wait_dscnt 0x7
	v_fmac_f32_e32 v183, v4, v7
	v_mul_f32_e32 v4, v192, v13
	ds_bpermute_b32 v7, v2, v180 offset:48
	s_wait_dscnt 0x7
	v_fmac_f32_e32 v183, v3, v8
	v_mul_f32_e32 v3, v191, v14
	ds_bpermute_b32 v8, v2, v180 offset:52
	ds_bpermute_b32 v14, v2, v180 offset:72
	s_wait_dscnt 0x8
	v_dual_fmac_f32 v183, v4, v9 :: v_dual_mul_f32 v4, v194, v15
	ds_bpermute_b32 v9, v2, v180 offset:56
	ds_bpermute_b32 v15, v2, v180 offset:104
	s_wait_dscnt 0x8
	v_dual_fmac_f32 v183, v3, v5 :: v_dual_mul_f32 v3, v193, v16
	ds_bpermute_b32 v5, v2, v180 offset:80
	s_wait_dscnt 0x7
	v_fmac_f32_e32 v183, v4, v6
	v_dual_mul_f32 v4, v196, v17 :: v_dual_mul_f32 v6, v198, v19
	s_wait_dscnt 0x5
	s_delay_alu instid0(VALU_DEP_2) | instskip(SKIP_2) | instid1(VALU_DEP_2)
	v_fmac_f32_e32 v183, v3, v7
	v_dual_mul_f32 v3, v195, v18 :: v_dual_mov_b32 v7, v24
	s_wait_dscnt 0x4
	v_fmac_f32_e32 v183, v4, v8
	ds_bpermute_b32 v4, v2, v180 offset:76
	ds_bpermute_b32 v8, v2, v180 offset:84
	s_wait_dscnt 0x4
	v_dual_fmac_f32 v183, v3, v9 :: v_dual_mul_f32 v3, v197, v20
	v_mul_f32_e32 v13, v200, v21
	ds_bpermute_b32 v9, v2, v180 offset:88
	v_dual_fmac_f32 v183, v6, v10 :: v_dual_mov_b32 v6, v23
	s_delay_alu instid0(VALU_DEP_1) | instskip(SKIP_1) | instid1(VALU_DEP_3)
	v_dual_mov_b32 v10, v25 :: v_dual_fmac_f32 v183, v3, v11
	v_mul_f32_e32 v3, v199, v22
	v_pk_mul_f32 v[6:7], v[168:169], v[6:7]
	s_delay_alu instid0(VALU_DEP_3)
	v_dual_fmac_f32 v183, v13, v12 :: v_dual_mov_b32 v11, v26
	ds_bpermute_b32 v12, v2, v180 offset:92
	ds_bpermute_b32 v13, v2, v180 offset:96
	s_wait_dscnt 0x4
	v_pk_mul_f32 v[4:5], v[6:7], v[4:5]
	v_fmac_f32_e32 v183, v3, v14
	v_pk_mul_f32 v[10:11], v[170:171], v[10:11]
	v_dual_mov_b32 v6, v27 :: v_dual_mov_b32 v7, v28
	ds_bpermute_b32 v14, v2, v180 offset:100
	v_dual_add_f32 v3, v183, v4 :: v_dual_mov_b32 v4, v29
	s_wait_dscnt 0x3
	v_pk_mul_f32 v[8:9], v[10:11], v[8:9]
	ds_bpermute_b32 v10, v2, v180 offset:108
	ds_bpermute_b32 v11, v2, v180 offset:112
	v_dual_add_f32 v3, v3, v5 :: v_dual_mov_b32 v5, v30
	v_pk_mul_f32 v[6:7], v[172:173], v[6:7]
	s_delay_alu instid0(VALU_DEP_2) | instskip(SKIP_1) | instid1(VALU_DEP_4)
	v_add_f32_e32 v3, v3, v8
	v_mov_b32_e32 v8, v31
	v_pk_mul_f32 v[4:5], v[174:175], v[4:5]
	s_wait_dscnt 0x3
	v_pk_mul_f32 v[6:7], v[6:7], v[12:13]
	v_dual_add_f32 v3, v3, v9 :: v_dual_mov_b32 v9, v32
	s_wait_dscnt 0x2
	v_pk_mul_f32 v[4:5], v[4:5], v[14:15]
	s_delay_alu instid0(VALU_DEP_2) | instskip(NEXT) | instid1(VALU_DEP_3)
	v_add_f32_e32 v3, v3, v6
	v_pk_mul_f32 v[8:9], v[176:177], v[8:9]
	ds_bpermute_b32 v6, v2, v180 offset:116
	s_wait_dscnt 0x1
	v_pk_mul_f32 v[8:9], v[8:9], v[10:11]
	v_add_f32_e32 v3, v3, v7
	ds_bpermute_b32 v7, v2, v180 offset:120
	v_dual_add_f32 v3, v3, v4 :: v_dual_mov_b32 v4, v33
	s_delay_alu instid0(VALU_DEP_1) | instskip(SKIP_3) | instid1(VALU_DEP_2)
	v_dual_add_f32 v10, v3, v5 :: v_dual_mov_b32 v5, v34
	ds_bpermute_b32 v3, v2, v180 offset:124
	v_add_f32_e32 v8, v10, v8
	v_pk_mul_f32 v[4:5], v[178:179], v[4:5]
	v_add_f32_e32 v8, v8, v9
	s_wait_dscnt 0x1
	s_delay_alu instid0(VALU_DEP_2) | instskip(NEXT) | instid1(VALU_DEP_1)
	v_pk_mul_f32 v[4:5], v[4:5], v[6:7]
	v_add_f32_e32 v4, v8, v4
	s_set_vgpr_msb 64                       ;  msbs: dst=1 src0=0 src1=0 src2=0
	s_delay_alu instid0(VALU_DEP_1)
	v_add_f32_e32 v38 /*v294*/, v4, v5
.LBB176_137:                            ;   in Loop: Header=BB176_3 Depth=1
	s_add_nc_u64 s[28:29], s[28:29], s[22:23]
	s_set_vgpr_msb 0                        ;  msbs: dst=0 src0=0 src1=0 src2=0
	v_mul_f32_e32 v4, v203, v35
	v_cmp_lt_i64_e64 s3, s[28:29], s[4:5]
	v_add_nc_u64_e32 v[40:41], s[24:25], v[40:41]
	v_add_nc_u64_e32 v[42:43], s[24:25], v[42:43]
	;; [unrolled: 1-line block ×65, first 2 shown]
	s_wait_dscnt 0x0
	s_set_vgpr_msb 64                       ;  msbs: dst=1 src0=0 src1=0 src2=0
	v_fmac_f32_e32 v38 /*v294*/, v4, v3
	s_and_b32 vcc_lo, exec_lo, s3
	s_add_nc_u64 s[26:27], s[26:27], s[22:23]
	s_set_vgpr_msb 0                        ;  msbs: dst=0 src0=0 src1=0 src2=0
	s_cbranch_vccz .LBB176_142
; %bb.138:                              ;   in Loop: Header=BB176_3 Depth=1
	s_set_vgpr_msb 1                        ;  msbs: dst=0 src0=1 src1=0 src2=0
	v_mov_b32_e32 v183, v38 /*v294*/
	s_set_vgpr_msb 0                        ;  msbs: dst=0 src0=0 src1=0 src2=0
	s_branch .LBB176_3
.LBB176_139:                            ;   in Loop: Header=BB176_3 Depth=1
	v_add_nc_u64_e32 v[202:203], v[52:53], v[38:39]
	v_add_nc_u64_e32 v[204:205], v[54:55], v[38:39]
	global_load_u16 v33, v[202:203], off
	global_load_u16 v178, v[204:205], off
	s_wait_loadcnt 0x1
	v_cvt_f32_f16_e32 v33, v33
	s_wait_loadcnt 0x0
	v_cvt_f32_f16_e64 v178, v178
	s_or_b32 exec_lo, exec_lo, s3
	s_and_saveexec_b32 s3, s2
	s_cbranch_execz .LBB176_134
.LBB176_140:                            ;   in Loop: Header=BB176_3 Depth=1
	v_add_nc_u64_e32 v[202:203], v[48:49], v[38:39]
	v_add_nc_u64_e32 v[204:205], v[50:51], v[38:39]
	global_load_u16 v34, v[202:203], off
	global_load_u16 v179, v[204:205], off
	s_wait_loadcnt 0x1
	v_cvt_f32_f16_e32 v34, v34
	s_wait_loadcnt 0x0
	v_cvt_f32_f16_e64 v179, v179
	s_or_b32 exec_lo, exec_lo, s3
	v_mov_b32_e32 v203, 0
	s_and_saveexec_b32 s3, s2
	s_cbranch_execnz .LBB176_135
	s_branch .LBB176_136
.LBB176_141:
                                        ; implicit-def: $vgpr294
	s_load_b64 s[2:3], s[0:1], 0x30
	s_branch .LBB176_143
.LBB176_142:
	s_load_b64 s[2:3], s[0:1], 0x30
	s_cbranch_execnz .LBB176_219
.LBB176_143:
	s_set_vgpr_msb 64                       ;  msbs: dst=1 src0=0 src1=0 src2=0
	v_mov_b32_e32 v38 /*v294*/, 0
	s_and_not1_b32 vcc_lo, exec_lo, s31
	s_set_vgpr_msb 0                        ;  msbs: dst=0 src0=0 src1=0 src2=0
	s_cbranch_vccnz .LBB176_219
; %bb.144:
	v_bfe_u32 v1, v0, 10, 10
	v_mov_b32_e32 v2, 0
	s_set_vgpr_msb 64                       ;  msbs: dst=1 src0=0 src1=0 src2=0
	v_and_b32_e32 v50 /*v306*/, 0x3ff, v0
	s_load_b32 s18, s[0:1], 0x44
	s_mov_b32 s19, 0
	s_set_vgpr_msb 0                        ;  msbs: dst=0 src0=0 src1=0 src2=0
	v_dual_mov_b32 v5, v2 :: v_dual_lshlrev_b32 v4, 6, v1
	v_dual_mov_b32 v147, v2 :: v_dual_lshlrev_b32 v146, 5, v1
	s_mov_b32 s21, s19
	s_set_vgpr_msb 64                       ;  msbs: dst=1 src0=0 src1=0 src2=0
	v_mov_b32_e32 v51 /*v307*/, 0
	s_set_vgpr_msb 0                        ;  msbs: dst=0 src0=0 src1=0 src2=0
	v_lshl_add_u64 v[4:5], s[16:17], 1, v[4:5]
	s_add_nc_u64 s[22:23], s[0:1], 64
	s_mov_b64 s[24:25], s[16:17]
	s_delay_alu instid0(VALU_DEP_1)
	v_add_nc_u64_e32 v[6:7], 2, v[4:5]
	v_add_nc_u64_e32 v[8:9], 4, v[4:5]
	;; [unrolled: 1-line block ×5, first 2 shown]
	s_wait_kmcnt 0x0
	s_lshl_b32 s20, s18, 5
	v_mad_nc_u64_u32 v[36:37], s6, v6, s[8:9]
	v_mul_lo_u32 v3, s6, v7
	v_mul_lo_u32 v7, s7, v6
	v_mad_nc_u64_u32 v[38:39], s6, v6, s[10:11]
	v_mad_nc_u64_u32 v[40:41], s6, v8, s[8:9]
	v_mul_lo_u32 v6, s6, v9
	v_mul_lo_u32 v9, s7, v8
	v_mad_nc_u64_u32 v[44:45], s6, v8, s[10:11]
	;; [unrolled: 4-line block ×5, first 2 shown]
	v_add3_u32 v37, v7, v37, v3
	v_add3_u32 v39, v7, v39, v3
	;; [unrolled: 1-line block ×4, first 2 shown]
	v_add_nc_u64_e32 v[6:7], 12, v[4:5]
	v_add3_u32 v43, v11, v43, v8
	v_add3_u32 v47, v11, v47, v8
	;; [unrolled: 1-line block ×6, first 2 shown]
	v_mul_lo_u32 v3, s6, v7
	v_mul_lo_u32 v12, s7, v6
	v_mad_nc_u64_u32 v[56:57], s6, v6, s[8:9]
	v_add_nc_u64_e32 v[10:11], 16, v[4:5]
	v_mad_nc_u64_u32 v[58:59], s6, v6, s[10:11]
	v_add_nc_u64_e32 v[6:7], 18, v[4:5]
	v_add_nc_u64_e32 v[8:9], 14, v[4:5]
	s_delay_alu instid0(VALU_DEP_4)
	v_mul_lo_u32 v11, s6, v11
	v_mul_lo_u32 v15, s7, v10
	v_mad_nc_u64_u32 v[64:65], s6, v10, s[8:9]
	v_mad_nc_u64_u32 v[66:67], s6, v10, s[10:11]
	v_mul_lo_u32 v10, s6, v7
	v_mul_lo_u32 v16, s7, v6
	v_mad_nc_u64_u32 v[68:69], s6, v6, s[8:9]
	v_mad_nc_u64_u32 v[70:71], s6, v6, s[10:11]
	v_add_nc_u64_e32 v[6:7], 22, v[4:5]
	v_mul_lo_u32 v13, s6, v9
	v_mul_lo_u32 v14, s7, v8
	v_mad_nc_u64_u32 v[60:61], s6, v8, s[8:9]
	v_mad_nc_u64_u32 v[62:63], s6, v8, s[10:11]
	v_add_nc_u64_e32 v[8:9], 20, v[4:5]
	v_add3_u32 v57, v12, v57, v3
	v_add3_u32 v59, v12, v59, v3
	;; [unrolled: 1-line block ×6, first 2 shown]
	v_mul_lo_u32 v3, s6, v7
	v_mul_lo_u32 v12, s7, v6
	v_mad_nc_u64_u32 v[76:77], s6, v6, s[8:9]
	v_add_nc_u64_e32 v[10:11], 26, v[4:5]
	v_mad_nc_u64_u32 v[78:79], s6, v6, s[10:11]
	v_add_nc_u64_e32 v[6:7], 28, v[4:5]
	v_mul_lo_u32 v17, s6, v9
	v_mul_lo_u32 v18, s7, v8
	v_mad_nc_u64_u32 v[72:73], s6, v8, s[8:9]
	v_mad_nc_u64_u32 v[74:75], s6, v8, s[10:11]
	v_add_nc_u64_e32 v[8:9], 24, v[4:5]
	v_mul_lo_u32 v11, s6, v11
	v_mul_lo_u32 v15, s7, v10
	v_mad_nc_u64_u32 v[84:85], s6, v10, s[8:9]
	v_mad_nc_u64_u32 v[86:87], s6, v10, s[10:11]
	v_mul_lo_u32 v10, s6, v7
	v_mul_lo_u32 v16, s7, v6
	v_mad_nc_u64_u32 v[88:89], s6, v6, s[8:9]
	v_mad_nc_u64_u32 v[90:91], s6, v6, s[10:11]
	v_add3_u32 v61, v14, v61, v13
	v_add3_u32 v63, v14, v63, v13
	v_mul_lo_u32 v13, s6, v9
	v_mul_lo_u32 v14, s7, v8
	v_mad_nc_u64_u32 v[80:81], s6, v8, s[8:9]
	v_mad_nc_u64_u32 v[82:83], s6, v8, s[10:11]
	v_add_nc_u64_e32 v[8:9], 30, v[4:5]
	v_add_nc_u64_e32 v[6:7], 32, v[4:5]
	v_add3_u32 v73, v18, v73, v17
	v_add3_u32 v75, v18, v75, v17
	;; [unrolled: 1-line block ×5, first 2 shown]
	v_mul_lo_u32 v17, s6, v9
	v_mul_lo_u32 v18, s7, v8
	v_mad_nc_u64_u32 v[92:93], s6, v8, s[8:9]
	v_mad_nc_u64_u32 v[94:95], s6, v8, s[10:11]
	v_add_nc_u64_e32 v[8:9], 34, v[4:5]
	v_add3_u32 v87, v15, v87, v11
	v_add3_u32 v89, v16, v89, v10
	;; [unrolled: 1-line block ×3, first 2 shown]
	v_mul_lo_u32 v3, s6, v7
	v_mul_lo_u32 v12, s7, v6
	v_mad_nc_u64_u32 v[96:97], s6, v6, s[8:9]
	v_add_nc_u64_e32 v[10:11], 36, v[4:5]
	v_mad_nc_u64_u32 v[98:99], s6, v6, s[10:11]
	v_add_nc_u64_e32 v[6:7], 38, v[4:5]
	v_add3_u32 v81, v14, v81, v13
	v_add3_u32 v83, v14, v83, v13
	v_mul_lo_u32 v13, s6, v9
	v_mul_lo_u32 v14, s7, v8
	v_mad_nc_u64_u32 v[100:101], s6, v8, s[8:9]
	v_mad_nc_u64_u32 v[102:103], s6, v8, s[10:11]
	v_add_nc_u64_e32 v[8:9], 40, v[4:5]
	v_mul_lo_u32 v15, s7, v10
	v_mad_nc_u64_u32 v[104:105], s6, v10, s[8:9]
	v_mad_nc_u64_u32 v[106:107], s6, v10, s[10:11]
	v_mul_lo_u32 v10, s6, v7
	v_mul_lo_u32 v16, s7, v6
	v_mad_nc_u64_u32 v[108:109], s6, v6, s[8:9]
	v_mad_nc_u64_u32 v[110:111], s6, v6, s[10:11]
	v_add_nc_u64_e32 v[6:7], 42, v[4:5]
	v_add3_u32 v93, v18, v93, v17
	v_add3_u32 v95, v18, v95, v17
	v_mul_lo_u32 v17, s6, v9
	v_mul_lo_u32 v18, s7, v8
	v_mad_nc_u64_u32 v[112:113], s6, v8, s[8:9]
	v_mad_nc_u64_u32 v[114:115], s6, v8, s[10:11]
	v_add_nc_u64_e32 v[8:9], 44, v[4:5]
	v_add3_u32 v97, v12, v97, v3
	v_add3_u32 v99, v12, v99, v3
	v_mul_lo_u32 v3, s6, v7
	v_mul_lo_u32 v12, s7, v6
	v_mad_nc_u64_u32 v[116:117], s6, v6, s[8:9]
	v_mad_nc_u64_u32 v[118:119], s6, v6, s[10:11]
	v_mul_lo_u32 v11, s6, v11
	v_add3_u32 v101, v14, v101, v13
	v_add3_u32 v103, v14, v103, v13
	v_mul_lo_u32 v13, s6, v9
	v_mul_lo_u32 v14, s7, v8
	v_mad_nc_u64_u32 v[120:121], s6, v8, s[8:9]
	v_mad_nc_u64_u32 v[122:123], s6, v8, s[10:11]
	v_add_nc_u64_e32 v[8:9], 50, v[4:5]
	v_add3_u32 v109, v16, v109, v10
	v_add3_u32 v117, v12, v117, v3
	;; [unrolled: 1-line block ×6, first 2 shown]
	v_mul_lo_u32 v3, s6, v9
	v_mul_lo_u32 v12, s7, v8
	v_mad_nc_u64_u32 v[132:133], s6, v8, s[8:9]
	v_mad_nc_u64_u32 v[134:135], s6, v8, s[10:11]
	v_add_nc_u64_e32 v[8:9], 54, v[4:5]
	v_add_nc_u64_e32 v[10:11], 46, v[4:5]
	;; [unrolled: 1-line block ×3, first 2 shown]
	v_add3_u32 v121, v14, v121, v13
	v_add3_u32 v123, v14, v123, v13
	;; [unrolled: 1-line block ×4, first 2 shown]
	v_mul_lo_u32 v13, s6, v9
	v_mul_lo_u32 v14, s7, v8
	v_mad_nc_u64_u32 v[140:141], s6, v8, s[8:9]
	v_mad_nc_u64_u32 v[142:143], s6, v8, s[10:11]
	v_mul_lo_u32 v11, s6, v11
	v_mul_lo_u32 v15, s7, v10
	v_mad_nc_u64_u32 v[124:125], s6, v10, s[8:9]
	v_mad_nc_u64_u32 v[126:127], s6, v10, s[10:11]
	;; [unrolled: 4-line block ×3, first 2 shown]
	v_add_nc_u64_e32 v[6:7], 52, v[4:5]
	v_add3_u32 v133, v12, v133, v3
	v_add3_u32 v135, v12, v135, v3
	;; [unrolled: 1-line block ×4, first 2 shown]
	v_add_nc_u64_e32 v[12:13], s[16:17], v[146:147]
	v_add3_u32 v125, v15, v125, v11
	v_add3_u32 v127, v15, v127, v11
	v_mul_lo_u32 v11, s7, v6
	v_add3_u32 v129, v16, v129, v10
	v_add3_u32 v131, v16, v131, v10
	v_mul_lo_u32 v10, s6, v7
	v_mad_nc_u64_u32 v[136:137], s6, v6, s[8:9]
	v_mad_nc_u64_u32 v[138:139], s6, v6, s[10:11]
	v_add_nc_u64_e32 v[6:7], 56, v[4:5]
	v_mul_u64_e32 v[14:15], s[6:7], v[12:13]
	v_add_nc_u64_e32 v[8:9], 58, v[4:5]
	v_add_nc_u64_e32 v[16:17], 28, v[12:13]
	;; [unrolled: 1-line block ×5, first 2 shown]
	v_mul_lo_u32 v3, s6, v7
	v_mul_lo_u32 v18, s7, v6
	v_mad_nc_u64_u32 v[144:145], s6, v6, s[8:9]
	v_mad_nc_u64_u32 v[148:149], s6, v6, s[10:11]
	v_add_nc_u64_e32 v[6:7], 31, v[12:13]
	v_add3_u32 v137, v11, v137, v10
	v_add3_u32 v139, v11, v139, v10
	v_add_nc_u64_e32 v[10:11], 60, v[4:5]
	v_mul_lo_u32 v19, s6, v9
	v_mul_lo_u32 v20, s7, v8
	v_mad_nc_u64_u32 v[150:151], s6, v8, s[8:9]
	v_mad_nc_u64_u32 v[152:153], s6, v8, s[10:11]
	v_add_nc_u64_e32 v[8:9], 30, v[12:13]
	v_mul_u64_e32 v[6:7], s[6:7], v[6:7]
	v_mul_lo_u32 v21, s6, v11
	v_add_nc_u64_e32 v[4:5], 62, v[4:5]
	v_mul_lo_u32 v22, s7, v10
	v_mad_nc_u64_u32 v[154:155], s6, v10, s[8:9]
	v_mad_nc_u64_u32 v[156:157], s6, v10, s[10:11]
	v_add_nc_u64_e32 v[10:11], 29, v[12:13]
	v_mul_u64_e32 v[8:9], s[6:7], v[8:9]
	v_add3_u32 v145, v18, v145, v3
	v_mul_lo_u32 v23, s6, v5
	v_mul_lo_u32 v24, s7, v4
	v_mad_nc_u64_u32 v[158:159], s6, v4, s[8:9]
	v_mad_nc_u64_u32 v[160:161], s6, v4, s[10:11]
	v_mul_u64_e32 v[4:5], s[6:7], v[10:11]
	v_mul_u64_e32 v[10:11], s[6:7], v[16:17]
	s_set_vgpr_msb 4                        ;  msbs: dst=0 src0=0 src1=1 src2=0
	v_dual_mov_b32 v17, v2 :: v_dual_add_nc_u32 v16, s13, v50 /*v306*/
	s_set_vgpr_msb 0                        ;  msbs: dst=0 src0=0 src1=0 src2=0
	v_add3_u32 v149, v18, v149, v3
	v_add3_u32 v151, v20, v151, v19
	;; [unrolled: 1-line block ×3, first 2 shown]
	v_add_nc_u64_e32 v[18:19], 27, v[12:13]
	v_lshlrev_b64_e32 v[162:163], 1, v[16:17]
	v_add_nc_u64_e32 v[16:17], 26, v[12:13]
	v_add3_u32 v155, v22, v155, v21
	v_add3_u32 v157, v22, v157, v21
	;; [unrolled: 1-line block ×4, first 2 shown]
	v_lshlrev_b64_e32 v[22:23], 1, v[14:15]
	v_mul_u64_e32 v[18:19], s[6:7], v[18:19]
	v_add_nc_u64_e32 v[24:25], 24, v[12:13]
	v_mul_u64_e32 v[16:17], s[6:7], v[16:17]
	v_add_nc_u64_e32 v[20:21], 25, v[12:13]
	v_lshlrev_b64_e32 v[6:7], 1, v[6:7]
	v_add_nc_u64_e32 v[30:31], 21, v[12:13]
	v_add_nc_u64_e32 v[164:165], s[8:9], v[22:23]
	v_add_nc_u64_e32 v[166:167], s[10:11], v[22:23]
	v_mul_u64_e32 v[24:25], s[6:7], v[24:25]
	v_mul_u64_e32 v[22:23], s[6:7], v[26:27]
	;; [unrolled: 1-line block ×3, first 2 shown]
	v_add_nc_u64_e32 v[26:27], 20, v[12:13]
	v_lshlrev_b64_e32 v[8:9], 1, v[8:9]
	v_mul_u64_e32 v[28:29], s[6:7], v[28:29]
	v_add_nc_u64_e32 v[34:35], 18, v[12:13]
	v_add_nc_u64_e32 v[168:169], s[8:9], v[6:7]
	;; [unrolled: 1-line block ×4, first 2 shown]
	v_mul_u64_e32 v[26:27], s[6:7], v[26:27]
	v_mul_u64_e32 v[6:7], s[6:7], v[32:33]
	v_lshlrev_b64_e32 v[4:5], 1, v[4:5]
	v_lshlrev_b64_e32 v[10:11], 1, v[10:11]
	v_mul_u64_e32 v[30:31], s[6:7], v[30:31]
	v_add_nc_u64_e32 v[172:173], s[8:9], v[8:9]
	v_mul_u64_e32 v[32:33], s[6:7], v[34:35]
	v_add_nc_u64_e32 v[174:175], s[10:11], v[8:9]
	;; [unrolled: 2-line block ×3, first 2 shown]
	v_add_nc_u64_e32 v[178:179], s[10:11], v[4:5]
	v_add_nc_u64_e32 v[4:5], 16, v[12:13]
	;; [unrolled: 1-line block ×4, first 2 shown]
	v_lshlrev_b64_e32 v[18:19], 1, v[18:19]
	v_add_nc_u64_e32 v[34:35], 15, v[12:13]
	v_lshlrev_b64_e32 v[10:11], 1, v[16:17]
	v_mul_u64_e32 v[4:5], s[6:7], v[4:5]
	s_delay_alu instid0(VALU_DEP_4)
	v_add_nc_u64_e32 v[184:185], s[8:9], v[18:19]
	v_add_nc_u64_e32 v[186:187], s[10:11], v[18:19]
	v_lshlrev_b64_e32 v[18:19], 1, v[24:25]
	v_add_nc_u64_e32 v[188:189], s[8:9], v[10:11]
	v_add_nc_u64_e32 v[190:191], s[10:11], v[10:11]
	v_lshlrev_b64_e32 v[10:11], 1, v[22:23]
	;; [unrolled: 3-line block ×3, first 2 shown]
	v_add_nc_u64_e32 v[196:197], s[8:9], v[18:19]
	v_add_nc_u64_e32 v[198:199], s[10:11], v[18:19]
	v_mul_u64_e32 v[20:21], s[6:7], v[34:35]
	v_add_nc_u64_e32 v[200:201], s[8:9], v[10:11]
	v_mul_u64_e32 v[22:23], s[6:7], v[22:23]
	v_mul_u64_e32 v[24:25], s[6:7], v[24:25]
	v_add_nc_u64_e32 v[192:193], s[8:9], v[16:17]
	v_add_nc_u64_e32 v[194:195], s[10:11], v[16:17]
	v_lshlrev_b64_e32 v[16:17], 1, v[28:29]
	v_add_nc_u64_e32 v[202:203], s[10:11], v[10:11]
	v_lshlrev_b64_e32 v[10:11], 1, v[26:27]
	v_lshlrev_b64_e32 v[6:7], 1, v[6:7]
	v_add_nc_u64_e32 v[26:27], 11, v[12:13]
	v_lshlrev_b64_e32 v[18:19], 1, v[30:31]
	v_lshlrev_b64_e32 v[8:9], 1, v[8:9]
	v_add_nc_u64_e32 v[204:205], s[8:9], v[16:17]
	v_add_nc_u64_e32 v[206:207], s[10:11], v[16:17]
	v_lshlrev_b64_e32 v[16:17], 1, v[32:33]
	v_add_nc_u64_e32 v[212:213], s[8:9], v[10:11]
	v_add_nc_u64_e32 v[214:215], s[10:11], v[10:11]
	;; [unrolled: 1-line block ×4, first 2 shown]
	v_mul_u64_e32 v[26:27], s[6:7], v[26:27]
	v_add_nc_u64_e32 v[28:29], 9, v[12:13]
	v_add_nc_u64_e32 v[30:31], 8, v[12:13]
	;; [unrolled: 1-line block ×5, first 2 shown]
	v_mul_u64_e32 v[10:11], s[6:7], v[10:11]
	v_add_nc_u64_e32 v[222:223], s[10:11], v[16:17]
	v_mul_u64_e32 v[16:17], s[6:7], v[28:29]
	v_mul_u64_e32 v[28:29], s[6:7], v[30:31]
	v_add_nc_u64_e32 v[30:31], 6, v[12:13]
	v_mul_u64_e32 v[6:7], s[6:7], v[6:7]
	v_add_nc_u64_e32 v[32:33], 5, v[12:13]
	v_add_nc_u64_e32 v[224:225], s[8:9], v[8:9]
	;; [unrolled: 1-line block ×7, first 2 shown]
	v_lshlrev_b64_e32 v[4:5], 1, v[4:5]
	v_mul_u64_e32 v[30:31], s[6:7], v[30:31]
	v_mul_u64_e32 v[32:33], s[6:7], v[32:33]
	v_add_nc_u64_e32 v[34:35], 3, v[12:13]
	v_add_nc_u64_e32 v[12:13], 2, v[12:13]
	v_mul_u64_e32 v[8:9], s[6:7], v[8:9]
	v_mul_u64_e32 v[18:19], s[6:7], v[18:19]
	v_add_nc_u64_e32 v[228:229], s[8:9], v[4:5]
	v_add_nc_u64_e32 v[230:231], s[10:11], v[4:5]
	v_lshlrev_b64_e32 v[4:5], 1, v[22:23]
	v_lshlrev_b64_e32 v[22:23], 1, v[24:25]
	v_mul_u64_e32 v[24:25], s[6:7], v[34:35]
	v_mul_u64_e32 v[12:13], s[6:7], v[12:13]
	v_lshlrev_b64_e32 v[20:21], 1, v[20:21]
	v_add_nc_u64_e32 v[236:237], s[8:9], v[4:5]
	v_add_nc_u64_e32 v[238:239], s[10:11], v[4:5]
	v_lshlrev_b64_e32 v[4:5], 1, v[26:27]
	v_lshlrev_b64_e32 v[10:11], 1, v[10:11]
	v_add_nc_u64_e32 v[232:233], s[8:9], v[20:21]
	v_lshlrev_b64_e32 v[16:17], 1, v[16:17]
	v_add_nc_u64_e32 v[234:235], s[10:11], v[20:21]
	v_add_nc_u64_e32 v[240:241], s[8:9], v[22:23]
	v_lshlrev_b64_e32 v[6:7], 1, v[6:7]
	v_add_nc_u64_e32 v[248:249], s[8:9], v[4:5]
	v_add_nc_u64_e32 v[250:251], s[10:11], v[4:5]
	v_lshlrev_b64_e32 v[4:5], 1, v[28:29]
	v_add_nc_u64_e32 v[252:253], s[8:9], v[10:11]
	v_add_nc_u64_e32 v[254:255], s[10:11], v[10:11]
	v_add_nc_u64_e32 v[242:243], s[10:11], v[22:23]
	s_set_vgpr_msb 64                       ;  msbs: dst=1 src0=0 src1=0 src2=0
	v_add_nc_u64_e32 v[8:9] /*v[264:265]*/, s[8:9], v[6:7]
	v_add_nc_u64_e32 v[10:11] /*v[266:267]*/, s[10:11], v[6:7]
	s_set_vgpr_msb 0                        ;  msbs: dst=0 src0=0 src1=0 src2=0
	v_lshlrev_b64_e32 v[10:11], 1, v[30:31]
	s_set_vgpr_msb 64                       ;  msbs: dst=1 src0=0 src1=0 src2=0
	v_add_nc_u64_e32 v[4:5] /*v[260:261]*/, s[8:9], v[4:5]
	v_add_nc_u64_e32 v[6:7] /*v[262:263]*/, s[10:11], v[4:5]
	s_set_vgpr_msb 0                        ;  msbs: dst=0 src0=0 src1=0 src2=0
	v_lshlrev_b64_e32 v[4:5], 1, v[32:33]
	v_lshlrev_b64_e32 v[6:7], 1, v[8:9]
	v_add_nc_u64_e32 v[8:9], s[6:7], v[14:15]
	v_lshlrev_b64_e32 v[18:19], 1, v[18:19]
	s_set_vgpr_msb 64                       ;  msbs: dst=1 src0=0 src1=0 src2=0
	v_add_nc_u64_e32 v[12:13] /*v[268:269]*/, s[8:9], v[10:11]
	v_add_nc_u64_e32 v[14:15] /*v[270:271]*/, s[10:11], v[10:11]
	;; [unrolled: 1-line block ×3, first 2 shown]
	s_set_vgpr_msb 0                        ;  msbs: dst=0 src0=0 src1=0 src2=0
	v_lshlrev_b64_e32 v[10:11], 1, v[24:25]
	v_lshlrev_b64_e32 v[12:13], 1, v[12:13]
	s_set_vgpr_msb 64                       ;  msbs: dst=1 src0=0 src1=0 src2=0
	v_add_nc_u64_e32 v[16:17] /*v[272:273]*/, s[8:9], v[4:5]
	v_add_nc_u64_e32 v[18:19] /*v[274:275]*/, s[10:11], v[4:5]
	s_set_vgpr_msb 0                        ;  msbs: dst=0 src0=0 src1=0 src2=0
	v_lshlrev_b64_e32 v[4:5], 1, v[8:9]
	v_add_nc_u64_e32 v[244:245], s[8:9], v[18:19]
	v_add_nc_u64_e32 v[246:247], s[10:11], v[18:19]
	s_set_vgpr_msb 64                       ;  msbs: dst=1 src0=0 src1=0 src2=0
	v_add_nc_u64_e32 v[2:3] /*v[258:259]*/, s[10:11], v[16:17]
	v_add_nc_u64_e32 v[20:21] /*v[276:277]*/, s[8:9], v[6:7]
	;; [unrolled: 1-line block ×9, first 2 shown]
	s_mul_u64 s[8:9], s[6:7], s[20:21]
	s_mov_b64 s[10:11], 31
	s_lshl_b64 s[8:9], s[8:9], 1
.LBB176_145:                            ; =>This Inner Loop Header: Depth=1
	s_add_nc_u64 s[26:27], s[16:17], s[10:11]
	s_set_vgpr_msb 64                       ;  msbs: dst=1 src0=0 src1=0 src2=0
	v_add_nc_u64_e32 v[36:37] /*v[292:293]*/, s[16:17], v[146:147]
	v_cmp_ge_i64_e64 s13, s[26:27], s[4:5]
                                        ; implicit-def: $vgpr294
	s_and_b32 vcc_lo, exec_lo, s13
	s_mov_b32 s13, -1
	s_set_vgpr_msb 0                        ;  msbs: dst=0 src0=0 src1=0 src2=0
	s_cbranch_vccz .LBB176_213
; %bb.146:                              ;   in Loop: Header=BB176_145 Depth=1
	s_load_b32 s13, s[22:23], 0xc
	s_set_vgpr_msb 64                       ;  msbs: dst=1 src0=0 src1=0 src2=0
	v_dual_mov_b32 v53 /*v309*/, 0 :: v_dual_mov_b32 v52 /*v308*/, 0
	s_set_vgpr_msb 16                       ;  msbs: dst=0 src0=0 src1=0 src2=1
	v_mov_b32_e32 v5, v2
	s_wait_kmcnt 0x0
	s_and_b32 s13, s13, 0xffff
	s_delay_alu instid0(SALU_CYCLE_1) | instskip(SKIP_1) | instid1(VALU_DEP_1)
	v_mad_u32_u24 v3, v1, s13, v50 /*v306*/
	s_mov_b32 s13, exec_lo
	v_and_b32_e32 v4, 31, v3
	s_set_vgpr_msb 1                        ;  msbs: dst=0 src0=1 src1=0 src2=0
	s_delay_alu instid0(VALU_DEP_1) | instskip(NEXT) | instid1(VALU_DEP_1)
	v_add_nc_u64_e32 v[4:5], v[36:37] /*v[292:293]*/, v[4:5]
	v_cmpx_gt_i64_e64 s[4:5], v[4:5]
	s_set_vgpr_msb 0                        ;  msbs: dst=0 src0=0 src1=0 src2=0
	s_cbranch_execz .LBB176_148
; %bb.147:                              ;   in Loop: Header=BB176_145 Depth=1
	v_lshl_add_u64 v[4:5], v[4:5], 2, s[14:15]
	s_set_vgpr_msb 64                       ;  msbs: dst=1 src0=0 src1=0 src2=0
	global_load_b32 v52 /*v308*/, v[4:5], off
.LBB176_148:                            ;   in Loop: Header=BB176_145 Depth=1
	s_wait_xcnt 0x0
	s_or_b32 exec_lo, exec_lo, s13
	s_set_vgpr_msb 4                        ;  msbs: dst=0 src0=0 src1=1 src2=0
	v_dual_mov_b32 v31, v2 :: v_dual_mov_b32 v32, v2
	v_dual_mov_b32 v33, v2 :: v_dual_mov_b32 v3, v2
	v_dual_mov_b32 v4, v2 :: v_dual_mov_b32 v5, v2
	v_dual_mov_b32 v6, v2 :: v_dual_mov_b32 v7, v2
	v_dual_mov_b32 v8, v2 :: v_dual_mov_b32 v9, v2
	v_dual_mov_b32 v10, v2 :: v_dual_mov_b32 v11, v2
	v_dual_mov_b32 v12, v2 :: v_dual_mov_b32 v13, v2
	v_dual_mov_b32 v14, v2 :: v_dual_mov_b32 v15, v2
	v_dual_mov_b32 v16, v2 :: v_dual_mov_b32 v17, v2
	v_dual_mov_b32 v18, v2 :: v_dual_mov_b32 v19, v2
	v_dual_mov_b32 v20, v2 :: v_dual_mov_b32 v21, v2
	v_dual_mov_b32 v22, v2 :: v_dual_mov_b32 v23, v2
	v_dual_mov_b32 v24, v2 :: v_dual_mov_b32 v25, v2
	v_dual_mov_b32 v26, v2 :: v_dual_mov_b32 v27, v2
	v_dual_mov_b32 v28, v2 :: v_dual_mov_b32 v29, v2
	v_mov_b32_e32 v30, v2
	v_mov_b64_e32 v[34:35], v[32:33]
	s_delay_alu instid0(VALU_DEP_2) | instskip(NEXT) | instid1(VALU_DEP_4)
	v_mov_b64_e32 v[32:33], v[30:31]
	v_mov_b64_e32 v[30:31], v[28:29]
	;; [unrolled: 1-line block ×15, first 2 shown]
	s_mov_b32 s13, exec_lo
	v_cmpx_gt_i64_e64 s[4:5], v[36:37] /*v[292:293]*/
	s_set_vgpr_msb 0                        ;  msbs: dst=0 src0=0 src1=0 src2=0
	s_cbranch_execz .LBB176_150
; %bb.149:                              ;   in Loop: Header=BB176_145 Depth=1
	v_add_nc_u64_e32 v[4:5], v[164:165], v[162:163]
	v_add_nc_u64_e32 v[6:7], v[166:167], v[162:163]
	v_dual_mov_b32 v9, v2 :: v_dual_mov_b32 v10, v2
	v_dual_mov_b32 v11, v2 :: v_dual_mov_b32 v12, v2
	;; [unrolled: 1-line block ×3, first 2 shown]
	global_load_u16 v3, v[4:5], off
	s_set_vgpr_msb 64                       ;  msbs: dst=1 src0=0 src1=0 src2=0
	global_load_u16 v38 /*v294*/, v[6:7], off
	s_wait_xcnt 0x0
	s_set_vgpr_msb 0                        ;  msbs: dst=0 src0=0 src1=0 src2=0
	v_dual_mov_b32 v5, v2 :: v_dual_mov_b32 v6, v2
	v_dual_mov_b32 v7, v2 :: v_dual_mov_b32 v8, v2
	;; [unrolled: 1-line block ×12, first 2 shown]
	v_mov_b32_e32 v35, v2
	s_wait_loadcnt 0x1
	v_cvt_f32_f16_e32 v4, v3
	s_wait_loadcnt 0x0
	s_set_vgpr_msb 0x41                     ;  msbs: dst=1 src0=1 src1=0 src2=0
	v_cvt_f32_f16_e64 v53 /*v309*/, v38 /*v294*/
.LBB176_150:                            ;   in Loop: Header=BB176_145 Depth=1
	s_or_b32 exec_lo, exec_lo, s13
	s_set_vgpr_msb 0x44                     ;  msbs: dst=1 src0=0 src1=1 src2=0
	v_add_nc_u64_e32 v[38:39] /*v[294:295]*/, 1, v[36:37] /*v[292:293]*/
	s_set_vgpr_msb 0                        ;  msbs: dst=0 src0=0 src1=0 src2=0
	v_mov_b32_e32 v3, 0
	s_set_vgpr_msb 64                       ;  msbs: dst=1 src0=0 src1=0 src2=0
	v_mov_b32_e32 v54 /*v310*/, 0
	s_mov_b32 s13, exec_lo
	s_set_vgpr_msb 4                        ;  msbs: dst=0 src0=0 src1=1 src2=0
	v_cmpx_gt_i64_e64 s[4:5], v[38:39] /*v[294:295]*/
	s_set_vgpr_msb 0                        ;  msbs: dst=0 src0=0 src1=0 src2=0
	s_cbranch_execz .LBB176_152
; %bb.151:                              ;   in Loop: Header=BB176_145 Depth=1
	s_set_vgpr_msb 0x41                     ;  msbs: dst=1 src0=1 src1=0 src2=0
	v_add_nc_u64_e32 v[38:39] /*v[294:295]*/, v[32:33] /*v[288:289]*/, v[162:163]
	v_add_nc_u64_e32 v[40:41] /*v[296:297]*/, v[34:35] /*v[290:291]*/, v[162:163]
	s_set_vgpr_msb 1                        ;  msbs: dst=0 src0=1 src1=0 src2=0
	global_load_u16 v5, v[38:39] /*v[294:295]*/, off
	s_set_vgpr_msb 0x41                     ;  msbs: dst=1 src0=1 src1=0 src2=0
	global_load_u16 v42 /*v298*/, v[40:41] /*v[296:297]*/, off
	s_wait_loadcnt 0x1
	s_set_vgpr_msb 0                        ;  msbs: dst=0 src0=0 src1=0 src2=0
	v_cvt_f32_f16_e32 v5, v5
	s_wait_loadcnt 0x0
	s_set_vgpr_msb 0x41                     ;  msbs: dst=1 src0=1 src1=0 src2=0
	v_cvt_f32_f16_e64 v54 /*v310*/, v42 /*v298*/
.LBB176_152:                            ;   in Loop: Header=BB176_145 Depth=1
	s_or_b32 exec_lo, exec_lo, s13
	s_set_vgpr_msb 0x44                     ;  msbs: dst=1 src0=0 src1=1 src2=0
	v_add_nc_u64_e32 v[38:39] /*v[294:295]*/, 2, v[36:37] /*v[292:293]*/
	s_mov_b32 s13, exec_lo
	s_delay_alu instid0(VALU_DEP_1)
	v_cmpx_gt_i64_e64 s[4:5], v[38:39] /*v[294:295]*/
	s_set_vgpr_msb 0                        ;  msbs: dst=0 src0=0 src1=0 src2=0
	s_cbranch_execz .LBB176_154
; %bb.153:                              ;   in Loop: Header=BB176_145 Depth=1
	s_set_vgpr_msb 0x41                     ;  msbs: dst=1 src0=1 src1=0 src2=0
	v_add_nc_u64_e32 v[38:39] /*v[294:295]*/, v[28:29] /*v[284:285]*/, v[162:163]
	v_add_nc_u64_e32 v[40:41] /*v[296:297]*/, v[30:31] /*v[286:287]*/, v[162:163]
	s_set_vgpr_msb 1                        ;  msbs: dst=0 src0=1 src1=0 src2=0
	global_load_u16 v3, v[38:39] /*v[294:295]*/, off
	s_set_vgpr_msb 0x41                     ;  msbs: dst=1 src0=1 src1=0 src2=0
	global_load_u16 v42 /*v298*/, v[40:41] /*v[296:297]*/, off
	s_wait_loadcnt 0x1
	s_set_vgpr_msb 0                        ;  msbs: dst=0 src0=0 src1=0 src2=0
	v_cvt_f32_f16_e32 v6, v3
	s_wait_loadcnt 0x0
	s_set_vgpr_msb 1                        ;  msbs: dst=0 src0=1 src1=0 src2=0
	v_cvt_f32_f16_e64 v3, v42 /*v298*/
.LBB176_154:                            ;   in Loop: Header=BB176_145 Depth=1
	s_or_b32 exec_lo, exec_lo, s13
	s_set_vgpr_msb 0x44                     ;  msbs: dst=1 src0=0 src1=1 src2=0
	v_add_nc_u64_e32 v[38:39] /*v[294:295]*/, 3, v[36:37] /*v[292:293]*/
	v_dual_mov_b32 v55 /*v311*/, 0 :: v_dual_mov_b32 v56 /*v312*/, 0
	s_mov_b32 s13, exec_lo
	s_delay_alu instid0(VALU_DEP_2)
	v_cmpx_gt_i64_e64 s[4:5], v[38:39] /*v[294:295]*/
	s_set_vgpr_msb 0                        ;  msbs: dst=0 src0=0 src1=0 src2=0
	s_cbranch_execz .LBB176_156
; %bb.155:                              ;   in Loop: Header=BB176_145 Depth=1
	s_set_vgpr_msb 0x41                     ;  msbs: dst=1 src0=1 src1=0 src2=0
	v_add_nc_u64_e32 v[38:39] /*v[294:295]*/, v[24:25] /*v[280:281]*/, v[162:163]
	v_add_nc_u64_e32 v[40:41] /*v[296:297]*/, v[26:27] /*v[282:283]*/, v[162:163]
	s_set_vgpr_msb 1                        ;  msbs: dst=0 src0=1 src1=0 src2=0
	global_load_u16 v7, v[38:39] /*v[294:295]*/, off
	s_set_vgpr_msb 0x41                     ;  msbs: dst=1 src0=1 src1=0 src2=0
	global_load_u16 v42 /*v298*/, v[40:41] /*v[296:297]*/, off
	s_wait_loadcnt 0x1
	s_set_vgpr_msb 0                        ;  msbs: dst=0 src0=0 src1=0 src2=0
	v_cvt_f32_f16_e32 v7, v7
	s_wait_loadcnt 0x0
	s_set_vgpr_msb 0x41                     ;  msbs: dst=1 src0=1 src1=0 src2=0
	v_cvt_f32_f16_e64 v56 /*v312*/, v42 /*v298*/
.LBB176_156:                            ;   in Loop: Header=BB176_145 Depth=1
	s_or_b32 exec_lo, exec_lo, s13
	s_set_vgpr_msb 0x44                     ;  msbs: dst=1 src0=0 src1=1 src2=0
	v_add_nc_u64_e32 v[38:39] /*v[294:295]*/, 4, v[36:37] /*v[292:293]*/
	s_mov_b32 s13, exec_lo
	s_delay_alu instid0(VALU_DEP_1)
	v_cmpx_gt_i64_e64 s[4:5], v[38:39] /*v[294:295]*/
	s_set_vgpr_msb 0                        ;  msbs: dst=0 src0=0 src1=0 src2=0
	s_cbranch_execz .LBB176_158
; %bb.157:                              ;   in Loop: Header=BB176_145 Depth=1
	s_set_vgpr_msb 0x41                     ;  msbs: dst=1 src0=1 src1=0 src2=0
	v_add_nc_u64_e32 v[38:39] /*v[294:295]*/, v[20:21] /*v[276:277]*/, v[162:163]
	v_add_nc_u64_e32 v[40:41] /*v[296:297]*/, v[22:23] /*v[278:279]*/, v[162:163]
	s_set_vgpr_msb 1                        ;  msbs: dst=0 src0=1 src1=0 src2=0
	global_load_u16 v8, v[38:39] /*v[294:295]*/, off
	s_set_vgpr_msb 0x41                     ;  msbs: dst=1 src0=1 src1=0 src2=0
	global_load_u16 v42 /*v298*/, v[40:41] /*v[296:297]*/, off
	s_wait_loadcnt 0x1
	s_set_vgpr_msb 0                        ;  msbs: dst=0 src0=0 src1=0 src2=0
	v_cvt_f32_f16_e32 v8, v8
	s_wait_loadcnt 0x0
	s_set_vgpr_msb 0x41                     ;  msbs: dst=1 src0=1 src1=0 src2=0
	v_cvt_f32_f16_e64 v55 /*v311*/, v42 /*v298*/
.LBB176_158:                            ;   in Loop: Header=BB176_145 Depth=1
	s_or_b32 exec_lo, exec_lo, s13
	s_set_vgpr_msb 0x44                     ;  msbs: dst=1 src0=0 src1=1 src2=0
	v_add_nc_u64_e32 v[38:39] /*v[294:295]*/, 5, v[36:37] /*v[292:293]*/
	v_dual_mov_b32 v57 /*v313*/, 0 :: v_dual_mov_b32 v58 /*v314*/, 0
	s_mov_b32 s13, exec_lo
	s_delay_alu instid0(VALU_DEP_2)
	v_cmpx_gt_i64_e64 s[4:5], v[38:39] /*v[294:295]*/
	s_set_vgpr_msb 0                        ;  msbs: dst=0 src0=0 src1=0 src2=0
	s_cbranch_execz .LBB176_160
; %bb.159:                              ;   in Loop: Header=BB176_145 Depth=1
	s_set_vgpr_msb 0x41                     ;  msbs: dst=1 src0=1 src1=0 src2=0
	v_add_nc_u64_e32 v[38:39] /*v[294:295]*/, v[16:17] /*v[272:273]*/, v[162:163]
	v_add_nc_u64_e32 v[40:41] /*v[296:297]*/, v[18:19] /*v[274:275]*/, v[162:163]
	s_set_vgpr_msb 1                        ;  msbs: dst=0 src0=1 src1=0 src2=0
	global_load_u16 v9, v[38:39] /*v[294:295]*/, off
	s_set_vgpr_msb 0x41                     ;  msbs: dst=1 src0=1 src1=0 src2=0
	global_load_u16 v42 /*v298*/, v[40:41] /*v[296:297]*/, off
	s_wait_loadcnt 0x1
	s_set_vgpr_msb 0                        ;  msbs: dst=0 src0=0 src1=0 src2=0
	v_cvt_f32_f16_e32 v9, v9
	s_wait_loadcnt 0x0
	s_set_vgpr_msb 0x41                     ;  msbs: dst=1 src0=1 src1=0 src2=0
	v_cvt_f32_f16_e64 v58 /*v314*/, v42 /*v298*/
.LBB176_160:                            ;   in Loop: Header=BB176_145 Depth=1
	s_or_b32 exec_lo, exec_lo, s13
	s_set_vgpr_msb 0x44                     ;  msbs: dst=1 src0=0 src1=1 src2=0
	v_add_nc_u64_e32 v[38:39] /*v[294:295]*/, 6, v[36:37] /*v[292:293]*/
	s_mov_b32 s13, exec_lo
	s_delay_alu instid0(VALU_DEP_1)
	v_cmpx_gt_i64_e64 s[4:5], v[38:39] /*v[294:295]*/
	s_set_vgpr_msb 0                        ;  msbs: dst=0 src0=0 src1=0 src2=0
	s_cbranch_execz .LBB176_162
; %bb.161:                              ;   in Loop: Header=BB176_145 Depth=1
	s_set_vgpr_msb 0x41                     ;  msbs: dst=1 src0=1 src1=0 src2=0
	v_add_nc_u64_e32 v[38:39] /*v[294:295]*/, v[12:13] /*v[268:269]*/, v[162:163]
	v_add_nc_u64_e32 v[40:41] /*v[296:297]*/, v[14:15] /*v[270:271]*/, v[162:163]
	s_set_vgpr_msb 1                        ;  msbs: dst=0 src0=1 src1=0 src2=0
	global_load_u16 v10, v[38:39] /*v[294:295]*/, off
	s_set_vgpr_msb 0x41                     ;  msbs: dst=1 src0=1 src1=0 src2=0
	global_load_u16 v42 /*v298*/, v[40:41] /*v[296:297]*/, off
	s_wait_loadcnt 0x1
	s_set_vgpr_msb 0                        ;  msbs: dst=0 src0=0 src1=0 src2=0
	v_cvt_f32_f16_e32 v10, v10
	s_wait_loadcnt 0x0
	s_set_vgpr_msb 0x41                     ;  msbs: dst=1 src0=1 src1=0 src2=0
	v_cvt_f32_f16_e64 v57 /*v313*/, v42 /*v298*/
.LBB176_162:                            ;   in Loop: Header=BB176_145 Depth=1
	;; [unrolled: 47-line block ×3, first 2 shown]
	s_or_b32 exec_lo, exec_lo, s13
	s_set_vgpr_msb 0x44                     ;  msbs: dst=1 src0=0 src1=1 src2=0
	v_add_nc_u64_e32 v[38:39] /*v[294:295]*/, 9, v[36:37] /*v[292:293]*/
	v_dual_mov_b32 v61 /*v317*/, 0 :: v_dual_mov_b32 v62 /*v318*/, 0
	s_mov_b32 s13, exec_lo
	s_delay_alu instid0(VALU_DEP_2)
	v_cmpx_gt_i64_e64 s[4:5], v[38:39] /*v[294:295]*/
	s_set_vgpr_msb 0                        ;  msbs: dst=0 src0=0 src1=0 src2=0
	s_cbranch_execz .LBB176_168
; %bb.167:                              ;   in Loop: Header=BB176_145 Depth=1
	s_set_vgpr_msb 0x41                     ;  msbs: dst=1 src0=1 src1=0 src2=0
	v_add_nc_u64_e32 v[38:39] /*v[294:295]*/, v[0:1] /*v[256:257]*/, v[162:163]
	v_add_nc_u64_e32 v[40:41] /*v[296:297]*/, v[2:3] /*v[258:259]*/, v[162:163]
	s_set_vgpr_msb 1                        ;  msbs: dst=0 src0=1 src1=0 src2=0
	global_load_u16 v13, v[38:39] /*v[294:295]*/, off
	s_set_vgpr_msb 0x41                     ;  msbs: dst=1 src0=1 src1=0 src2=0
	global_load_u16 v42 /*v298*/, v[40:41] /*v[296:297]*/, off
	s_wait_loadcnt 0x1
	s_set_vgpr_msb 0                        ;  msbs: dst=0 src0=0 src1=0 src2=0
	v_cvt_f32_f16_e32 v13, v13
	s_wait_loadcnt 0x0
	s_set_vgpr_msb 0x41                     ;  msbs: dst=1 src0=1 src1=0 src2=0
	v_cvt_f32_f16_e64 v62 /*v318*/, v42 /*v298*/
.LBB176_168:                            ;   in Loop: Header=BB176_145 Depth=1
	s_or_b32 exec_lo, exec_lo, s13
	s_set_vgpr_msb 0x44                     ;  msbs: dst=1 src0=0 src1=1 src2=0
	v_add_nc_u64_e32 v[38:39] /*v[294:295]*/, 10, v[36:37] /*v[292:293]*/
	s_mov_b32 s13, exec_lo
	s_delay_alu instid0(VALU_DEP_1)
	v_cmpx_gt_i64_e64 s[4:5], v[38:39] /*v[294:295]*/
	s_set_vgpr_msb 0                        ;  msbs: dst=0 src0=0 src1=0 src2=0
	s_cbranch_execz .LBB176_170
; %bb.169:                              ;   in Loop: Header=BB176_145 Depth=1
	s_set_vgpr_msb 64                       ;  msbs: dst=1 src0=0 src1=0 src2=0
	v_add_nc_u64_e32 v[38:39] /*v[294:295]*/, v[252:253], v[162:163]
	v_add_nc_u64_e32 v[40:41] /*v[296:297]*/, v[254:255], v[162:163]
	s_set_vgpr_msb 1                        ;  msbs: dst=0 src0=1 src1=0 src2=0
	global_load_u16 v14, v[38:39] /*v[294:295]*/, off
	s_set_vgpr_msb 0x41                     ;  msbs: dst=1 src0=1 src1=0 src2=0
	global_load_u16 v42 /*v298*/, v[40:41] /*v[296:297]*/, off
	s_wait_loadcnt 0x1
	s_set_vgpr_msb 0                        ;  msbs: dst=0 src0=0 src1=0 src2=0
	v_cvt_f32_f16_e32 v14, v14
	s_wait_loadcnt 0x0
	s_set_vgpr_msb 0x41                     ;  msbs: dst=1 src0=1 src1=0 src2=0
	v_cvt_f32_f16_e64 v61 /*v317*/, v42 /*v298*/
.LBB176_170:                            ;   in Loop: Header=BB176_145 Depth=1
	s_or_b32 exec_lo, exec_lo, s13
	s_set_vgpr_msb 0x44                     ;  msbs: dst=1 src0=0 src1=1 src2=0
	v_add_nc_u64_e32 v[38:39] /*v[294:295]*/, 11, v[36:37] /*v[292:293]*/
	v_dual_mov_b32 v63 /*v319*/, 0 :: v_dual_mov_b32 v64 /*v320*/, 0
	s_mov_b32 s13, exec_lo
	s_delay_alu instid0(VALU_DEP_2)
	v_cmpx_gt_i64_e64 s[4:5], v[38:39] /*v[294:295]*/
	s_set_vgpr_msb 0                        ;  msbs: dst=0 src0=0 src1=0 src2=0
	s_cbranch_execz .LBB176_172
; %bb.171:                              ;   in Loop: Header=BB176_145 Depth=1
	s_set_vgpr_msb 64                       ;  msbs: dst=1 src0=0 src1=0 src2=0
	v_add_nc_u64_e32 v[38:39] /*v[294:295]*/, v[248:249], v[162:163]
	v_add_nc_u64_e32 v[40:41] /*v[296:297]*/, v[250:251], v[162:163]
	s_set_vgpr_msb 1                        ;  msbs: dst=0 src0=1 src1=0 src2=0
	global_load_u16 v15, v[38:39] /*v[294:295]*/, off
	s_set_vgpr_msb 0x41                     ;  msbs: dst=1 src0=1 src1=0 src2=0
	global_load_u16 v42 /*v298*/, v[40:41] /*v[296:297]*/, off
	s_wait_loadcnt 0x1
	s_set_vgpr_msb 0                        ;  msbs: dst=0 src0=0 src1=0 src2=0
	v_cvt_f32_f16_e32 v15, v15
	s_wait_loadcnt 0x0
	s_set_vgpr_msb 0x41                     ;  msbs: dst=1 src0=1 src1=0 src2=0
	v_cvt_f32_f16_e64 v64 /*v320*/, v42 /*v298*/
.LBB176_172:                            ;   in Loop: Header=BB176_145 Depth=1
	s_or_b32 exec_lo, exec_lo, s13
	s_set_vgpr_msb 0x44                     ;  msbs: dst=1 src0=0 src1=1 src2=0
	v_add_nc_u64_e32 v[38:39] /*v[294:295]*/, 12, v[36:37] /*v[292:293]*/
	s_mov_b32 s13, exec_lo
	s_delay_alu instid0(VALU_DEP_1)
	v_cmpx_gt_i64_e64 s[4:5], v[38:39] /*v[294:295]*/
	s_set_vgpr_msb 0                        ;  msbs: dst=0 src0=0 src1=0 src2=0
	s_cbranch_execz .LBB176_174
; %bb.173:                              ;   in Loop: Header=BB176_145 Depth=1
	s_set_vgpr_msb 64                       ;  msbs: dst=1 src0=0 src1=0 src2=0
	v_add_nc_u64_e32 v[38:39] /*v[294:295]*/, v[244:245], v[162:163]
	v_add_nc_u64_e32 v[40:41] /*v[296:297]*/, v[246:247], v[162:163]
	s_set_vgpr_msb 1                        ;  msbs: dst=0 src0=1 src1=0 src2=0
	global_load_u16 v16, v[38:39] /*v[294:295]*/, off
	s_set_vgpr_msb 0x41                     ;  msbs: dst=1 src0=1 src1=0 src2=0
	global_load_u16 v42 /*v298*/, v[40:41] /*v[296:297]*/, off
	s_wait_loadcnt 0x1
	s_set_vgpr_msb 0                        ;  msbs: dst=0 src0=0 src1=0 src2=0
	v_cvt_f32_f16_e32 v16, v16
	s_wait_loadcnt 0x0
	s_set_vgpr_msb 0x41                     ;  msbs: dst=1 src0=1 src1=0 src2=0
	v_cvt_f32_f16_e64 v63 /*v319*/, v42 /*v298*/
.LBB176_174:                            ;   in Loop: Header=BB176_145 Depth=1
	s_or_b32 exec_lo, exec_lo, s13
	s_set_vgpr_msb 0x44                     ;  msbs: dst=1 src0=0 src1=1 src2=0
	v_add_nc_u64_e32 v[38:39] /*v[294:295]*/, 13, v[36:37] /*v[292:293]*/
	v_dual_mov_b32 v65 /*v321*/, 0 :: v_dual_mov_b32 v66 /*v322*/, 0
	s_mov_b32 s13, exec_lo
	s_delay_alu instid0(VALU_DEP_2)
	v_cmpx_gt_i64_e64 s[4:5], v[38:39] /*v[294:295]*/
	s_set_vgpr_msb 0                        ;  msbs: dst=0 src0=0 src1=0 src2=0
	s_cbranch_execz .LBB176_176
; %bb.175:                              ;   in Loop: Header=BB176_145 Depth=1
	s_set_vgpr_msb 64                       ;  msbs: dst=1 src0=0 src1=0 src2=0
	v_add_nc_u64_e32 v[38:39] /*v[294:295]*/, v[240:241], v[162:163]
	v_add_nc_u64_e32 v[40:41] /*v[296:297]*/, v[242:243], v[162:163]
	s_set_vgpr_msb 1                        ;  msbs: dst=0 src0=1 src1=0 src2=0
	global_load_u16 v17, v[38:39] /*v[294:295]*/, off
	s_set_vgpr_msb 0x41                     ;  msbs: dst=1 src0=1 src1=0 src2=0
	global_load_u16 v42 /*v298*/, v[40:41] /*v[296:297]*/, off
	s_wait_loadcnt 0x1
	s_set_vgpr_msb 0                        ;  msbs: dst=0 src0=0 src1=0 src2=0
	v_cvt_f32_f16_e32 v17, v17
	s_wait_loadcnt 0x0
	s_set_vgpr_msb 0x41                     ;  msbs: dst=1 src0=1 src1=0 src2=0
	v_cvt_f32_f16_e64 v66 /*v322*/, v42 /*v298*/
.LBB176_176:                            ;   in Loop: Header=BB176_145 Depth=1
	;; [unrolled: 47-line block ×4, first 2 shown]
	s_or_b32 exec_lo, exec_lo, s13
	s_set_vgpr_msb 0x44                     ;  msbs: dst=1 src0=0 src1=1 src2=0
	v_add_nc_u64_e32 v[38:39] /*v[294:295]*/, 18, v[36:37] /*v[292:293]*/
	s_mov_b32 s13, exec_lo
	s_delay_alu instid0(VALU_DEP_1)
	v_cmpx_gt_i64_e64 s[4:5], v[38:39] /*v[294:295]*/
	s_set_vgpr_msb 0                        ;  msbs: dst=0 src0=0 src1=0 src2=0
	s_cbranch_execz .LBB176_186
; %bb.185:                              ;   in Loop: Header=BB176_145 Depth=1
	s_set_vgpr_msb 64                       ;  msbs: dst=1 src0=0 src1=0 src2=0
	v_add_nc_u64_e32 v[38:39] /*v[294:295]*/, v[220:221], v[162:163]
	v_add_nc_u64_e32 v[40:41] /*v[296:297]*/, v[222:223], v[162:163]
	s_set_vgpr_msb 1                        ;  msbs: dst=0 src0=1 src1=0 src2=0
	global_load_u16 v22, v[38:39] /*v[294:295]*/, off
	s_set_vgpr_msb 0x41                     ;  msbs: dst=1 src0=1 src1=0 src2=0
	global_load_u16 v42 /*v298*/, v[40:41] /*v[296:297]*/, off
	s_wait_loadcnt 0x1
	s_set_vgpr_msb 0                        ;  msbs: dst=0 src0=0 src1=0 src2=0
	v_cvt_f32_f16_e32 v22, v22
	s_wait_loadcnt 0x0
	s_set_vgpr_msb 0x41                     ;  msbs: dst=1 src0=1 src1=0 src2=0
	v_cvt_f32_f16_e64 v69 /*v325*/, v42 /*v298*/
.LBB176_186:                            ;   in Loop: Header=BB176_145 Depth=1
	s_or_b32 exec_lo, exec_lo, s13
	s_set_vgpr_msb 0x44                     ;  msbs: dst=1 src0=0 src1=1 src2=0
	v_add_nc_u64_e32 v[38:39] /*v[294:295]*/, 19, v[36:37] /*v[292:293]*/
	v_mov_b32_e32 v71 /*v327*/, 0
	s_delay_alu instid0(VALU_DEP_2)
	v_cmp_gt_i64_e32 vcc_lo, s[4:5], v[38:39] /*v[294:295]*/
	v_mov_b32_e32 v38 /*v294*/, 0
	s_and_saveexec_b32 s13, vcc_lo
	s_set_vgpr_msb 0                        ;  msbs: dst=0 src0=0 src1=0 src2=0
	s_cbranch_execz .LBB176_188
; %bb.187:                              ;   in Loop: Header=BB176_145 Depth=1
	s_set_vgpr_msb 64                       ;  msbs: dst=1 src0=0 src1=0 src2=0
	v_add_nc_u64_e32 v[40:41] /*v[296:297]*/, v[216:217], v[162:163]
	v_add_nc_u64_e32 v[42:43] /*v[298:299]*/, v[218:219], v[162:163]
	s_set_vgpr_msb 1                        ;  msbs: dst=0 src0=1 src1=0 src2=0
	global_load_u16 v23, v[40:41] /*v[296:297]*/, off
	s_set_vgpr_msb 0x41                     ;  msbs: dst=1 src0=1 src1=0 src2=0
	global_load_u16 v39 /*v295*/, v[42:43] /*v[298:299]*/, off
	s_wait_loadcnt 0x1
	s_set_vgpr_msb 0                        ;  msbs: dst=0 src0=0 src1=0 src2=0
	v_cvt_f32_f16_e32 v23, v23
	s_wait_loadcnt 0x0
	s_set_vgpr_msb 0x41                     ;  msbs: dst=1 src0=1 src1=0 src2=0
	v_cvt_f32_f16_e64 v71 /*v327*/, v39 /*v295*/
.LBB176_188:                            ;   in Loop: Header=BB176_145 Depth=1
	s_or_b32 exec_lo, exec_lo, s13
	s_set_vgpr_msb 0x44                     ;  msbs: dst=1 src0=0 src1=1 src2=0
	v_add_nc_u64_e32 v[40:41] /*v[296:297]*/, 20, v[36:37] /*v[292:293]*/
	s_mov_b32 s13, exec_lo
	s_delay_alu instid0(VALU_DEP_1)
	v_cmpx_gt_i64_e64 s[4:5], v[40:41] /*v[296:297]*/
	s_set_vgpr_msb 0                        ;  msbs: dst=0 src0=0 src1=0 src2=0
	s_cbranch_execz .LBB176_190
; %bb.189:                              ;   in Loop: Header=BB176_145 Depth=1
	s_set_vgpr_msb 64                       ;  msbs: dst=1 src0=0 src1=0 src2=0
	v_add_nc_u64_e32 v[38:39] /*v[294:295]*/, v[212:213], v[162:163]
	v_add_nc_u64_e32 v[40:41] /*v[296:297]*/, v[214:215], v[162:163]
	s_set_vgpr_msb 1                        ;  msbs: dst=0 src0=1 src1=0 src2=0
	global_load_u16 v24, v[38:39] /*v[294:295]*/, off
	s_set_vgpr_msb 0x41                     ;  msbs: dst=1 src0=1 src1=0 src2=0
	global_load_u16 v42 /*v298*/, v[40:41] /*v[296:297]*/, off
	s_wait_loadcnt 0x1
	s_set_vgpr_msb 0                        ;  msbs: dst=0 src0=0 src1=0 src2=0
	v_cvt_f32_f16_e32 v24, v24
	s_wait_loadcnt 0x0
	s_set_vgpr_msb 0x41                     ;  msbs: dst=1 src0=1 src1=0 src2=0
	v_cvt_f32_f16_e64 v38 /*v294*/, v42 /*v298*/
.LBB176_190:                            ;   in Loop: Header=BB176_145 Depth=1
	s_or_b32 exec_lo, exec_lo, s13
	s_set_vgpr_msb 0x44                     ;  msbs: dst=1 src0=0 src1=1 src2=0
	v_add_nc_u64_e32 v[40:41] /*v[296:297]*/, 21, v[36:37] /*v[292:293]*/
	v_mov_b32_e32 v39 /*v295*/, 0
	s_delay_alu instid0(VALU_DEP_2)
	v_cmp_gt_i64_e32 vcc_lo, s[4:5], v[40:41] /*v[296:297]*/
	v_mov_b32_e32 v40 /*v296*/, 0
	s_and_saveexec_b32 s13, vcc_lo
	s_set_vgpr_msb 0                        ;  msbs: dst=0 src0=0 src1=0 src2=0
	s_cbranch_execz .LBB176_192
; %bb.191:                              ;   in Loop: Header=BB176_145 Depth=1
	s_set_vgpr_msb 64                       ;  msbs: dst=1 src0=0 src1=0 src2=0
	v_add_nc_u64_e32 v[42:43] /*v[298:299]*/, v[208:209], v[162:163]
	v_add_nc_u64_e32 v[44:45] /*v[300:301]*/, v[210:211], v[162:163]
	s_set_vgpr_msb 1                        ;  msbs: dst=0 src0=1 src1=0 src2=0
	global_load_u16 v25, v[42:43] /*v[298:299]*/, off
	s_set_vgpr_msb 0x41                     ;  msbs: dst=1 src0=1 src1=0 src2=0
	global_load_u16 v39 /*v295*/, v[44:45] /*v[300:301]*/, off
	s_wait_loadcnt 0x1
	s_set_vgpr_msb 0                        ;  msbs: dst=0 src0=0 src1=0 src2=0
	v_cvt_f32_f16_e32 v25, v25
	s_wait_loadcnt 0x0
	s_set_vgpr_msb 0x41                     ;  msbs: dst=1 src0=1 src1=0 src2=0
	v_cvt_f32_f16_e64 v39 /*v295*/, v39 /*v295*/
.LBB176_192:                            ;   in Loop: Header=BB176_145 Depth=1
	;; [unrolled: 48-line block ×6, first 2 shown]
	s_or_b32 exec_lo, exec_lo, s13
	s_set_vgpr_msb 0x44                     ;  msbs: dst=1 src0=0 src1=1 src2=0
	v_add_nc_u64_e32 v[72:73] /*v[328:329]*/, 30, v[36:37] /*v[292:293]*/
	s_mov_b32 s13, exec_lo
	s_delay_alu instid0(VALU_DEP_1)
	v_cmpx_gt_i64_e64 s[4:5], v[72:73] /*v[328:329]*/
	s_set_vgpr_msb 0                        ;  msbs: dst=0 src0=0 src1=0 src2=0
	s_cbranch_execz .LBB176_210
; %bb.209:                              ;   in Loop: Header=BB176_145 Depth=1
	s_set_vgpr_msb 64                       ;  msbs: dst=1 src0=0 src1=0 src2=0
	v_add_nc_u64_e32 v[48:49] /*v[304:305]*/, v[172:173], v[162:163]
	v_add_nc_u64_e32 v[72:73] /*v[328:329]*/, v[174:175], v[162:163]
	s_set_vgpr_msb 1                        ;  msbs: dst=0 src0=1 src1=0 src2=0
	global_load_u16 v34, v[48:49] /*v[304:305]*/, off
	s_set_vgpr_msb 0x41                     ;  msbs: dst=1 src0=1 src1=0 src2=0
	global_load_u16 v74 /*v330*/, v[72:73] /*v[328:329]*/, off
	s_wait_loadcnt 0x1
	s_set_vgpr_msb 0                        ;  msbs: dst=0 src0=0 src1=0 src2=0
	v_cvt_f32_f16_e32 v34, v34
	s_wait_loadcnt 0x0
	s_set_vgpr_msb 0x41                     ;  msbs: dst=1 src0=1 src1=0 src2=0
	v_cvt_f32_f16_e64 v48 /*v304*/, v74 /*v330*/
.LBB176_210:                            ;   in Loop: Header=BB176_145 Depth=1
	s_or_b32 exec_lo, exec_lo, s13
	s_set_vgpr_msb 0x44                     ;  msbs: dst=1 src0=0 src1=1 src2=0
	v_add_nc_u64_e32 v[72:73] /*v[328:329]*/, 31, v[36:37] /*v[292:293]*/
	v_mov_b32_e32 v49 /*v305*/, 0
	s_mov_b32 s13, exec_lo
	s_delay_alu instid0(VALU_DEP_2)
	v_cmpx_gt_i64_e64 s[4:5], v[72:73] /*v[328:329]*/
	s_set_vgpr_msb 0                        ;  msbs: dst=0 src0=0 src1=0 src2=0
	s_cbranch_execz .LBB176_212
; %bb.211:                              ;   in Loop: Header=BB176_145 Depth=1
	s_set_vgpr_msb 64                       ;  msbs: dst=1 src0=0 src1=0 src2=0
	v_add_nc_u64_e32 v[72:73] /*v[328:329]*/, v[168:169], v[162:163]
	v_add_nc_u64_e32 v[74:75] /*v[330:331]*/, v[170:171], v[162:163]
	s_set_vgpr_msb 1                        ;  msbs: dst=0 src0=1 src1=0 src2=0
	global_load_u16 v35, v[72:73] /*v[328:329]*/, off
	s_set_vgpr_msb 0x41                     ;  msbs: dst=1 src0=1 src1=0 src2=0
	global_load_u16 v49 /*v305*/, v[74:75] /*v[330:331]*/, off
	s_wait_loadcnt 0x1
	s_set_vgpr_msb 0                        ;  msbs: dst=0 src0=0 src1=0 src2=0
	v_cvt_f32_f16_e32 v35, v35
	s_wait_loadcnt 0x0
	s_set_vgpr_msb 0x41                     ;  msbs: dst=1 src0=1 src1=0 src2=0
	v_cvt_f32_f16_e64 v49 /*v305*/, v49 /*v305*/
.LBB176_212:                            ;   in Loop: Header=BB176_145 Depth=1
	s_or_b32 exec_lo, exec_lo, s13
	s_wait_loadcnt 0x0
	s_set_vgpr_msb 0x44                     ;  msbs: dst=1 src0=0 src1=1 src2=0
	ds_bpermute_b32 v72 /*v328*/, v2, v52 /*v308*/
	ds_bpermute_b32 v73 /*v329*/, v2, v52 /*v308*/ offset:4
	ds_bpermute_b32 v74 /*v330*/, v2, v52 /*v308*/ offset:8
	s_set_vgpr_msb 1                        ;  msbs: dst=0 src0=1 src1=0 src2=0
	v_dual_mul_f32 v4, v53 /*v309*/, v4 :: v_dual_mul_f32 v5, v54 /*v310*/, v5
	s_set_vgpr_msb 0x44                     ;  msbs: dst=1 src0=0 src1=1 src2=0
	ds_bpermute_b32 v53 /*v309*/, v2, v52 /*v308*/ offset:12
	ds_bpermute_b32 v54 /*v310*/, v2, v52 /*v308*/ offset:16
	s_set_vgpr_msb 0                        ;  msbs: dst=0 src0=0 src1=0 src2=0
	v_mul_f32_e32 v3, v3, v6
	s_set_vgpr_msb 4                        ;  msbs: dst=0 src0=0 src1=1 src2=0
	ds_bpermute_b32 v6, v2, v52 /*v308*/ offset:24
	s_mov_b32 s13, 0
	s_wait_dscnt 0x5
	s_set_vgpr_msb 0x54                     ;  msbs: dst=1 src0=0 src1=1 src2=1
	v_fma_f32 v72 /*v328*/, v4, v72 /*v328*/, v51 /*v307*/
	s_set_vgpr_msb 4                        ;  msbs: dst=0 src0=0 src1=1 src2=0
	ds_bpermute_b32 v4, v2, v52 /*v308*/ offset:20
	s_wait_dscnt 0x5
	s_set_vgpr_msb 0x44                     ;  msbs: dst=1 src0=0 src1=1 src2=0
	v_fmac_f32_e32 v72 /*v328*/, v5, v73 /*v329*/
	s_set_vgpr_msb 1                        ;  msbs: dst=0 src0=1 src1=0 src2=0
	v_mul_f32_e32 v5, v56 /*v312*/, v7
	s_set_vgpr_msb 4                        ;  msbs: dst=0 src0=0 src1=1 src2=0
	ds_bpermute_b32 v7, v2, v52 /*v308*/ offset:28
	s_wait_dscnt 0x5
	s_set_vgpr_msb 0x44                     ;  msbs: dst=1 src0=0 src1=1 src2=0
	v_fmac_f32_e32 v72 /*v328*/, v3, v74 /*v330*/
	s_set_vgpr_msb 1                        ;  msbs: dst=0 src0=1 src1=0 src2=0
	v_mul_f32_e32 v3, v55 /*v311*/, v8
	;; [unrolled: 7-line block ×4, first 2 shown]
	s_set_vgpr_msb 4                        ;  msbs: dst=0 src0=0 src1=1 src2=0
	ds_bpermute_b32 v10, v2, v52 /*v308*/ offset:60
	s_wait_dscnt 0x4
	s_set_vgpr_msb 64                       ;  msbs: dst=1 src0=0 src1=0 src2=0
	v_fmac_f32_e32 v72 /*v328*/, v5, v4
	s_set_vgpr_msb 1                        ;  msbs: dst=0 src0=1 src1=0 src2=0
	v_mul_f32_e32 v4, v60 /*v316*/, v11
	s_set_vgpr_msb 4                        ;  msbs: dst=0 src0=0 src1=1 src2=0
	ds_bpermute_b32 v5, v2, v52 /*v308*/ offset:40
	ds_bpermute_b32 v11, v2, v52 /*v308*/ offset:68
	s_set_vgpr_msb 64                       ;  msbs: dst=1 src0=0 src1=0 src2=0
	v_fmac_f32_e32 v72 /*v328*/, v3, v6
	s_set_vgpr_msb 1                        ;  msbs: dst=0 src0=1 src1=0 src2=0
	v_mul_f32_e32 v3, v59 /*v315*/, v12
	s_set_vgpr_msb 4                        ;  msbs: dst=0 src0=0 src1=1 src2=0
	ds_bpermute_b32 v6, v2, v52 /*v308*/ offset:44
	ds_bpermute_b32 v12, v2, v52 /*v308*/ offset:72
	s_wait_dscnt 0x7
	s_set_vgpr_msb 64                       ;  msbs: dst=1 src0=0 src1=0 src2=0
	v_fmac_f32_e32 v72 /*v328*/, v4, v7
	s_set_vgpr_msb 1                        ;  msbs: dst=0 src0=1 src1=0 src2=0
	v_mul_f32_e32 v4, v62 /*v318*/, v13
	s_set_vgpr_msb 4                        ;  msbs: dst=0 src0=0 src1=1 src2=0
	ds_bpermute_b32 v7, v2, v52 /*v308*/ offset:48
	ds_bpermute_b32 v13, v2, v52 /*v308*/ offset:76
	s_wait_dscnt 0x8
	s_set_vgpr_msb 64                       ;  msbs: dst=1 src0=0 src1=0 src2=0
	v_fmac_f32_e32 v72 /*v328*/, v3, v8
	s_set_vgpr_msb 1                        ;  msbs: dst=0 src0=1 src1=0 src2=0
	v_mul_f32_e32 v3, v61 /*v317*/, v14
	s_set_vgpr_msb 4                        ;  msbs: dst=0 src0=0 src1=1 src2=0
	ds_bpermute_b32 v8, v2, v52 /*v308*/ offset:52
	s_wait_dscnt 0x8
	s_set_vgpr_msb 64                       ;  msbs: dst=1 src0=0 src1=0 src2=0
	v_fmac_f32_e32 v72 /*v328*/, v4, v9
	s_set_vgpr_msb 1                        ;  msbs: dst=0 src0=1 src1=0 src2=0
	v_mul_f32_e32 v4, v64 /*v320*/, v15
	s_set_vgpr_msb 4                        ;  msbs: dst=0 src0=0 src1=1 src2=0
	ds_bpermute_b32 v9, v2, v52 /*v308*/ offset:56
	s_wait_dscnt 0x7
	s_set_vgpr_msb 64                       ;  msbs: dst=1 src0=0 src1=0 src2=0
	v_fmac_f32_e32 v72 /*v328*/, v3, v5
	s_set_vgpr_msb 1                        ;  msbs: dst=0 src0=1 src1=0 src2=0
	v_mul_f32_e32 v3, v63 /*v319*/, v16
	s_set_vgpr_msb 4                        ;  msbs: dst=0 src0=0 src1=1 src2=0
	ds_bpermute_b32 v5, v2, v52 /*v308*/ offset:84
	s_wait_dscnt 0x6
	s_set_vgpr_msb 64                       ;  msbs: dst=1 src0=0 src1=0 src2=0
	v_fmac_f32_e32 v72 /*v328*/, v4, v6
	s_set_vgpr_msb 1                        ;  msbs: dst=0 src0=1 src1=0 src2=0
	v_mul_f32_e32 v4, v66 /*v322*/, v17
	s_set_vgpr_msb 4                        ;  msbs: dst=0 src0=0 src1=1 src2=0
	ds_bpermute_b32 v6, v2, v52 /*v308*/ offset:64
	s_wait_dscnt 0x5
	s_set_vgpr_msb 64                       ;  msbs: dst=1 src0=0 src1=0 src2=0
	v_fmac_f32_e32 v72 /*v328*/, v3, v7
	s_set_vgpr_msb 1                        ;  msbs: dst=0 src0=1 src1=0 src2=0
	v_dual_mul_f32 v3, v65 /*v321*/, v18 :: v_dual_mul_f32 v7, v68 /*v324*/, v19
	s_wait_dscnt 0x3
	s_set_vgpr_msb 64                       ;  msbs: dst=1 src0=0 src1=0 src2=0
	v_fmac_f32_e32 v72 /*v328*/, v4, v8
	s_set_vgpr_msb 4                        ;  msbs: dst=0 src0=0 src1=1 src2=0
	ds_bpermute_b32 v4, v2, v52 /*v308*/ offset:80
	s_set_vgpr_msb 1                        ;  msbs: dst=0 src0=1 src1=0 src2=0
	v_mul_f32_e32 v8, v70 /*v326*/, v21
	s_wait_dscnt 0x3
	s_set_vgpr_msb 64                       ;  msbs: dst=1 src0=0 src1=0 src2=0
	v_fmac_f32_e32 v72 /*v328*/, v3, v9
	s_set_vgpr_msb 1                        ;  msbs: dst=0 src0=1 src1=0 src2=0
	v_mul_f32_e32 v3, v67 /*v323*/, v20
	s_set_vgpr_msb 64                       ;  msbs: dst=1 src0=0 src1=0 src2=0
	s_delay_alu instid0(VALU_DEP_2)
	v_fmac_f32_e32 v72 /*v328*/, v7, v10
	s_set_vgpr_msb 4                        ;  msbs: dst=0 src0=0 src1=1 src2=0
	ds_bpermute_b32 v7, v2, v52 /*v308*/ offset:92
	ds_bpermute_b32 v10, v2, v52 /*v308*/ offset:96
	s_wait_dscnt 0x3
	s_set_vgpr_msb 64                       ;  msbs: dst=1 src0=0 src1=0 src2=0
	v_fmac_f32_e32 v72 /*v328*/, v3, v6
	s_set_vgpr_msb 1                        ;  msbs: dst=0 src0=1 src1=0 src2=0
	v_mul_f32_e32 v3, v69 /*v325*/, v22
	s_set_vgpr_msb 4                        ;  msbs: dst=0 src0=0 src1=1 src2=0
	ds_bpermute_b32 v6, v2, v52 /*v308*/ offset:88
	s_set_vgpr_msb 64                       ;  msbs: dst=1 src0=0 src1=0 src2=0
	v_fmac_f32_e32 v72 /*v328*/, v8, v11
	s_set_vgpr_msb 1                        ;  msbs: dst=0 src0=1 src1=0 src2=0
	v_pk_mul_f32 v[8:9], v[38:39] /*v[294:295]*/, v[24:25]
	s_set_vgpr_msb 4                        ;  msbs: dst=0 src0=0 src1=1 src2=0
	ds_bpermute_b32 v11, v2, v52 /*v308*/ offset:100
	s_set_vgpr_msb 64                       ;  msbs: dst=1 src0=0 src1=0 src2=0
	v_fmac_f32_e32 v72 /*v328*/, v3, v12
	s_wait_dscnt 0x4
	s_set_vgpr_msb 0                        ;  msbs: dst=0 src0=0 src1=0 src2=0
	v_pk_mul_f32 v[4:5], v[8:9], v[4:5]
	s_set_vgpr_msb 1                        ;  msbs: dst=0 src0=1 src1=0 src2=0
	v_mul_f32_e32 v14, v71 /*v327*/, v23
	v_pk_mul_f32 v[8:9], v[40:41] /*v[296:297]*/, v[26:27]
	s_set_vgpr_msb 4                        ;  msbs: dst=0 src0=0 src1=1 src2=0
	ds_bpermute_b32 v12, v2, v52 /*v308*/ offset:104
	s_set_vgpr_msb 64                       ;  msbs: dst=1 src0=0 src1=0 src2=0
	v_fmac_f32_e32 v72 /*v328*/, v14, v13
	s_set_vgpr_msb 4                        ;  msbs: dst=0 src0=0 src1=1 src2=0
	ds_bpermute_b32 v13, v2, v52 /*v308*/ offset:108
	s_set_vgpr_msb 1                        ;  msbs: dst=0 src0=1 src1=0 src2=0
	v_add_f32_e32 v3, v72 /*v328*/, v4
	s_wait_dscnt 0x3
	s_set_vgpr_msb 0                        ;  msbs: dst=0 src0=0 src1=0 src2=0
	v_pk_mul_f32 v[6:7], v[8:9], v[6:7]
	s_set_vgpr_msb 4                        ;  msbs: dst=0 src0=0 src1=1 src2=0
	ds_bpermute_b32 v8, v2, v52 /*v308*/ offset:112
	ds_bpermute_b32 v9, v2, v52 /*v308*/ offset:116
	s_set_vgpr_msb 0                        ;  msbs: dst=0 src0=0 src1=0 src2=0
	v_add_f32_e32 v3, v3, v5
	s_set_vgpr_msb 1                        ;  msbs: dst=0 src0=1 src1=0 src2=0
	v_pk_mul_f32 v[4:5], v[42:43] /*v[298:299]*/, v[28:29]
	s_set_vgpr_msb 0                        ;  msbs: dst=0 src0=0 src1=0 src2=0
	s_delay_alu instid0(VALU_DEP_2) | instskip(SKIP_1) | instid1(VALU_DEP_2)
	v_add_f32_e32 v3, v3, v6
	s_wait_dscnt 0x4
	v_pk_mul_f32 v[4:5], v[4:5], v[10:11]
	s_set_vgpr_msb 1                        ;  msbs: dst=0 src0=1 src1=0 src2=0
	v_pk_mul_f32 v[10:11], v[46:47] /*v[302:303]*/, v[32:33]
	s_set_vgpr_msb 0                        ;  msbs: dst=0 src0=0 src1=0 src2=0
	v_add_f32_e32 v3, v3, v7
	s_set_vgpr_msb 1                        ;  msbs: dst=0 src0=1 src1=0 src2=0
	v_pk_mul_f32 v[6:7], v[44:45] /*v[300:301]*/, v[30:31]
	s_set_vgpr_msb 0                        ;  msbs: dst=0 src0=0 src1=0 src2=0
	s_delay_alu instid0(VALU_DEP_2)
	v_add_f32_e32 v3, v3, v4
	s_set_vgpr_msb 4                        ;  msbs: dst=0 src0=0 src1=1 src2=0
	ds_bpermute_b32 v4, v2, v52 /*v308*/ offset:120
	s_wait_dscnt 0x3
	s_set_vgpr_msb 0                        ;  msbs: dst=0 src0=0 src1=0 src2=0
	v_pk_mul_f32 v[6:7], v[6:7], v[12:13]
	s_wait_dscnt 0x1
	v_pk_mul_f32 v[8:9], v[10:11], v[8:9]
	v_add_f32_e32 v3, v3, v5
	s_set_vgpr_msb 4                        ;  msbs: dst=0 src0=0 src1=1 src2=0
	ds_bpermute_b32 v5, v2, v52 /*v308*/ offset:124
	s_set_vgpr_msb 0                        ;  msbs: dst=0 src0=0 src1=0 src2=0
	v_add_f32_e32 v3, v3, v6
	s_delay_alu instid0(VALU_DEP_1) | instskip(SKIP_3) | instid1(VALU_DEP_2)
	v_add_f32_e32 v3, v3, v7
	s_set_vgpr_msb 1                        ;  msbs: dst=0 src0=1 src1=0 src2=0
	v_pk_mul_f32 v[6:7], v[48:49] /*v[304:305]*/, v[34:35]
	s_set_vgpr_msb 0                        ;  msbs: dst=0 src0=0 src1=0 src2=0
	v_add_f32_e32 v3, v3, v8
	s_delay_alu instid0(VALU_DEP_1) | instskip(SKIP_2) | instid1(VALU_DEP_1)
	v_add_f32_e32 v3, v3, v9
	s_wait_dscnt 0x0
	v_pk_mul_f32 v[4:5], v[6:7], v[4:5]
	v_add_f32_e32 v3, v3, v4
	s_set_vgpr_msb 64                       ;  msbs: dst=1 src0=0 src1=0 src2=0
	s_delay_alu instid0(VALU_DEP_1)
	v_add_f32_e32 v38 /*v294*/, v3, v5
.LBB176_213:                            ;   in Loop: Header=BB176_145 Depth=1
	s_and_b32 vcc_lo, exec_lo, s13
	s_set_vgpr_msb 0                        ;  msbs: dst=0 src0=0 src1=0 src2=0
	s_cbranch_vccz .LBB176_217
; %bb.214:                              ;   in Loop: Header=BB176_145 Depth=1
	s_load_b32 s13, s[22:23], 0x0
	v_mov_b32_e32 v5, v2
	s_wait_kmcnt 0x0
	s_cmp_lt_u32 s12, s13
	s_cselect_b32 s18, 12, 18
	s_delay_alu instid0(SALU_CYCLE_1)
	s_add_nc_u64 s[26:27], s[22:23], s[18:19]
	s_load_u16 s13, s[26:27], 0x0
	s_wait_kmcnt 0x0
	s_set_vgpr_msb 16                       ;  msbs: dst=0 src0=0 src1=0 src2=1
	v_mad_u32_u24 v3, v1, s13, v50 /*v306*/
	s_mov_b32 s13, exec_lo
	s_delay_alu instid0(VALU_DEP_1) | instskip(SKIP_1) | instid1(VALU_DEP_1)
	v_dual_mov_b32 v3, 0 :: v_dual_bitop2_b32 v4, 31, v3 bitop3:0x40
	s_set_vgpr_msb 1                        ;  msbs: dst=0 src0=1 src1=0 src2=0
	v_add_nc_u64_e32 v[4:5], v[36:37] /*v[292:293]*/, v[4:5]
	s_delay_alu instid0(VALU_DEP_1)
	v_cmpx_gt_i64_e64 s[4:5], v[4:5]
	s_set_vgpr_msb 0                        ;  msbs: dst=0 src0=0 src1=0 src2=0
	s_cbranch_execz .LBB176_216
; %bb.215:                              ;   in Loop: Header=BB176_145 Depth=1
	v_lshl_add_u64 v[4:5], v[4:5], 2, s[14:15]
	global_load_b32 v3, v[4:5], off
.LBB176_216:                            ;   in Loop: Header=BB176_145 Depth=1
	s_wait_xcnt 0x0
	s_or_b32 exec_lo, exec_lo, s13
	v_add_nc_u64_e32 v[4:5], v[164:165], v[162:163]
	global_load_u16 v4, v[4:5], off
	s_wait_loadcnt 0x0
	v_cvt_f32_f16_e32 v6, v4
	v_add_nc_u64_e32 v[4:5], v[166:167], v[162:163]
	global_load_u16 v4, v[4:5], off
	s_wait_loadcnt 0x0
	v_cvt_f32_f16_e32 v7, v4
	;; [unrolled: 4-line block ×30, first 2 shown]
	v_add_nc_u64_e32 v[4:5], v[92:93], v[162:163]
	global_load_u16 v4, v[4:5], off
	s_wait_loadcnt 0x0
	s_set_vgpr_msb 64                       ;  msbs: dst=1 src0=0 src1=0 src2=0
	v_cvt_f32_f16_e64 v36 /*v292*/, v4
	s_set_vgpr_msb 0                        ;  msbs: dst=0 src0=0 src1=0 src2=0
	v_add_nc_u64_e32 v[4:5], v[94:95], v[162:163]
	global_load_u16 v4, v[4:5], off
	s_wait_loadcnt 0x0
	s_set_vgpr_msb 64                       ;  msbs: dst=1 src0=0 src1=0 src2=0
	v_cvt_f32_f16_e64 v37 /*v293*/, v4
	s_set_vgpr_msb 0                        ;  msbs: dst=0 src0=0 src1=0 src2=0
	;; [unrolled: 6-line block ×10, first 2 shown]
	v_add_nc_u64_e32 v[4:5], v[112:113], v[162:163]
	s_set_vgpr_msb 64                       ;  msbs: dst=1 src0=0 src1=0 src2=0
	global_load_u16 v46 /*v302*/, v[4:5], off
	s_wait_xcnt 0x0
	s_set_vgpr_msb 0                        ;  msbs: dst=0 src0=0 src1=0 src2=0
	v_add_nc_u64_e32 v[4:5], v[114:115], v[162:163]
	s_set_vgpr_msb 64                       ;  msbs: dst=1 src0=0 src1=0 src2=0
	global_load_u16 v47 /*v303*/, v[4:5], off
	s_wait_xcnt 0x0
	s_set_vgpr_msb 0                        ;  msbs: dst=0 src0=0 src1=0 src2=0
	;; [unrolled: 5-line block ×24, first 2 shown]
	ds_bpermute_b32 v4, v2, v3
	v_mul_f32_e32 v5, v6, v7
	s_wait_dscnt 0x0
	s_set_vgpr_msb 64                       ;  msbs: dst=1 src0=0 src1=0 src2=0
	s_delay_alu instid0(VALU_DEP_1)
	v_fmac_f32_e32 v51 /*v307*/, v5, v4
	s_set_vgpr_msb 0                        ;  msbs: dst=0 src0=0 src1=0 src2=0
	ds_bpermute_b32 v4, v2, v3 offset:4
	v_mul_f32_e32 v5, v8, v9
	s_wait_dscnt 0x0
	s_set_vgpr_msb 64                       ;  msbs: dst=1 src0=0 src1=0 src2=0
	s_delay_alu instid0(VALU_DEP_1)
	v_fmac_f32_e32 v51 /*v307*/, v5, v4
	s_set_vgpr_msb 0                        ;  msbs: dst=0 src0=0 src1=0 src2=0
	ds_bpermute_b32 v4, v2, v3 offset:8
	;; [unrolled: 7-line block ×6, first 2 shown]
	v_mul_f32_e32 v5, v18, v19
	s_wait_loadcnt 0x17
	s_set_vgpr_msb 1                        ;  msbs: dst=0 src0=1 src1=0 src2=0
	v_cvt_f32_f16_e64 v6, v46 /*v302*/
	s_wait_loadcnt 0x16
	v_cvt_f32_f16_e64 v8, v47 /*v303*/
	s_wait_dscnt 0x0
	s_set_vgpr_msb 64                       ;  msbs: dst=1 src0=0 src1=0 src2=0
	v_fmac_f32_e32 v51 /*v307*/, v5, v4
	s_set_vgpr_msb 0                        ;  msbs: dst=0 src0=0 src1=0 src2=0
	ds_bpermute_b32 v4, v2, v3 offset:28
	v_mul_f32_e32 v5, v20, v21
	s_wait_loadcnt 0x15
	s_set_vgpr_msb 1                        ;  msbs: dst=0 src0=1 src1=0 src2=0
	v_cvt_f32_f16_e64 v7, v48 /*v304*/
	s_wait_loadcnt 0x14
	v_cvt_f32_f16_e64 v9, v49 /*v305*/
	s_set_vgpr_msb 0                        ;  msbs: dst=0 src0=0 src1=0 src2=0
	s_delay_alu instid0(VALU_DEP_1)
	v_pk_mul_f32 v[6:7], v[6:7], v[8:9]
	s_wait_dscnt 0x0
	s_set_vgpr_msb 64                       ;  msbs: dst=1 src0=0 src1=0 src2=0
	v_fmac_f32_e32 v51 /*v307*/, v5, v4
	s_set_vgpr_msb 0                        ;  msbs: dst=0 src0=0 src1=0 src2=0
	ds_bpermute_b32 v4, v2, v3 offset:32
	v_mul_f32_e32 v5, v22, v23
	s_wait_loadcnt 0x12
	s_set_vgpr_msb 1                        ;  msbs: dst=0 src0=1 src1=0 src2=0
	v_cvt_f32_f16_e64 v8, v53 /*v309*/
	s_wait_dscnt 0x0
	s_set_vgpr_msb 64                       ;  msbs: dst=1 src0=0 src1=0 src2=0
	v_fmac_f32_e32 v51 /*v307*/, v5, v4
	s_set_vgpr_msb 0                        ;  msbs: dst=0 src0=0 src1=0 src2=0
	ds_bpermute_b32 v4, v2, v3 offset:36
	v_mul_f32_e32 v5, v24, v25
	s_wait_loadcnt 0x10
	s_set_vgpr_msb 1                        ;  msbs: dst=0 src0=1 src1=0 src2=0
	v_cvt_f32_f16_e64 v9, v55 /*v311*/
	s_wait_dscnt 0x0
	s_set_vgpr_msb 64                       ;  msbs: dst=1 src0=0 src1=0 src2=0
	v_fmac_f32_e32 v51 /*v307*/, v5, v4
	s_set_vgpr_msb 0                        ;  msbs: dst=0 src0=0 src1=0 src2=0
	ds_bpermute_b32 v4, v2, v3 offset:40
	v_mul_f32_e32 v5, v26, v27
	s_wait_dscnt 0x0
	s_set_vgpr_msb 64                       ;  msbs: dst=1 src0=0 src1=0 src2=0
	s_delay_alu instid0(VALU_DEP_1)
	v_fmac_f32_e32 v51 /*v307*/, v5, v4
	s_set_vgpr_msb 0                        ;  msbs: dst=0 src0=0 src1=0 src2=0
	ds_bpermute_b32 v4, v2, v3 offset:44
	v_mul_f32_e32 v5, v28, v29
	s_wait_dscnt 0x0
	s_set_vgpr_msb 64                       ;  msbs: dst=1 src0=0 src1=0 src2=0
	s_delay_alu instid0(VALU_DEP_1)
	;; [unrolled: 7-line block ×5, first 2 shown]
	v_fmac_f32_e32 v51 /*v307*/, v5, v4
	s_set_vgpr_msb 0                        ;  msbs: dst=0 src0=0 src1=0 src2=0
	ds_bpermute_b32 v4, v2, v3 offset:60
	s_set_vgpr_msb 5                        ;  msbs: dst=0 src0=1 src1=1 src2=0
	v_mul_f32_e32 v5, v36 /*v292*/, v37 /*v293*/
	s_wait_dscnt 0x0
	s_set_vgpr_msb 64                       ;  msbs: dst=1 src0=0 src1=0 src2=0
	s_delay_alu instid0(VALU_DEP_1)
	v_fmac_f32_e32 v51 /*v307*/, v5, v4
	s_set_vgpr_msb 0                        ;  msbs: dst=0 src0=0 src1=0 src2=0
	ds_bpermute_b32 v4, v2, v3 offset:64
	s_set_vgpr_msb 5                        ;  msbs: dst=0 src0=1 src1=1 src2=0
	v_mul_f32_e32 v5, v38 /*v294*/, v39 /*v295*/
	s_wait_dscnt 0x0
	s_set_vgpr_msb 64                       ;  msbs: dst=1 src0=0 src1=0 src2=0
	s_delay_alu instid0(VALU_DEP_1)
	;; [unrolled: 8-line block ×5, first 2 shown]
	v_fmac_f32_e32 v51 /*v307*/, v5, v4
	s_set_vgpr_msb 0                        ;  msbs: dst=0 src0=0 src1=0 src2=0
	ds_bpermute_b32 v4, v2, v3 offset:80
	ds_bpermute_b32 v5, v2, v3 offset:84
	s_wait_dscnt 0x0
	v_pk_mul_f32 v[4:5], v[6:7], v[4:5]
	s_set_vgpr_msb 1                        ;  msbs: dst=0 src0=1 src1=0 src2=0
	v_cvt_f32_f16_e64 v7, v54 /*v310*/
	v_cvt_f32_f16_e64 v6, v52 /*v308*/
	s_delay_alu instid0(VALU_DEP_3) | instskip(SKIP_1) | instid1(VALU_DEP_2)
	v_add_f32_e32 v4, v51 /*v307*/, v4
	s_set_vgpr_msb 0                        ;  msbs: dst=0 src0=0 src1=0 src2=0
	v_pk_mul_f32 v[6:7], v[6:7], v[8:9]
	s_wait_loadcnt 0xc
	s_set_vgpr_msb 1                        ;  msbs: dst=0 src0=1 src1=0 src2=0
	v_cvt_f32_f16_e64 v9, v59 /*v315*/
	v_cvt_f32_f16_e64 v8, v57 /*v313*/
	s_set_vgpr_msb 0                        ;  msbs: dst=0 src0=0 src1=0 src2=0
	v_add_f32_e32 v10, v4, v5
	ds_bpermute_b32 v4, v2, v3 offset:88
	ds_bpermute_b32 v5, v2, v3 offset:92
	s_wait_dscnt 0x0
	v_pk_mul_f32 v[4:5], v[6:7], v[4:5]
	s_set_vgpr_msb 1                        ;  msbs: dst=0 src0=1 src1=0 src2=0
	v_cvt_f32_f16_e64 v7, v58 /*v314*/
	v_cvt_f32_f16_e64 v6, v56 /*v312*/
	s_set_vgpr_msb 0                        ;  msbs: dst=0 src0=0 src1=0 src2=0
	v_add_f32_e32 v4, v10, v4
	s_delay_alu instid0(VALU_DEP_2)
	v_pk_mul_f32 v[6:7], v[6:7], v[8:9]
	s_wait_loadcnt 0x8
	s_set_vgpr_msb 1                        ;  msbs: dst=0 src0=1 src1=0 src2=0
	v_cvt_f32_f16_e64 v9, v63 /*v319*/
	v_cvt_f32_f16_e64 v8, v61 /*v317*/
	s_set_vgpr_msb 0                        ;  msbs: dst=0 src0=0 src1=0 src2=0
	v_add_f32_e32 v10, v4, v5
	ds_bpermute_b32 v4, v2, v3 offset:96
	ds_bpermute_b32 v5, v2, v3 offset:100
	s_wait_dscnt 0x0
	v_pk_mul_f32 v[4:5], v[6:7], v[4:5]
	s_set_vgpr_msb 1                        ;  msbs: dst=0 src0=1 src1=0 src2=0
	v_cvt_f32_f16_e64 v7, v62 /*v318*/
	v_cvt_f32_f16_e64 v6, v60 /*v316*/
	s_set_vgpr_msb 0                        ;  msbs: dst=0 src0=0 src1=0 src2=0
	v_add_f32_e32 v4, v10, v4
	s_delay_alu instid0(VALU_DEP_2)
	;; [unrolled: 17-line block ×3, first 2 shown]
	v_pk_mul_f32 v[6:7], v[6:7], v[8:9]
	s_wait_loadcnt 0x0
	s_set_vgpr_msb 1                        ;  msbs: dst=0 src0=1 src1=0 src2=0
	v_cvt_f32_f16_e64 v9, v71 /*v327*/
	v_cvt_f32_f16_e64 v8, v69 /*v325*/
	s_set_vgpr_msb 0                        ;  msbs: dst=0 src0=0 src1=0 src2=0
	v_add_f32_e32 v10, v4, v5
	ds_bpermute_b32 v4, v2, v3 offset:112
	ds_bpermute_b32 v5, v2, v3 offset:116
	s_wait_dscnt 0x0
	v_pk_mul_f32 v[4:5], v[6:7], v[4:5]
	s_set_vgpr_msb 1                        ;  msbs: dst=0 src0=1 src1=0 src2=0
	v_cvt_f32_f16_e64 v7, v70 /*v326*/
	v_cvt_f32_f16_e64 v6, v68 /*v324*/
	s_set_vgpr_msb 0                        ;  msbs: dst=0 src0=0 src1=0 src2=0
	v_add_f32_e32 v4, v10, v4
	s_delay_alu instid0(VALU_DEP_2) | instskip(NEXT) | instid1(VALU_DEP_2)
	v_pk_mul_f32 v[6:7], v[6:7], v[8:9]
	v_add_f32_e32 v10, v4, v5
	ds_bpermute_b32 v4, v2, v3 offset:120
	ds_bpermute_b32 v5, v2, v3 offset:124
	s_wait_dscnt 0x0
	v_pk_mul_f32 v[4:5], v[6:7], v[4:5]
	s_delay_alu instid0(VALU_DEP_1) | instskip(SKIP_1) | instid1(VALU_DEP_1)
	v_add_f32_e32 v3, v10, v4
	s_set_vgpr_msb 64                       ;  msbs: dst=1 src0=0 src1=0 src2=0
	v_add_f32_e32 v38 /*v294*/, v3, v5
.LBB176_217:                            ;   in Loop: Header=BB176_145 Depth=1
	s_add_nc_u64 s[24:25], s[24:25], s[20:21]
	s_set_vgpr_msb 0                        ;  msbs: dst=0 src0=0 src1=0 src2=0
	v_add_nc_u64_e32 v[164:165], s[8:9], v[164:165]
	v_cmp_ge_i64_e64 s13, s[24:25], s[4:5]
	v_add_nc_u64_e32 v[166:167], s[8:9], v[166:167]
	v_add_nc_u64_e32 v[36:37], s[8:9], v[36:37]
	;; [unrolled: 1-line block ×108, first 2 shown]
	s_set_vgpr_msb 0x44                     ;  msbs: dst=1 src0=0 src1=1 src2=0
	v_add_nc_u64_e32 v[0:1] /*v[256:257]*/, s[8:9], v[0:1] /*v[256:257]*/
	v_add_nc_u64_e32 v[2:3] /*v[258:259]*/, s[8:9], v[2:3] /*v[258:259]*/
	;; [unrolled: 1-line block ×18, first 2 shown]
	s_and_b32 vcc_lo, exec_lo, s13
	s_add_nc_u64 s[10:11], s[10:11], s[20:21]
	s_set_vgpr_msb 0                        ;  msbs: dst=0 src0=0 src1=0 src2=0
	s_cbranch_vccnz .LBB176_219
; %bb.218:                              ;   in Loop: Header=BB176_145 Depth=1
	s_set_vgpr_msb 0x41                     ;  msbs: dst=1 src0=1 src1=0 src2=0
	v_mov_b32_e32 v51 /*v307*/, v38 /*v294*/
	s_set_vgpr_msb 0                        ;  msbs: dst=0 src0=0 src1=0 src2=0
	s_branch .LBB176_145
.LBB176_219:
	s_mov_b32 s13, 0
	s_delay_alu instid0(SALU_CYCLE_1)
	s_lshl_b64 s[4:5], s[12:13], 5
	s_wait_kmcnt 0x0
	s_cmp_lg_u64 s[2:3], 0
	v_and_or_b32 v2, 0x3ff, v0, s4
	v_mov_b32_e32 v3, s5
	s_cselect_b32 s4, -1, 0
	s_delay_alu instid0(VALU_DEP_1) | instskip(SKIP_1) | instid1(SALU_CYCLE_1)
	v_cmp_gt_i64_e32 vcc_lo, s[6:7], v[2:3]
	s_and_b32 s4, vcc_lo, s4
	s_and_saveexec_b32 s5, s4
	s_cbranch_execz .LBB176_221
; %bb.220:
	s_load_u16 s0, s[0:1], 0x4e
	v_bfe_u32 v0, v0, 10, 10
	v_mov_b32_e32 v1, 0
	s_set_vgpr_msb 1                        ;  msbs: dst=0 src0=1 src1=0 src2=0
	v_cvt_f16_f32_e64 v4, v38 /*v294*/
	s_wait_kmcnt 0x0
	s_delay_alu instid0(VALU_DEP_2) | instskip(NEXT) | instid1(VALU_DEP_1)
	v_mad_nc_u64_u32 v[0:1], s0, s30, v[0:1]
	v_mul_u64_e32 v[0:1], s[6:7], v[0:1]
	s_set_vgpr_msb 0                        ;  msbs: dst=0 src0=0 src1=0 src2=0
	s_delay_alu instid0(VALU_DEP_1) | instskip(NEXT) | instid1(VALU_DEP_1)
	v_lshl_add_u64 v[0:1], v[0:1], 1, s[2:3]
	v_lshl_add_u64 v[0:1], v[2:3], 1, v[0:1]
	global_store_b16 v[0:1], v4, off
.LBB176_221:
	s_sendmsg sendmsg(MSG_DEALLOC_VGPRS)
	s_endpgm
	.section	.rodata,"a",@progbits
	.p2align	6, 0x0
	.amdhsa_kernel _ZN2at6native12_GLOBAL__N_135GammaBetaBackwardCUDAKernelTemplateIN3c104HalfEfLj32ELj1ELj32ELb1ELb0ELb1EEEvllPKT_S7_PKT0_SA_PS5_SB_
		.amdhsa_group_segment_fixed_size 0
		.amdhsa_private_segment_fixed_size 0
		.amdhsa_kernarg_size 320
		.amdhsa_user_sgpr_count 2
		.amdhsa_user_sgpr_dispatch_ptr 0
		.amdhsa_user_sgpr_queue_ptr 0
		.amdhsa_user_sgpr_kernarg_segment_ptr 1
		.amdhsa_user_sgpr_dispatch_id 0
		.amdhsa_user_sgpr_kernarg_preload_length 0
		.amdhsa_user_sgpr_kernarg_preload_offset 0
		.amdhsa_user_sgpr_private_segment_size 0
		.amdhsa_wavefront_size32 1
		.amdhsa_uses_dynamic_stack 0
		.amdhsa_enable_private_segment 0
		.amdhsa_system_sgpr_workgroup_id_x 1
		.amdhsa_system_sgpr_workgroup_id_y 1
		.amdhsa_system_sgpr_workgroup_id_z 0
		.amdhsa_system_sgpr_workgroup_info 0
		.amdhsa_system_vgpr_workitem_id 1
		.amdhsa_next_free_vgpr 332
		.amdhsa_next_free_sgpr 36
		.amdhsa_named_barrier_count 0
		.amdhsa_reserve_vcc 1
		.amdhsa_float_round_mode_32 0
		.amdhsa_float_round_mode_16_64 0
		.amdhsa_float_denorm_mode_32 3
		.amdhsa_float_denorm_mode_16_64 3
		.amdhsa_fp16_overflow 0
		.amdhsa_memory_ordered 1
		.amdhsa_forward_progress 1
		.amdhsa_inst_pref_size 156
		.amdhsa_round_robin_scheduling 0
		.amdhsa_exception_fp_ieee_invalid_op 0
		.amdhsa_exception_fp_denorm_src 0
		.amdhsa_exception_fp_ieee_div_zero 0
		.amdhsa_exception_fp_ieee_overflow 0
		.amdhsa_exception_fp_ieee_underflow 0
		.amdhsa_exception_fp_ieee_inexact 0
		.amdhsa_exception_int_div_zero 0
	.end_amdhsa_kernel
	.section	.text._ZN2at6native12_GLOBAL__N_135GammaBetaBackwardCUDAKernelTemplateIN3c104HalfEfLj32ELj1ELj32ELb1ELb0ELb1EEEvllPKT_S7_PKT0_SA_PS5_SB_,"axG",@progbits,_ZN2at6native12_GLOBAL__N_135GammaBetaBackwardCUDAKernelTemplateIN3c104HalfEfLj32ELj1ELj32ELb1ELb0ELb1EEEvllPKT_S7_PKT0_SA_PS5_SB_,comdat
.Lfunc_end176:
	.size	_ZN2at6native12_GLOBAL__N_135GammaBetaBackwardCUDAKernelTemplateIN3c104HalfEfLj32ELj1ELj32ELb1ELb0ELb1EEEvllPKT_S7_PKT0_SA_PS5_SB_, .Lfunc_end176-_ZN2at6native12_GLOBAL__N_135GammaBetaBackwardCUDAKernelTemplateIN3c104HalfEfLj32ELj1ELj32ELb1ELb0ELb1EEEvllPKT_S7_PKT0_SA_PS5_SB_
                                        ; -- End function
	.set _ZN2at6native12_GLOBAL__N_135GammaBetaBackwardCUDAKernelTemplateIN3c104HalfEfLj32ELj1ELj32ELb1ELb0ELb1EEEvllPKT_S7_PKT0_SA_PS5_SB_.num_vgpr, 332
	.set _ZN2at6native12_GLOBAL__N_135GammaBetaBackwardCUDAKernelTemplateIN3c104HalfEfLj32ELj1ELj32ELb1ELb0ELb1EEEvllPKT_S7_PKT0_SA_PS5_SB_.num_agpr, 0
	.set _ZN2at6native12_GLOBAL__N_135GammaBetaBackwardCUDAKernelTemplateIN3c104HalfEfLj32ELj1ELj32ELb1ELb0ELb1EEEvllPKT_S7_PKT0_SA_PS5_SB_.numbered_sgpr, 36
	.set _ZN2at6native12_GLOBAL__N_135GammaBetaBackwardCUDAKernelTemplateIN3c104HalfEfLj32ELj1ELj32ELb1ELb0ELb1EEEvllPKT_S7_PKT0_SA_PS5_SB_.num_named_barrier, 0
	.set _ZN2at6native12_GLOBAL__N_135GammaBetaBackwardCUDAKernelTemplateIN3c104HalfEfLj32ELj1ELj32ELb1ELb0ELb1EEEvllPKT_S7_PKT0_SA_PS5_SB_.private_seg_size, 0
	.set _ZN2at6native12_GLOBAL__N_135GammaBetaBackwardCUDAKernelTemplateIN3c104HalfEfLj32ELj1ELj32ELb1ELb0ELb1EEEvllPKT_S7_PKT0_SA_PS5_SB_.uses_vcc, 1
	.set _ZN2at6native12_GLOBAL__N_135GammaBetaBackwardCUDAKernelTemplateIN3c104HalfEfLj32ELj1ELj32ELb1ELb0ELb1EEEvllPKT_S7_PKT0_SA_PS5_SB_.uses_flat_scratch, 0
	.set _ZN2at6native12_GLOBAL__N_135GammaBetaBackwardCUDAKernelTemplateIN3c104HalfEfLj32ELj1ELj32ELb1ELb0ELb1EEEvllPKT_S7_PKT0_SA_PS5_SB_.has_dyn_sized_stack, 0
	.set _ZN2at6native12_GLOBAL__N_135GammaBetaBackwardCUDAKernelTemplateIN3c104HalfEfLj32ELj1ELj32ELb1ELb0ELb1EEEvllPKT_S7_PKT0_SA_PS5_SB_.has_recursion, 0
	.set _ZN2at6native12_GLOBAL__N_135GammaBetaBackwardCUDAKernelTemplateIN3c104HalfEfLj32ELj1ELj32ELb1ELb0ELb1EEEvllPKT_S7_PKT0_SA_PS5_SB_.has_indirect_call, 0
	.section	.AMDGPU.csdata,"",@progbits
; Kernel info:
; codeLenInByte = 19920
; TotalNumSgprs: 38
; NumVgprs: 332
; ScratchSize: 0
; MemoryBound: 0
; FloatMode: 240
; IeeeMode: 1
; LDSByteSize: 0 bytes/workgroup (compile time only)
; SGPRBlocks: 0
; VGPRBlocks: 20
; NumSGPRsForWavesPerEU: 38
; NumVGPRsForWavesPerEU: 332
; NamedBarCnt: 0
; Occupancy: 3
; WaveLimiterHint : 0
; COMPUTE_PGM_RSRC2:SCRATCH_EN: 0
; COMPUTE_PGM_RSRC2:USER_SGPR: 2
; COMPUTE_PGM_RSRC2:TRAP_HANDLER: 0
; COMPUTE_PGM_RSRC2:TGID_X_EN: 1
; COMPUTE_PGM_RSRC2:TGID_Y_EN: 1
; COMPUTE_PGM_RSRC2:TGID_Z_EN: 0
; COMPUTE_PGM_RSRC2:TIDIG_COMP_CNT: 1
	.section	.text._ZN2at6native12_GLOBAL__N_135GammaBetaBackwardCUDAKernelTemplateIN3c104HalfEfLj32ELj1ELj8ELb1ELb1ELb1EEEvllPKT_S7_PKT0_SA_PS5_SB_,"axG",@progbits,_ZN2at6native12_GLOBAL__N_135GammaBetaBackwardCUDAKernelTemplateIN3c104HalfEfLj32ELj1ELj8ELb1ELb1ELb1EEEvllPKT_S7_PKT0_SA_PS5_SB_,comdat
	.globl	_ZN2at6native12_GLOBAL__N_135GammaBetaBackwardCUDAKernelTemplateIN3c104HalfEfLj32ELj1ELj8ELb1ELb1ELb1EEEvllPKT_S7_PKT0_SA_PS5_SB_ ; -- Begin function _ZN2at6native12_GLOBAL__N_135GammaBetaBackwardCUDAKernelTemplateIN3c104HalfEfLj32ELj1ELj8ELb1ELb1ELb1EEEvllPKT_S7_PKT0_SA_PS5_SB_
	.p2align	8
	.type	_ZN2at6native12_GLOBAL__N_135GammaBetaBackwardCUDAKernelTemplateIN3c104HalfEfLj32ELj1ELj8ELb1ELb1ELb1EEEvllPKT_S7_PKT0_SA_PS5_SB_,@function
_ZN2at6native12_GLOBAL__N_135GammaBetaBackwardCUDAKernelTemplateIN3c104HalfEfLj32ELj1ELj8ELb1ELb1ELb1EEEvllPKT_S7_PKT0_SA_PS5_SB_: ; @_ZN2at6native12_GLOBAL__N_135GammaBetaBackwardCUDAKernelTemplateIN3c104HalfEfLj32ELj1ELj8ELb1ELb1ELb1EEEvllPKT_S7_PKT0_SA_PS5_SB_
; %bb.0:
	s_load_b128 s[4:7], s[0:1], 0x0
	s_bfe_u32 s2, ttmp6, 0x40010
	s_bfe_u32 s3, ttmp6, 0x40004
	s_add_co_i32 s2, s2, 1
	s_getreg_b32 s22, hwreg(HW_REG_IB_STS2, 6, 4)
	s_mul_i32 s2, ttmp7, s2
	s_mov_b32 s13, 0
	s_add_co_i32 s3, s3, s2
	s_cmp_eq_u32 s22, 0
	v_mov_b32_e32 v1, 0
	s_cselect_b32 s23, ttmp7, s3
	v_bfe_u32 v2, v0, 10, 10
	s_lshl_b32 s12, s23, 3
	v_and_b32_e32 v10, 0x3ff, v0
	s_wait_kmcnt 0x0
	v_cmp_le_i64_e64 s2, s[4:5], s[12:13]
	s_and_b32 vcc_lo, exec_lo, s2
	s_cbranch_vccnz .LBB177_8
; %bb.1:
	v_dual_mov_b32 v1, 0 :: v_dual_lshlrev_b32 v0, 3, v2
	s_load_b32 s2, s[0:1], 0x4c
	s_bfe_u32 s15, ttmp6, 0x4000c
	s_clause 0x2
	s_load_b32 s3, s[0:1], 0x44
	s_load_b128 s[8:11], s[0:1], 0x10
	s_load_b64 s[16:17], s[0:1], 0x28
	s_add_co_i32 s15, s15, 1
	v_add_nc_u64_e32 v[4:5], s[12:13], v[0:1]
	s_and_b32 s14, ttmp6, 15
	s_mul_i32 s15, ttmp9, s15
	v_dual_mov_b32 v11, 12 :: v_dual_mov_b32 v7, v1
	s_add_co_i32 s14, s14, s15
	s_mov_b32 s15, s13
	s_delay_alu instid0(VALU_DEP_2)
	v_mul_u64_e32 v[8:9], s[6:7], v[4:5]
	v_dual_mov_b32 v0, 8 :: v_dual_mov_b32 v3, 4
	v_dual_mov_b32 v12, 16 :: v_dual_mov_b32 v13, 20
	;; [unrolled: 1-line block ×3, first 2 shown]
	s_wait_kmcnt 0x0
	s_and_b32 s2, s2, 0xffff
	s_cmp_eq_u32 s22, 0
	v_mad_u32_u24 v6, v2, s2, v10
	s_cselect_b32 s2, ttmp9, s14
	v_mov_b32_e32 v17, v1
	v_lshl_or_b32 v16, s2, 5, v10
	s_lshl_b32 s14, s3, 3
	v_and_b32_e32 v6, 31, v6
	s_mul_u64 s[18:19], s[6:7], s[14:15]
	s_lshl_b64 s[20:21], s[6:7], 1
	v_lshlrev_b64_e32 v[16:17], 1, v[16:17]
	s_lshl_b64 s[18:19], s[18:19], 1
	v_add_nc_u64_e32 v[4:5], v[4:5], v[6:7]
	v_cmp_gt_u32_e64 s2, 8, v6
	s_delay_alu instid0(VALU_DEP_2)
	v_lshl_add_u64 v[6:7], v[4:5], 2, s[16:17]
	s_lshl_b64 s[16:17], s[14:15], 2
	v_lshl_add_u64 v[8:9], v[8:9], 1, v[16:17]
	v_mov_b32_e32 v16, 0
	s_branch .LBB177_4
.LBB177_2:                              ;   in Loop: Header=BB177_4 Depth=1
	s_wait_xcnt 0x0
	s_or_b32 exec_lo, exec_lo, s24
.LBB177_3:                              ;   in Loop: Header=BB177_4 Depth=1
	s_delay_alu instid0(SALU_CYCLE_1)
	s_or_b32 exec_lo, exec_lo, s3
	v_add_nc_u64_e32 v[18:19], s[8:9], v[8:9]
	v_add_nc_u64_e32 v[20:21], s[10:11], v[8:9]
	s_add_nc_u64 s[12:13], s[12:13], s[14:15]
	v_add_nc_u64_e32 v[6:7], s[16:17], v[6:7]
	v_cmp_lt_i64_e64 s3, s[12:13], s[4:5]
	v_add_nc_u64_e32 v[4:5], s[14:15], v[4:5]
	v_add_nc_u64_e32 v[8:9], s[18:19], v[8:9]
	;; [unrolled: 1-line block ×4, first 2 shown]
	global_load_u16 v30, v[18:19], off
	global_load_u16 v31, v[20:21], off
	;; [unrolled: 1-line block ×4, first 2 shown]
	s_and_b32 vcc_lo, exec_lo, s3
	v_add_nc_u64_e32 v[26:27], s[20:21], v[22:23]
	v_add_nc_u64_e32 v[28:29], s[20:21], v[24:25]
	global_load_u16 v34, v[26:27], off
	global_load_u16 v35, v[28:29], off
	s_wait_xcnt 0x5
	v_add_nc_u64_e32 v[18:19], s[20:21], v[26:27]
	s_wait_xcnt 0x4
	v_add_nc_u64_e32 v[20:21], s[20:21], v[28:29]
	global_load_u16 v27, v[18:19], off
	global_load_u16 v28, v[20:21], off
	v_add_nc_u64_e32 v[22:23], s[20:21], v[18:19]
	v_add_nc_u64_e32 v[24:25], s[20:21], v[20:21]
	global_load_u16 v29, v[22:23], off
	global_load_u16 v36, v[24:25], off
	s_wait_xcnt 0x3
	v_add_nc_u64_e32 v[18:19], s[20:21], v[22:23]
	s_wait_xcnt 0x2
	v_add_nc_u64_e32 v[20:21], s[20:21], v[24:25]
	global_load_u16 v37, v[18:19], off
	global_load_u16 v38, v[20:21], off
	s_wait_xcnt 0x3
	v_add_nc_u64_e32 v[22:23], s[20:21], v[18:19]
	s_wait_xcnt 0x2
	v_add_nc_u64_e32 v[24:25], s[20:21], v[20:21]
	s_wait_xcnt 0x1
	s_delay_alu instid0(VALU_DEP_2) | instskip(SKIP_1) | instid1(VALU_DEP_2)
	v_add_nc_u64_e32 v[18:19], s[20:21], v[22:23]
	s_wait_xcnt 0x0
	v_add_nc_u64_e32 v[20:21], s[20:21], v[24:25]
	global_load_u16 v39, v[22:23], off
	global_load_u16 v40, v[24:25], off
	;; [unrolled: 1-line block ×4, first 2 shown]
	s_wait_loadcnt 0x10
	s_wait_xcnt 0x1
	ds_bpermute_b32 v18, v1, v17
	ds_bpermute_b32 v19, v3, v17
	;; [unrolled: 1-line block ×4, first 2 shown]
	s_wait_loadcnt 0xf
	s_wait_xcnt 0x0
	v_cvt_f32_f16_e32 v20, v30
	s_wait_loadcnt 0xe
	v_cvt_f32_f16_e32 v22, v31
	s_wait_loadcnt 0xd
	;; [unrolled: 2-line block ×3, first 2 shown]
	v_cvt_f32_f16_e32 v23, v33
	s_delay_alu instid0(VALU_DEP_1)
	v_pk_mul_f32 v[20:21], v[20:21], v[22:23]
	s_wait_loadcnt 0xb
	v_cvt_f32_f16_e32 v22, v34
	s_wait_loadcnt 0xa
	v_cvt_f32_f16_e32 v26, v35
	s_wait_dscnt 0x2
	v_pk_mul_f32 v[18:19], v[20:21], v[18:19]
	ds_bpermute_b32 v20, v12, v17
	ds_bpermute_b32 v21, v13, v17
	s_wait_loadcnt 0x9
	v_cvt_f32_f16_e32 v23, v27
	s_wait_loadcnt 0x8
	v_cvt_f32_f16_e32 v27, v28
	s_delay_alu instid0(VALU_DEP_1) | instskip(SKIP_1) | instid1(VALU_DEP_1)
	v_pk_mul_f32 v[22:23], v[22:23], v[26:27]
	s_wait_dscnt 0x2
	v_pk_mul_f32 v[22:23], v[22:23], v[24:25]
	v_add_f32_e32 v18, v16, v18
	ds_bpermute_b32 v16, v14, v17
	s_wait_loadcnt 0x6
	v_cvt_f32_f16_e32 v24, v36
	ds_bpermute_b32 v17, v15, v17
	v_add_f32_e32 v26, v18, v19
	v_cvt_f32_f16_e32 v18, v29
	s_wait_loadcnt 0x5
	v_cvt_f32_f16_e32 v19, v37
	s_wait_loadcnt 0x4
	v_cvt_f32_f16_e32 v25, v38
	v_add_f32_e32 v22, v26, v22
	s_delay_alu instid0(VALU_DEP_2) | instskip(NEXT) | instid1(VALU_DEP_2)
	v_pk_mul_f32 v[18:19], v[18:19], v[24:25]
	v_add_f32_e32 v26, v22, v23
	s_wait_loadcnt 0x3
	v_cvt_f32_f16_e32 v22, v39
	s_wait_loadcnt 0x2
	v_cvt_f32_f16_e32 v24, v40
	s_wait_dscnt 0x2
	v_pk_mul_f32 v[18:19], v[18:19], v[20:21]
	s_wait_loadcnt 0x1
	v_cvt_f32_f16_e32 v23, v41
	s_wait_loadcnt 0x0
	v_cvt_f32_f16_e32 v25, v42
	v_add_f32_e32 v18, v26, v18
	s_delay_alu instid0(VALU_DEP_2) | instskip(NEXT) | instid1(VALU_DEP_2)
	v_pk_mul_f32 v[20:21], v[22:23], v[24:25]
	v_add_f32_e32 v18, v18, v19
	s_wait_dscnt 0x0
	s_delay_alu instid0(VALU_DEP_2) | instskip(NEXT) | instid1(VALU_DEP_1)
	v_pk_mul_f32 v[16:17], v[20:21], v[16:17]
	v_add_f32_e32 v16, v18, v16
	s_delay_alu instid0(VALU_DEP_1)
	v_add_f32_e32 v16, v16, v17
	s_cbranch_vccz .LBB177_7
.LBB177_4:                              ; =>This Inner Loop Header: Depth=1
	v_mov_b32_e32 v17, 0
	s_and_saveexec_b32 s3, s2
	s_cbranch_execz .LBB177_3
; %bb.5:                                ;   in Loop: Header=BB177_4 Depth=1
	v_mov_b32_e32 v17, 0
	s_mov_b32 s24, exec_lo
	v_cmpx_gt_i64_e64 s[4:5], v[4:5]
	s_cbranch_execz .LBB177_2
; %bb.6:                                ;   in Loop: Header=BB177_4 Depth=1
	global_load_b32 v17, v[6:7], off
	s_branch .LBB177_2
.LBB177_7:
	s_delay_alu instid0(VALU_DEP_1)
	v_cvt_f16_f32_e32 v1, v16
.LBB177_8:
	s_load_b64 s[2:3], s[0:1], 0x30
	s_wait_kmcnt 0x0
	s_cmp_eq_u64 s[2:3], 0
	s_cbranch_scc1 .LBB177_10
; %bb.9:
	s_load_u16 s0, s[0:1], 0x4e
	v_mov_b32_e32 v3, 0
	s_and_b32 s4, ttmp6, 15
	s_wait_xcnt 0x0
	s_mov_b32 s1, 0
	s_wait_kmcnt 0x0
	v_mad_nc_u64_u32 v[4:5], s0, s23, v[2:3]
	s_bfe_u32 s0, ttmp6, 0x4000c
	v_lshlrev_b32_e32 v2, 1, v10
	s_add_co_i32 s0, s0, 1
	s_delay_alu instid0(SALU_CYCLE_1) | instskip(NEXT) | instid1(SALU_CYCLE_1)
	s_mul_i32 s0, ttmp9, s0
	s_add_co_i32 s4, s4, s0
	s_cmp_eq_u32 s22, 0
	s_cselect_b32 s0, ttmp9, s4
	s_delay_alu instid0(VALU_DEP_2) | instskip(SKIP_1) | instid1(VALU_DEP_1)
	v_mul_u64_e32 v[4:5], s[6:7], v[4:5]
	s_lshl_b64 s[0:1], s[0:1], 6
	v_lshl_add_u64 v[4:5], v[4:5], 1, s[2:3]
	s_delay_alu instid0(VALU_DEP_1) | instskip(NEXT) | instid1(VALU_DEP_1)
	v_add_nc_u64_e32 v[4:5], s[0:1], v[4:5]
	v_add_nc_u64_e32 v[2:3], v[4:5], v[2:3]
	global_store_b16 v[2:3], v1, off
.LBB177_10:
	s_endpgm
	.section	.rodata,"a",@progbits
	.p2align	6, 0x0
	.amdhsa_kernel _ZN2at6native12_GLOBAL__N_135GammaBetaBackwardCUDAKernelTemplateIN3c104HalfEfLj32ELj1ELj8ELb1ELb1ELb1EEEvllPKT_S7_PKT0_SA_PS5_SB_
		.amdhsa_group_segment_fixed_size 0
		.amdhsa_private_segment_fixed_size 0
		.amdhsa_kernarg_size 320
		.amdhsa_user_sgpr_count 2
		.amdhsa_user_sgpr_dispatch_ptr 0
		.amdhsa_user_sgpr_queue_ptr 0
		.amdhsa_user_sgpr_kernarg_segment_ptr 1
		.amdhsa_user_sgpr_dispatch_id 0
		.amdhsa_user_sgpr_kernarg_preload_length 0
		.amdhsa_user_sgpr_kernarg_preload_offset 0
		.amdhsa_user_sgpr_private_segment_size 0
		.amdhsa_wavefront_size32 1
		.amdhsa_uses_dynamic_stack 0
		.amdhsa_enable_private_segment 0
		.amdhsa_system_sgpr_workgroup_id_x 1
		.amdhsa_system_sgpr_workgroup_id_y 1
		.amdhsa_system_sgpr_workgroup_id_z 0
		.amdhsa_system_sgpr_workgroup_info 0
		.amdhsa_system_vgpr_workitem_id 1
		.amdhsa_next_free_vgpr 43
		.amdhsa_next_free_sgpr 25
		.amdhsa_named_barrier_count 0
		.amdhsa_reserve_vcc 1
		.amdhsa_float_round_mode_32 0
		.amdhsa_float_round_mode_16_64 0
		.amdhsa_float_denorm_mode_32 3
		.amdhsa_float_denorm_mode_16_64 3
		.amdhsa_fp16_overflow 0
		.amdhsa_memory_ordered 1
		.amdhsa_forward_progress 1
		.amdhsa_inst_pref_size 10
		.amdhsa_round_robin_scheduling 0
		.amdhsa_exception_fp_ieee_invalid_op 0
		.amdhsa_exception_fp_denorm_src 0
		.amdhsa_exception_fp_ieee_div_zero 0
		.amdhsa_exception_fp_ieee_overflow 0
		.amdhsa_exception_fp_ieee_underflow 0
		.amdhsa_exception_fp_ieee_inexact 0
		.amdhsa_exception_int_div_zero 0
	.end_amdhsa_kernel
	.section	.text._ZN2at6native12_GLOBAL__N_135GammaBetaBackwardCUDAKernelTemplateIN3c104HalfEfLj32ELj1ELj8ELb1ELb1ELb1EEEvllPKT_S7_PKT0_SA_PS5_SB_,"axG",@progbits,_ZN2at6native12_GLOBAL__N_135GammaBetaBackwardCUDAKernelTemplateIN3c104HalfEfLj32ELj1ELj8ELb1ELb1ELb1EEEvllPKT_S7_PKT0_SA_PS5_SB_,comdat
.Lfunc_end177:
	.size	_ZN2at6native12_GLOBAL__N_135GammaBetaBackwardCUDAKernelTemplateIN3c104HalfEfLj32ELj1ELj8ELb1ELb1ELb1EEEvllPKT_S7_PKT0_SA_PS5_SB_, .Lfunc_end177-_ZN2at6native12_GLOBAL__N_135GammaBetaBackwardCUDAKernelTemplateIN3c104HalfEfLj32ELj1ELj8ELb1ELb1ELb1EEEvllPKT_S7_PKT0_SA_PS5_SB_
                                        ; -- End function
	.set _ZN2at6native12_GLOBAL__N_135GammaBetaBackwardCUDAKernelTemplateIN3c104HalfEfLj32ELj1ELj8ELb1ELb1ELb1EEEvllPKT_S7_PKT0_SA_PS5_SB_.num_vgpr, 43
	.set _ZN2at6native12_GLOBAL__N_135GammaBetaBackwardCUDAKernelTemplateIN3c104HalfEfLj32ELj1ELj8ELb1ELb1ELb1EEEvllPKT_S7_PKT0_SA_PS5_SB_.num_agpr, 0
	.set _ZN2at6native12_GLOBAL__N_135GammaBetaBackwardCUDAKernelTemplateIN3c104HalfEfLj32ELj1ELj8ELb1ELb1ELb1EEEvllPKT_S7_PKT0_SA_PS5_SB_.numbered_sgpr, 25
	.set _ZN2at6native12_GLOBAL__N_135GammaBetaBackwardCUDAKernelTemplateIN3c104HalfEfLj32ELj1ELj8ELb1ELb1ELb1EEEvllPKT_S7_PKT0_SA_PS5_SB_.num_named_barrier, 0
	.set _ZN2at6native12_GLOBAL__N_135GammaBetaBackwardCUDAKernelTemplateIN3c104HalfEfLj32ELj1ELj8ELb1ELb1ELb1EEEvllPKT_S7_PKT0_SA_PS5_SB_.private_seg_size, 0
	.set _ZN2at6native12_GLOBAL__N_135GammaBetaBackwardCUDAKernelTemplateIN3c104HalfEfLj32ELj1ELj8ELb1ELb1ELb1EEEvllPKT_S7_PKT0_SA_PS5_SB_.uses_vcc, 1
	.set _ZN2at6native12_GLOBAL__N_135GammaBetaBackwardCUDAKernelTemplateIN3c104HalfEfLj32ELj1ELj8ELb1ELb1ELb1EEEvllPKT_S7_PKT0_SA_PS5_SB_.uses_flat_scratch, 0
	.set _ZN2at6native12_GLOBAL__N_135GammaBetaBackwardCUDAKernelTemplateIN3c104HalfEfLj32ELj1ELj8ELb1ELb1ELb1EEEvllPKT_S7_PKT0_SA_PS5_SB_.has_dyn_sized_stack, 0
	.set _ZN2at6native12_GLOBAL__N_135GammaBetaBackwardCUDAKernelTemplateIN3c104HalfEfLj32ELj1ELj8ELb1ELb1ELb1EEEvllPKT_S7_PKT0_SA_PS5_SB_.has_recursion, 0
	.set _ZN2at6native12_GLOBAL__N_135GammaBetaBackwardCUDAKernelTemplateIN3c104HalfEfLj32ELj1ELj8ELb1ELb1ELb1EEEvllPKT_S7_PKT0_SA_PS5_SB_.has_indirect_call, 0
	.section	.AMDGPU.csdata,"",@progbits
; Kernel info:
; codeLenInByte = 1196
; TotalNumSgprs: 27
; NumVgprs: 43
; ScratchSize: 0
; MemoryBound: 0
; FloatMode: 240
; IeeeMode: 1
; LDSByteSize: 0 bytes/workgroup (compile time only)
; SGPRBlocks: 0
; VGPRBlocks: 2
; NumSGPRsForWavesPerEU: 27
; NumVGPRsForWavesPerEU: 43
; NamedBarCnt: 0
; Occupancy: 16
; WaveLimiterHint : 0
; COMPUTE_PGM_RSRC2:SCRATCH_EN: 0
; COMPUTE_PGM_RSRC2:USER_SGPR: 2
; COMPUTE_PGM_RSRC2:TRAP_HANDLER: 0
; COMPUTE_PGM_RSRC2:TGID_X_EN: 1
; COMPUTE_PGM_RSRC2:TGID_Y_EN: 1
; COMPUTE_PGM_RSRC2:TGID_Z_EN: 0
; COMPUTE_PGM_RSRC2:TIDIG_COMP_CNT: 1
	.section	.text._ZN2at6native12_GLOBAL__N_135GammaBetaBackwardCUDAKernelTemplateIN3c104HalfEfLj32ELj1ELj8ELb1ELb0ELb1EEEvllPKT_S7_PKT0_SA_PS5_SB_,"axG",@progbits,_ZN2at6native12_GLOBAL__N_135GammaBetaBackwardCUDAKernelTemplateIN3c104HalfEfLj32ELj1ELj8ELb1ELb0ELb1EEEvllPKT_S7_PKT0_SA_PS5_SB_,comdat
	.globl	_ZN2at6native12_GLOBAL__N_135GammaBetaBackwardCUDAKernelTemplateIN3c104HalfEfLj32ELj1ELj8ELb1ELb0ELb1EEEvllPKT_S7_PKT0_SA_PS5_SB_ ; -- Begin function _ZN2at6native12_GLOBAL__N_135GammaBetaBackwardCUDAKernelTemplateIN3c104HalfEfLj32ELj1ELj8ELb1ELb0ELb1EEEvllPKT_S7_PKT0_SA_PS5_SB_
	.p2align	8
	.type	_ZN2at6native12_GLOBAL__N_135GammaBetaBackwardCUDAKernelTemplateIN3c104HalfEfLj32ELj1ELj8ELb1ELb0ELb1EEEvllPKT_S7_PKT0_SA_PS5_SB_,@function
_ZN2at6native12_GLOBAL__N_135GammaBetaBackwardCUDAKernelTemplateIN3c104HalfEfLj32ELj1ELj8ELb1ELb0ELb1EEEvllPKT_S7_PKT0_SA_PS5_SB_: ; @_ZN2at6native12_GLOBAL__N_135GammaBetaBackwardCUDAKernelTemplateIN3c104HalfEfLj32ELj1ELj8ELb1ELb0ELb1EEEvllPKT_S7_PKT0_SA_PS5_SB_
; %bb.0:
	s_load_b256 s[4:11], s[0:1], 0x0
	s_bfe_u32 s3, ttmp6, 0x4000c
	s_bfe_u32 s12, ttmp6, 0x40010
	s_add_co_i32 s3, s3, 1
	s_add_co_i32 s12, s12, 1
	s_and_b32 s2, ttmp6, 15
	s_bfe_u32 s13, ttmp6, 0x40004
	s_mul_i32 s3, ttmp9, s3
	s_mul_i32 s12, ttmp7, s12
	s_getreg_b32 s14, hwreg(HW_REG_IB_STS2, 6, 4)
	s_add_co_i32 s2, s2, s3
	s_add_co_i32 s13, s13, s12
	s_cmp_eq_u32 s14, 0
	s_mov_b32 s17, 0
	s_cselect_b32 s12, ttmp9, s2
	s_cselect_b32 s30, ttmp7, s13
	s_lshl_b32 s13, s12, 5
	s_load_b64 s[14:15], s[0:1], 0x28
	s_or_b32 s16, s13, 31
	s_wait_kmcnt 0x0
	v_cmp_le_i64_e64 s2, s[6:7], s[16:17]
	s_lshl_b32 s16, s30, 3
	s_delay_alu instid0(SALU_CYCLE_1) | instskip(SKIP_2) | instid1(VALU_DEP_1)
	v_cmp_gt_i64_e64 s31, s[4:5], s[16:17]
	s_and_b32 vcc_lo, exec_lo, s2
	v_cndmask_b32_e64 v1, 0, 1, s31
	v_cmp_ne_u32_e64 s2, 1, v1
	s_cbranch_vccz .LBB178_49
; %bb.1:
	v_mov_b32_e32 v88, 0
	s_and_b32 vcc_lo, exec_lo, s2
	s_cbranch_vccnz .LBB178_50
; %bb.2:
	v_bfe_u32 v1, v0, 10, 10
	v_mov_b32_e32 v2, 0
	v_and_b32_e32 v58, 0x3ff, v0
	s_load_b32 s3, s[0:1], 0x44
	s_mov_b32 s19, 0
	s_delay_alu instid0(VALU_DEP_2) | instskip(NEXT) | instid1(VALU_DEP_2)
	v_dual_mov_b32 v21, v2 :: v_dual_lshlrev_b32 v20, 3, v1
	v_dual_mov_b32 v19, v2 :: v_dual_add_nc_u32 v18, s13, v58
	v_mov_b32_e32 v59, 0
	s_mov_b32 s23, s19
	s_delay_alu instid0(VALU_DEP_3)
	v_add_nc_u64_e32 v[4:5], s[16:17], v[20:21]
	s_add_nc_u64 s[20:21], s[0:1], 64
	v_cmp_gt_i64_e64 s2, s[6:7], v[18:19]
	v_lshlrev_b64_e32 v[22:23], 1, v[18:19]
	s_mov_b64 s[26:27], 7
	s_mov_b64 s[28:29], s[16:17]
	v_mul_u64_e32 v[6:7], s[6:7], v[4:5]
	v_add_nc_u64_e32 v[8:9], 7, v[4:5]
	v_add_nc_u64_e32 v[10:11], 6, v[4:5]
	;; [unrolled: 1-line block ×6, first 2 shown]
	s_wait_kmcnt 0x0
	s_lshl_b32 s22, s3, 3
	v_mul_u64_e32 v[8:9], s[6:7], v[8:9]
	v_mul_u64_e32 v[10:11], s[6:7], v[10:11]
	;; [unrolled: 1-line block ×6, first 2 shown]
	s_mul_u64 s[24:25], s[6:7], s[22:23]
	s_delay_alu instid0(SALU_CYCLE_1) | instskip(SKIP_2) | instid1(VALU_DEP_2)
	s_lshl_b64 s[24:25], s[24:25], 1
	v_lshlrev_b64_e32 v[26:27], 1, v[6:7]
	v_add_nc_u64_e32 v[6:7], s[6:7], v[6:7]
	v_add_nc_u64_e32 v[24:25], s[8:9], v[26:27]
	v_lshlrev_b64_e32 v[8:9], 1, v[8:9]
	v_lshlrev_b64_e32 v[10:11], 1, v[10:11]
	;; [unrolled: 1-line block ×7, first 2 shown]
	v_add_nc_u64_e32 v[26:27], s[10:11], v[26:27]
	v_add_nc_u64_e32 v[28:29], s[8:9], v[8:9]
	;; [unrolled: 1-line block ×15, first 2 shown]
.LBB178_3:                              ; =>This Inner Loop Header: Depth=1
	s_add_nc_u64 s[34:35], s[16:17], s[26:27]
	v_add_nc_u64_e32 v[56:57], s[16:17], v[20:21]
	v_cmp_ge_i64_e64 s3, s[34:35], s[4:5]
                                        ; implicit-def: $vgpr88
                                        ; implicit-def: $vgpr12_vgpr13_vgpr14_vgpr15_vgpr16_vgpr17_vgpr18_vgpr19
                                        ; implicit-def: $vgpr4_vgpr5_vgpr6_vgpr7_vgpr8_vgpr9_vgpr10_vgpr11
                                        ; implicit-def: $vgpr3
	s_and_b32 vcc_lo, exec_lo, s3
	s_mov_b32 s3, -1
	s_cbranch_vccz .LBB178_25
; %bb.4:                                ;   in Loop: Header=BB178_3 Depth=1
	s_load_b32 s3, s[20:21], 0xc
	v_mov_b32_e32 v60, 0
	s_wait_kmcnt 0x0
	s_and_b32 s3, s3, 0xffff
	s_delay_alu instid0(SALU_CYCLE_1) | instskip(SKIP_1) | instid1(VALU_DEP_1)
	v_mad_u32_u24 v3, v1, s3, v58
	s_mov_b32 s3, exec_lo
	v_and_b32_e32 v4, 31, v3
	s_delay_alu instid0(VALU_DEP_1)
	v_cmpx_gt_u32_e32 8, v4
	s_cbranch_execz .LBB178_8
; %bb.5:                                ;   in Loop: Header=BB178_3 Depth=1
	v_dual_mov_b32 v5, v2 :: v_dual_mov_b32 v60, 0
	s_mov_b32 s18, exec_lo
	s_delay_alu instid0(VALU_DEP_1) | instskip(NEXT) | instid1(VALU_DEP_1)
	v_add_nc_u64_e32 v[4:5], v[56:57], v[4:5]
	v_cmpx_gt_i64_e64 s[4:5], v[4:5]
	s_cbranch_execz .LBB178_7
; %bb.6:                                ;   in Loop: Header=BB178_3 Depth=1
	v_lshl_add_u64 v[4:5], v[4:5], 2, s[14:15]
	global_load_b32 v60, v[4:5], off
.LBB178_7:                              ;   in Loop: Header=BB178_3 Depth=1
	s_wait_xcnt 0x0
	s_or_b32 exec_lo, exec_lo, s18
.LBB178_8:                              ;   in Loop: Header=BB178_3 Depth=1
	s_delay_alu instid0(SALU_CYCLE_1)
	s_or_b32 exec_lo, exec_lo, s3
	v_dual_mov_b32 v7, v2 :: v_dual_mov_b32 v8, v2
	v_dual_mov_b32 v9, v2 :: v_dual_mov_b32 v3, v2
	;; [unrolled: 1-line block ×3, first 2 shown]
	v_mov_b32_e32 v6, v2
	v_cmp_gt_i64_e32 vcc_lo, s[4:5], v[56:57]
	s_delay_alu instid0(VALU_DEP_4)
	v_mov_b64_e32 v[18:19], v[8:9]
	v_mov_b64_e32 v[12:13], v[2:3]
	;; [unrolled: 1-line block ×8, first 2 shown]
	s_and_b32 s18, s2, vcc_lo
	s_delay_alu instid0(SALU_CYCLE_1)
	s_and_saveexec_b32 s3, s18
	s_cbranch_execz .LBB178_10
; %bb.9:                                ;   in Loop: Header=BB178_3 Depth=1
	v_add_nc_u64_e32 v[4:5], v[24:25], v[22:23]
	v_add_nc_u64_e32 v[6:7], v[26:27], v[22:23]
	v_dual_mov_b32 v9, v2 :: v_dual_mov_b32 v10, v2
	v_dual_mov_b32 v11, v2 :: v_dual_mov_b32 v13, v2
	;; [unrolled: 1-line block ×3, first 2 shown]
	global_load_u16 v3, v[4:5], off
	global_load_u16 v12, v[6:7], off
	s_wait_xcnt 0x0
	v_dual_mov_b32 v5, v2 :: v_dual_mov_b32 v6, v2
	v_dual_mov_b32 v7, v2 :: v_dual_mov_b32 v8, v2
	;; [unrolled: 1-line block ×4, first 2 shown]
	s_wait_loadcnt 0x1
	v_cvt_f32_f16_e32 v4, v3
	s_wait_loadcnt 0x0
	v_cvt_f32_f16_e32 v12, v12
.LBB178_10:                             ;   in Loop: Header=BB178_3 Depth=1
	s_or_b32 exec_lo, exec_lo, s3
	v_add_nc_u64_e32 v[62:63], 1, v[56:57]
	s_delay_alu instid0(VALU_DEP_1) | instskip(SKIP_1) | instid1(SALU_CYCLE_1)
	v_cmp_gt_i64_e32 vcc_lo, s[4:5], v[62:63]
	s_and_b32 s18, s2, vcc_lo
	s_and_saveexec_b32 s3, s18
	s_cbranch_execz .LBB178_12
; %bb.11:                               ;   in Loop: Header=BB178_3 Depth=1
	v_add_nc_u64_e32 v[62:63], v[52:53], v[22:23]
	v_add_nc_u64_e32 v[64:65], v[54:55], v[22:23]
	global_load_u16 v3, v[62:63], off
	global_load_u16 v13, v[64:65], off
	s_wait_loadcnt 0x1
	v_cvt_f32_f16_e32 v5, v3
	s_wait_loadcnt 0x0
	v_cvt_f32_f16_e32 v13, v13
.LBB178_12:                             ;   in Loop: Header=BB178_3 Depth=1
	s_or_b32 exec_lo, exec_lo, s3
	v_add_nc_u64_e32 v[62:63], 2, v[56:57]
	s_delay_alu instid0(VALU_DEP_1) | instskip(SKIP_1) | instid1(SALU_CYCLE_1)
	v_cmp_gt_i64_e32 vcc_lo, s[4:5], v[62:63]
	s_and_b32 s18, s2, vcc_lo
	s_and_saveexec_b32 s3, s18
	s_cbranch_execz .LBB178_14
; %bb.13:                               ;   in Loop: Header=BB178_3 Depth=1
	v_add_nc_u64_e32 v[62:63], v[48:49], v[22:23]
	v_add_nc_u64_e32 v[64:65], v[50:51], v[22:23]
	global_load_u16 v3, v[62:63], off
	global_load_u16 v14, v[64:65], off
	s_wait_loadcnt 0x1
	v_cvt_f32_f16_e32 v6, v3
	s_wait_loadcnt 0x0
	v_cvt_f32_f16_e32 v14, v14
.LBB178_14:                             ;   in Loop: Header=BB178_3 Depth=1
	;; [unrolled: 17-line block ×7, first 2 shown]
	s_or_b32 exec_lo, exec_lo, s3
	s_wait_loadcnt 0x0
	ds_bpermute_b32 v3, v2, v60
	ds_bpermute_b32 v62, v2, v60 offset:4
	ds_bpermute_b32 v63, v2, v60 offset:8
	;; [unrolled: 1-line block ×4, first 2 shown]
	v_pk_mul_f32 v[6:7], v[14:15], v[6:7]
	v_dual_mul_f32 v14, v12, v4 :: v_dual_mul_f32 v4, v13, v5
	v_pk_mul_f32 v[8:9], v[16:17], v[8:9]
	ds_bpermute_b32 v12, v2, v60 offset:20
	v_dual_mov_b32 v5, v6 :: v_dual_mov_b32 v6, v7
	ds_bpermute_b32 v13, v2, v60 offset:24
	s_mov_b32 s3, 0
	s_wait_dscnt 0x6
	v_dual_mov_b32 v7, v8 :: v_dual_fma_f32 v3, v14, v3, v59
	s_wait_dscnt 0x4
	v_pk_mul_f32 v[4:5], v[4:5], v[62:63]
	s_wait_dscnt 0x2
	s_delay_alu instid0(VALU_DEP_2) | instskip(NEXT) | instid1(VALU_DEP_2)
	v_pk_mul_f32 v[6:7], v[6:7], v[64:65]
	v_add_f32_e32 v3, v3, v4
	s_delay_alu instid0(VALU_DEP_1) | instskip(SKIP_2) | instid1(VALU_DEP_1)
	v_dual_add_f32 v4, v3, v5 :: v_dual_mul_f32 v5, v18, v10
	ds_bpermute_b32 v3, v2, v60 offset:28
	v_dual_add_f32 v6, v4, v6 :: v_dual_mov_b32 v4, v9
	v_add_f32_e32 v6, v6, v7
	s_wait_dscnt 0x1
	s_delay_alu instid0(VALU_DEP_2) | instskip(NEXT) | instid1(VALU_DEP_1)
	v_pk_mul_f32 v[4:5], v[4:5], v[12:13]
	v_add_f32_e32 v4, v6, v4
	s_delay_alu instid0(VALU_DEP_1)
	v_add_f32_e32 v88, v4, v5
.LBB178_25:                             ;   in Loop: Header=BB178_3 Depth=1
	s_and_b32 vcc_lo, exec_lo, s3
	s_cbranch_vccz .LBB178_40
; %bb.26:                               ;   in Loop: Header=BB178_3 Depth=1
	s_load_b32 s3, s[20:21], 0x0
	v_mov_b32_e32 v60, 0
	s_wait_kmcnt 0x0
	s_cmp_lt_u32 s12, s3
	s_cselect_b32 s18, 12, 18
	s_delay_alu instid0(SALU_CYCLE_1)
	s_add_nc_u64 s[34:35], s[20:21], s[18:19]
	s_load_u16 s3, s[34:35], 0x0
	s_wait_dscnt 0x0
	s_wait_kmcnt 0x0
	v_mad_u32_u24 v3, v1, s3, v58
	s_mov_b32 s3, exec_lo
	s_delay_alu instid0(VALU_DEP_1) | instskip(NEXT) | instid1(VALU_DEP_1)
	v_and_b32_e32 v4, 31, v3
	v_cmpx_gt_u32_e32 8, v4
	s_cbranch_execz .LBB178_30
; %bb.27:                               ;   in Loop: Header=BB178_3 Depth=1
	v_dual_mov_b32 v5, v2 :: v_dual_mov_b32 v60, 0
	s_mov_b32 s18, exec_lo
	s_delay_alu instid0(VALU_DEP_1) | instskip(NEXT) | instid1(VALU_DEP_1)
	v_add_nc_u64_e32 v[4:5], v[56:57], v[4:5]
	v_cmpx_gt_i64_e64 s[4:5], v[4:5]
	s_cbranch_execz .LBB178_29
; %bb.28:                               ;   in Loop: Header=BB178_3 Depth=1
	v_lshl_add_u64 v[4:5], v[4:5], 2, s[14:15]
	global_load_b32 v60, v[4:5], off
.LBB178_29:                             ;   in Loop: Header=BB178_3 Depth=1
	s_wait_xcnt 0x0
	s_or_b32 exec_lo, exec_lo, s18
.LBB178_30:                             ;   in Loop: Header=BB178_3 Depth=1
	s_delay_alu instid0(SALU_CYCLE_1) | instskip(SKIP_4) | instid1(VALU_DEP_3)
	s_or_b32 exec_lo, exec_lo, s3
	v_dual_mov_b32 v7, v2 :: v_dual_mov_b32 v8, v2
	v_dual_mov_b32 v9, v2 :: v_dual_mov_b32 v3, v2
	;; [unrolled: 1-line block ×3, first 2 shown]
	v_mov_b32_e32 v6, v2
	v_mov_b64_e32 v[18:19], v[8:9]
	s_delay_alu instid0(VALU_DEP_4) | instskip(NEXT) | instid1(VALU_DEP_4)
	v_mov_b64_e32 v[12:13], v[2:3]
	v_mov_b64_e32 v[14:15], v[4:5]
	s_delay_alu instid0(VALU_DEP_4)
	v_mov_b64_e32 v[16:17], v[6:7]
	v_mov_b64_e32 v[10:11], v[8:9]
	;; [unrolled: 1-line block ×5, first 2 shown]
	s_and_saveexec_b32 s3, s2
	s_cbranch_execnz .LBB178_42
; %bb.31:                               ;   in Loop: Header=BB178_3 Depth=1
	s_or_b32 exec_lo, exec_lo, s3
	s_and_saveexec_b32 s3, s2
	s_cbranch_execnz .LBB178_43
.LBB178_32:                             ;   in Loop: Header=BB178_3 Depth=1
	s_or_b32 exec_lo, exec_lo, s3
	s_and_saveexec_b32 s3, s2
	s_cbranch_execnz .LBB178_44
.LBB178_33:                             ;   in Loop: Header=BB178_3 Depth=1
	s_or_b32 exec_lo, exec_lo, s3
	s_and_saveexec_b32 s3, s2
	s_cbranch_execnz .LBB178_45
.LBB178_34:                             ;   in Loop: Header=BB178_3 Depth=1
	s_or_b32 exec_lo, exec_lo, s3
	s_and_saveexec_b32 s3, s2
	s_cbranch_execnz .LBB178_46
.LBB178_35:                             ;   in Loop: Header=BB178_3 Depth=1
	s_or_b32 exec_lo, exec_lo, s3
	s_and_saveexec_b32 s3, s2
	s_cbranch_execnz .LBB178_47
.LBB178_36:                             ;   in Loop: Header=BB178_3 Depth=1
	s_or_b32 exec_lo, exec_lo, s3
	s_and_saveexec_b32 s3, s2
	s_cbranch_execnz .LBB178_48
.LBB178_37:                             ;   in Loop: Header=BB178_3 Depth=1
	s_or_b32 exec_lo, exec_lo, s3
	s_and_saveexec_b32 s3, s2
	s_cbranch_execz .LBB178_39
.LBB178_38:                             ;   in Loop: Header=BB178_3 Depth=1
	v_add_nc_u64_e32 v[56:57], v[28:29], v[22:23]
	v_add_nc_u64_e32 v[62:63], v[30:31], v[22:23]
	global_load_u16 v3, v[56:57], off
	global_load_u16 v19, v[62:63], off
	s_wait_loadcnt 0x1
	v_cvt_f32_f16_e32 v11, v3
	s_wait_loadcnt 0x0
	v_cvt_f32_f16_e32 v19, v19
.LBB178_39:                             ;   in Loop: Header=BB178_3 Depth=1
	s_or_b32 exec_lo, exec_lo, s3
	s_wait_loadcnt 0x0
	ds_bpermute_b32 v3, v2, v60
	ds_bpermute_b32 v56, v2, v60 offset:4
	ds_bpermute_b32 v57, v2, v60 offset:8
	;; [unrolled: 1-line block ×4, first 2 shown]
	v_pk_mul_f32 v[6:7], v[14:15], v[6:7]
	v_dual_mul_f32 v14, v12, v4 :: v_dual_mul_f32 v4, v13, v5
	v_pk_mul_f32 v[8:9], v[16:17], v[8:9]
	ds_bpermute_b32 v12, v2, v60 offset:20
	v_dual_mov_b32 v5, v6 :: v_dual_mov_b32 v6, v7
	ds_bpermute_b32 v13, v2, v60 offset:24
	s_wait_dscnt 0x6
	v_dual_mov_b32 v7, v8 :: v_dual_fmac_f32 v59, v14, v3
	s_wait_dscnt 0x4
	v_pk_mul_f32 v[4:5], v[4:5], v[56:57]
	s_wait_dscnt 0x2
	s_delay_alu instid0(VALU_DEP_2) | instskip(NEXT) | instid1(VALU_DEP_2)
	v_pk_mul_f32 v[6:7], v[6:7], v[62:63]
	v_add_f32_e32 v3, v59, v4
	s_delay_alu instid0(VALU_DEP_1) | instskip(SKIP_2) | instid1(VALU_DEP_1)
	v_dual_add_f32 v4, v3, v5 :: v_dual_mul_f32 v5, v18, v10
	ds_bpermute_b32 v3, v2, v60 offset:28
	v_dual_add_f32 v6, v4, v6 :: v_dual_mov_b32 v4, v9
	v_add_f32_e32 v6, v6, v7
	s_wait_dscnt 0x1
	s_delay_alu instid0(VALU_DEP_2) | instskip(NEXT) | instid1(VALU_DEP_1)
	v_pk_mul_f32 v[4:5], v[4:5], v[12:13]
	v_add_f32_e32 v4, v6, v4
	s_delay_alu instid0(VALU_DEP_1)
	v_add_f32_e32 v88, v4, v5
.LBB178_40:                             ;   in Loop: Header=BB178_3 Depth=1
	s_add_nc_u64 s[28:29], s[28:29], s[22:23]
	v_mul_f32_e32 v4, v11, v19
	v_cmp_lt_i64_e64 s3, s[28:29], s[4:5]
	v_add_nc_u64_e32 v[24:25], s[24:25], v[24:25]
	v_add_nc_u64_e32 v[26:27], s[24:25], v[26:27]
	;; [unrolled: 1-line block ×17, first 2 shown]
	s_wait_dscnt 0x0
	v_fmac_f32_e32 v88, v4, v3
	s_and_b32 vcc_lo, exec_lo, s3
	s_add_nc_u64 s[26:27], s[26:27], s[22:23]
	s_cbranch_vccz .LBB178_50
; %bb.41:                               ;   in Loop: Header=BB178_3 Depth=1
	s_delay_alu instid0(VALU_DEP_1)
	v_mov_b32_e32 v59, v88
	s_branch .LBB178_3
.LBB178_42:                             ;   in Loop: Header=BB178_3 Depth=1
	v_add_nc_u64_e32 v[4:5], v[24:25], v[22:23]
	v_add_nc_u64_e32 v[6:7], v[26:27], v[22:23]
	v_dual_mov_b32 v9, v2 :: v_dual_mov_b32 v10, v2
	v_dual_mov_b32 v11, v2 :: v_dual_mov_b32 v13, v2
	;; [unrolled: 1-line block ×3, first 2 shown]
	global_load_u16 v3, v[4:5], off
	global_load_u16 v12, v[6:7], off
	s_wait_xcnt 0x0
	v_dual_mov_b32 v5, v2 :: v_dual_mov_b32 v6, v2
	v_dual_mov_b32 v7, v2 :: v_dual_mov_b32 v8, v2
	;; [unrolled: 1-line block ×4, first 2 shown]
	s_wait_loadcnt 0x1
	v_cvt_f32_f16_e32 v4, v3
	s_wait_loadcnt 0x0
	v_cvt_f32_f16_e32 v12, v12
	s_or_b32 exec_lo, exec_lo, s3
	s_and_saveexec_b32 s3, s2
	s_cbranch_execz .LBB178_32
.LBB178_43:                             ;   in Loop: Header=BB178_3 Depth=1
	v_add_nc_u64_e32 v[56:57], v[52:53], v[22:23]
	v_add_nc_u64_e32 v[62:63], v[54:55], v[22:23]
	global_load_u16 v3, v[56:57], off
	global_load_u16 v13, v[62:63], off
	s_wait_loadcnt 0x1
	v_cvt_f32_f16_e32 v5, v3
	s_wait_loadcnt 0x0
	v_cvt_f32_f16_e32 v13, v13
	s_or_b32 exec_lo, exec_lo, s3
	s_and_saveexec_b32 s3, s2
	s_cbranch_execz .LBB178_33
.LBB178_44:                             ;   in Loop: Header=BB178_3 Depth=1
	v_add_nc_u64_e32 v[56:57], v[48:49], v[22:23]
	v_add_nc_u64_e32 v[62:63], v[50:51], v[22:23]
	global_load_u16 v3, v[56:57], off
	global_load_u16 v14, v[62:63], off
	s_wait_loadcnt 0x1
	v_cvt_f32_f16_e32 v6, v3
	s_wait_loadcnt 0x0
	v_cvt_f32_f16_e32 v14, v14
	s_or_b32 exec_lo, exec_lo, s3
	s_and_saveexec_b32 s3, s2
	s_cbranch_execz .LBB178_34
.LBB178_45:                             ;   in Loop: Header=BB178_3 Depth=1
	v_add_nc_u64_e32 v[56:57], v[44:45], v[22:23]
	v_add_nc_u64_e32 v[62:63], v[46:47], v[22:23]
	global_load_u16 v3, v[56:57], off
	global_load_u16 v15, v[62:63], off
	s_wait_loadcnt 0x1
	v_cvt_f32_f16_e32 v7, v3
	s_wait_loadcnt 0x0
	v_cvt_f32_f16_e32 v15, v15
	s_or_b32 exec_lo, exec_lo, s3
	s_and_saveexec_b32 s3, s2
	s_cbranch_execz .LBB178_35
.LBB178_46:                             ;   in Loop: Header=BB178_3 Depth=1
	v_add_nc_u64_e32 v[56:57], v[40:41], v[22:23]
	v_add_nc_u64_e32 v[62:63], v[42:43], v[22:23]
	global_load_u16 v3, v[56:57], off
	global_load_u16 v16, v[62:63], off
	s_wait_loadcnt 0x1
	v_cvt_f32_f16_e32 v8, v3
	s_wait_loadcnt 0x0
	v_cvt_f32_f16_e32 v16, v16
	s_or_b32 exec_lo, exec_lo, s3
	s_and_saveexec_b32 s3, s2
	s_cbranch_execz .LBB178_36
.LBB178_47:                             ;   in Loop: Header=BB178_3 Depth=1
	v_add_nc_u64_e32 v[56:57], v[36:37], v[22:23]
	v_add_nc_u64_e32 v[62:63], v[38:39], v[22:23]
	global_load_u16 v3, v[56:57], off
	global_load_u16 v17, v[62:63], off
	s_wait_loadcnt 0x1
	v_cvt_f32_f16_e32 v9, v3
	s_wait_loadcnt 0x0
	v_cvt_f32_f16_e32 v17, v17
	s_or_b32 exec_lo, exec_lo, s3
	s_and_saveexec_b32 s3, s2
	s_cbranch_execz .LBB178_37
.LBB178_48:                             ;   in Loop: Header=BB178_3 Depth=1
	v_add_nc_u64_e32 v[56:57], v[32:33], v[22:23]
	v_add_nc_u64_e32 v[62:63], v[34:35], v[22:23]
	global_load_u16 v3, v[56:57], off
	global_load_u16 v18, v[62:63], off
	s_wait_loadcnt 0x1
	v_cvt_f32_f16_e32 v10, v3
	s_wait_loadcnt 0x0
	v_cvt_f32_f16_e32 v18, v18
	s_or_b32 exec_lo, exec_lo, s3
	s_and_saveexec_b32 s3, s2
	s_cbranch_execnz .LBB178_38
	s_branch .LBB178_39
.LBB178_49:
                                        ; implicit-def: $vgpr88
	s_load_b64 s[2:3], s[0:1], 0x30
	s_branch .LBB178_51
.LBB178_50:
	s_load_b64 s[2:3], s[0:1], 0x30
	s_cbranch_execnz .LBB178_83
.LBB178_51:
	v_mov_b32_e32 v88, 0
	s_and_not1_b32 vcc_lo, exec_lo, s31
	s_cbranch_vccnz .LBB178_83
; %bb.52:
	v_bfe_u32 v1, v0, 10, 10
	v_mov_b32_e32 v2, 0
	v_and_b32_e32 v86, 0x3ff, v0
	s_load_b32 s18, s[0:1], 0x44
	s_mov_b32 s19, 0
	s_delay_alu instid0(VALU_DEP_2) | instskip(SKIP_3) | instid1(VALU_DEP_2)
	v_dual_mov_b32 v5, v2 :: v_dual_lshlrev_b32 v4, 4, v1
	v_dual_mov_b32 v21, v2 :: v_dual_lshlrev_b32 v20, 3, v1
	s_mov_b32 s21, s19
	s_add_nc_u64 s[22:23], s[0:1], 64
	v_lshl_add_u64 v[4:5], s[16:17], 1, v[4:5]
	s_mov_b64 s[24:25], s[16:17]
	v_add_nc_u64_e32 v[8:9], s[16:17], v[20:21]
	v_mov_b32_e32 v87, 0
	s_delay_alu instid0(VALU_DEP_3)
	v_add_nc_u64_e32 v[6:7], 2, v[4:5]
	v_add_nc_u64_e32 v[10:11], 4, v[4:5]
	;; [unrolled: 1-line block ×5, first 2 shown]
	v_mul_u64_e32 v[60:61], s[6:7], v[8:9]
	v_add_nc_u64_e32 v[48:49], 3, v[8:9]
	v_mad_nc_u64_u32 v[22:23], s6, v6, s[8:9]
	v_mul_lo_u32 v3, s6, v7
	v_mul_lo_u32 v44, s7, v6
	v_mad_nc_u64_u32 v[32:33], s6, v6, s[10:11]
	v_add_nc_u64_e32 v[6:7], 7, v[8:9]
	v_mad_nc_u64_u32 v[24:25], s6, v10, s[8:9]
	v_mul_lo_u32 v46, s6, v11
	v_mul_lo_u32 v47, s7, v10
	v_mad_nc_u64_u32 v[26:27], s6, v12, s[8:9]
	v_mul_lo_u32 v50, s6, v13
	v_mul_lo_u32 v51, s7, v12
	v_mad_nc_u64_u32 v[34:35], s6, v10, s[10:11]
	v_mad_nc_u64_u32 v[36:37], s6, v12, s[10:11]
	v_add_nc_u64_e32 v[10:11], 6, v[8:9]
	v_mul_u64_e32 v[6:7], s[6:7], v[6:7]
	v_add_nc_u64_e32 v[12:13], 5, v[8:9]
	v_mad_nc_u64_u32 v[28:29], s6, v14, s[8:9]
	v_mul_lo_u32 v52, s6, v15
	v_mul_lo_u32 v53, s7, v14
	v_mad_nc_u64_u32 v[40:41], s6, v14, s[10:11]
	v_add_nc_u64_e32 v[14:15], 4, v[8:9]
	v_mul_u64_e32 v[10:11], s[6:7], v[10:11]
	v_add_nc_u64_e32 v[8:9], 2, v[8:9]
	v_mul_u64_e32 v[12:13], s[6:7], v[12:13]
	v_mad_nc_u64_u32 v[30:31], s6, v16, s[8:9]
	v_mul_lo_u32 v54, s6, v17
	v_mul_lo_u32 v55, s7, v16
	v_add3_u32 v23, v44, v23, v3
	v_add3_u32 v33, v44, v33, v3
	v_mul_u64_e32 v[14:15], s[6:7], v[14:15]
	v_mad_nc_u64_u32 v[44:45], s6, v16, s[10:11]
	v_mul_u64_e32 v[16:17], s[6:7], v[48:49]
	v_mul_u64_e32 v[8:9], s[6:7], v[8:9]
	v_add_nc_u64_e32 v[18:19], 12, v[4:5]
	v_add_nc_u64_e32 v[4:5], 14, v[4:5]
	v_add3_u32 v25, v47, v25, v46
	v_add3_u32 v27, v51, v27, v50
	;; [unrolled: 1-line block ×5, first 2 shown]
	v_mad_nc_u64_u32 v[38:39], s6, v18, s[8:9]
	v_mul_lo_u32 v19, s6, v19
	v_mul_lo_u32 v56, s7, v18
	v_mad_nc_u64_u32 v[42:43], s6, v4, s[8:9]
	v_mad_nc_u64_u32 v[46:47], s6, v18, s[10:11]
	v_mul_lo_u32 v3, s6, v5
	v_mul_lo_u32 v50, s7, v4
	v_mad_nc_u64_u32 v[48:49], s6, v4, s[10:11]
	v_lshlrev_b64_e32 v[6:7], 1, v[6:7]
	v_dual_mov_b32 v5, v2 :: v_dual_add_nc_u32 v4, s13, v86
	v_add3_u32 v31, v55, v31, v54
	v_add3_u32 v41, v53, v41, v52
	;; [unrolled: 1-line block ×5, first 2 shown]
	v_add_nc_u64_e32 v[56:57], s[8:9], v[6:7]
	v_add3_u32 v43, v50, v43, v3
	v_add3_u32 v49, v50, v49, v3
	v_lshlrev_b64_e32 v[50:51], 1, v[4:5]
	v_lshlrev_b64_e32 v[4:5], 1, v[10:11]
	v_add_nc_u64_e32 v[58:59], s[10:11], v[6:7]
	v_lshlrev_b64_e32 v[6:7], 1, v[12:13]
	v_add_nc_u64_e32 v[12:13], s[6:7], v[60:61]
	v_lshlrev_b64_e32 v[18:19], 1, v[60:61]
	v_lshlrev_b64_e32 v[10:11], 1, v[14:15]
	;; [unrolled: 1-line block ×3, first 2 shown]
	v_add_nc_u64_e32 v[60:61], s[8:9], v[4:5]
	v_add_nc_u64_e32 v[62:63], s[10:11], v[4:5]
	v_lshlrev_b64_e32 v[4:5], 1, v[16:17]
	v_add_nc_u64_e32 v[64:65], s[8:9], v[6:7]
	v_add_nc_u64_e32 v[66:67], s[10:11], v[6:7]
	v_lshlrev_b64_e32 v[6:7], 1, v[12:13]
	v_add_nc_u64_e32 v[52:53], s[8:9], v[18:19]
	v_add_nc_u64_e32 v[54:55], s[10:11], v[18:19]
	;; [unrolled: 1-line block ×10, first 2 shown]
	s_wait_kmcnt 0x0
	s_lshl_b32 s20, s18, 3
	s_mov_b64 s[10:11], 7
	s_mul_u64 s[8:9], s[6:7], s[20:21]
	s_delay_alu instid0(SALU_CYCLE_1)
	s_lshl_b64 s[8:9], s[8:9], 1
.LBB178_53:                             ; =>This Inner Loop Header: Depth=1
	s_add_nc_u64 s[26:27], s[16:17], s[10:11]
	v_add_nc_u64_e32 v[84:85], s[16:17], v[20:21]
	v_cmp_ge_i64_e64 s13, s[26:27], s[4:5]
                                        ; implicit-def: $vgpr88
	s_and_b32 vcc_lo, exec_lo, s13
	s_mov_b32 s13, -1
	s_cbranch_vccz .LBB178_75
; %bb.54:                               ;   in Loop: Header=BB178_53 Depth=1
	s_load_b32 s13, s[22:23], 0xc
	v_mov_b32_e32 v88, 0
	s_wait_kmcnt 0x0
	s_and_b32 s13, s13, 0xffff
	s_delay_alu instid0(SALU_CYCLE_1) | instskip(SKIP_1) | instid1(VALU_DEP_1)
	v_mad_u32_u24 v3, v1, s13, v86
	s_mov_b32 s13, exec_lo
	v_and_b32_e32 v4, 31, v3
	s_delay_alu instid0(VALU_DEP_1)
	v_cmpx_gt_u32_e32 8, v4
	s_cbranch_execz .LBB178_58
; %bb.55:                               ;   in Loop: Header=BB178_53 Depth=1
	v_dual_mov_b32 v5, v2 :: v_dual_mov_b32 v88, 0
	s_mov_b32 s18, exec_lo
	s_delay_alu instid0(VALU_DEP_1) | instskip(NEXT) | instid1(VALU_DEP_1)
	v_add_nc_u64_e32 v[4:5], v[84:85], v[4:5]
	v_cmpx_gt_i64_e64 s[4:5], v[4:5]
	s_cbranch_execz .LBB178_57
; %bb.56:                               ;   in Loop: Header=BB178_53 Depth=1
	v_lshl_add_u64 v[4:5], v[4:5], 2, s[14:15]
	global_load_b32 v88, v[4:5], off
.LBB178_57:                             ;   in Loop: Header=BB178_53 Depth=1
	s_wait_xcnt 0x0
	s_or_b32 exec_lo, exec_lo, s18
.LBB178_58:                             ;   in Loop: Header=BB178_53 Depth=1
	s_delay_alu instid0(SALU_CYCLE_1) | instskip(SKIP_4) | instid1(VALU_DEP_3)
	s_or_b32 exec_lo, exec_lo, s13
	v_dual_mov_b32 v7, v2 :: v_dual_mov_b32 v8, v2
	v_dual_mov_b32 v9, v2 :: v_dual_mov_b32 v3, v2
	v_dual_mov_b32 v4, v2 :: v_dual_mov_b32 v5, v2
	v_mov_b32_e32 v6, v2
	v_mov_b64_e32 v[18:19], v[8:9]
	s_delay_alu instid0(VALU_DEP_4)
	v_mov_b64_e32 v[12:13], v[2:3]
	s_mov_b32 s13, exec_lo
	v_mov_b64_e32 v[14:15], v[4:5]
	v_mov_b64_e32 v[16:17], v[6:7]
	;; [unrolled: 1-line block ×6, first 2 shown]
	v_cmpx_gt_i64_e64 s[4:5], v[84:85]
	s_cbranch_execz .LBB178_60
; %bb.59:                               ;   in Loop: Header=BB178_53 Depth=1
	v_add_nc_u64_e32 v[4:5], v[52:53], v[50:51]
	v_add_nc_u64_e32 v[6:7], v[54:55], v[50:51]
	v_dual_mov_b32 v9, v2 :: v_dual_mov_b32 v10, v2
	v_dual_mov_b32 v11, v2 :: v_dual_mov_b32 v13, v2
	v_dual_mov_b32 v14, v2 :: v_dual_mov_b32 v15, v2
	global_load_u16 v3, v[4:5], off
	global_load_u16 v12, v[6:7], off
	s_wait_xcnt 0x0
	v_dual_mov_b32 v5, v2 :: v_dual_mov_b32 v6, v2
	v_dual_mov_b32 v7, v2 :: v_dual_mov_b32 v8, v2
	;; [unrolled: 1-line block ×4, first 2 shown]
	s_wait_loadcnt 0x1
	v_cvt_f32_f16_e32 v4, v3
	s_wait_loadcnt 0x0
	v_cvt_f32_f16_e32 v12, v12
.LBB178_60:                             ;   in Loop: Header=BB178_53 Depth=1
	s_or_b32 exec_lo, exec_lo, s13
	v_add_nc_u64_e32 v[90:91], 1, v[84:85]
	s_mov_b32 s13, exec_lo
	s_delay_alu instid0(VALU_DEP_1)
	v_cmpx_gt_i64_e64 s[4:5], v[90:91]
	s_cbranch_execz .LBB178_62
; %bb.61:                               ;   in Loop: Header=BB178_53 Depth=1
	v_add_nc_u64_e32 v[90:91], v[80:81], v[50:51]
	v_add_nc_u64_e32 v[92:93], v[82:83], v[50:51]
	global_load_u16 v3, v[90:91], off
	global_load_u16 v13, v[92:93], off
	s_wait_loadcnt 0x1
	v_cvt_f32_f16_e32 v5, v3
	s_wait_loadcnt 0x0
	v_cvt_f32_f16_e32 v13, v13
.LBB178_62:                             ;   in Loop: Header=BB178_53 Depth=1
	s_or_b32 exec_lo, exec_lo, s13
	v_add_nc_u64_e32 v[90:91], 2, v[84:85]
	s_mov_b32 s13, exec_lo
	s_delay_alu instid0(VALU_DEP_1)
	v_cmpx_gt_i64_e64 s[4:5], v[90:91]
	s_cbranch_execz .LBB178_64
; %bb.63:                               ;   in Loop: Header=BB178_53 Depth=1
	v_add_nc_u64_e32 v[90:91], v[76:77], v[50:51]
	v_add_nc_u64_e32 v[92:93], v[78:79], v[50:51]
	global_load_u16 v3, v[90:91], off
	global_load_u16 v14, v[92:93], off
	s_wait_loadcnt 0x1
	v_cvt_f32_f16_e32 v6, v3
	s_wait_loadcnt 0x0
	v_cvt_f32_f16_e32 v14, v14
.LBB178_64:                             ;   in Loop: Header=BB178_53 Depth=1
	;; [unrolled: 16-line block ×7, first 2 shown]
	s_or_b32 exec_lo, exec_lo, s13
	s_wait_loadcnt 0x0
	ds_bpermute_b32 v90, v2, v88
	ds_bpermute_b32 v91, v2, v88 offset:4
	ds_bpermute_b32 v92, v2, v88 offset:8
	ds_bpermute_b32 v93, v2, v88 offset:12
	v_pk_mul_f32 v[4:5], v[12:13], v[4:5]
	ds_bpermute_b32 v12, v2, v88 offset:16
	ds_bpermute_b32 v13, v2, v88 offset:20
	v_pk_mul_f32 v[6:7], v[14:15], v[6:7]
	v_pk_mul_f32 v[8:9], v[16:17], v[8:9]
	s_mov_b32 s13, 0
	s_wait_dscnt 0x4
	v_pk_mul_f32 v[4:5], v[4:5], v[90:91]
	s_wait_dscnt 0x2
	v_pk_mul_f32 v[6:7], v[6:7], v[92:93]
	s_wait_dscnt 0x0
	v_pk_mul_f32 v[8:9], v[8:9], v[12:13]
	v_add_f32_e32 v3, v87, v4
	ds_bpermute_b32 v4, v2, v88 offset:24
	v_add_f32_e32 v3, v3, v5
	ds_bpermute_b32 v5, v2, v88 offset:28
	v_add_f32_e32 v3, v3, v6
	s_delay_alu instid0(VALU_DEP_1) | instskip(SKIP_1) | instid1(VALU_DEP_2)
	v_add_f32_e32 v3, v3, v7
	v_pk_mul_f32 v[6:7], v[18:19], v[10:11]
	v_add_f32_e32 v3, v3, v8
	s_delay_alu instid0(VALU_DEP_1) | instskip(SKIP_1) | instid1(VALU_DEP_3)
	v_add_f32_e32 v3, v3, v9
	s_wait_dscnt 0x0
	v_pk_mul_f32 v[4:5], v[6:7], v[4:5]
	s_delay_alu instid0(VALU_DEP_1) | instskip(NEXT) | instid1(VALU_DEP_1)
	v_add_f32_e32 v3, v3, v4
	v_add_f32_e32 v88, v3, v5
.LBB178_75:                             ;   in Loop: Header=BB178_53 Depth=1
	s_and_b32 vcc_lo, exec_lo, s13
	s_cbranch_vccz .LBB178_81
; %bb.76:                               ;   in Loop: Header=BB178_53 Depth=1
	s_load_b32 s13, s[22:23], 0x0
	s_wait_kmcnt 0x0
	s_cmp_lt_u32 s12, s13
	s_cselect_b32 s18, 12, 18
	s_delay_alu instid0(SALU_CYCLE_1) | instskip(SKIP_4) | instid1(VALU_DEP_1)
	s_add_nc_u64 s[26:27], s[22:23], s[18:19]
	s_load_u16 s13, s[26:27], 0x0
	s_wait_kmcnt 0x0
	v_mad_u32_u24 v3, v1, s13, v86
	s_mov_b32 s13, exec_lo
	v_dual_mov_b32 v3, 0 :: v_dual_bitop2_b32 v4, 31, v3 bitop3:0x40
	s_delay_alu instid0(VALU_DEP_1)
	v_cmpx_gt_u32_e32 8, v4
	s_cbranch_execz .LBB178_80
; %bb.77:                               ;   in Loop: Header=BB178_53 Depth=1
	v_dual_mov_b32 v5, v2 :: v_dual_mov_b32 v3, 0
	s_mov_b32 s18, exec_lo
	s_delay_alu instid0(VALU_DEP_1) | instskip(NEXT) | instid1(VALU_DEP_1)
	v_add_nc_u64_e32 v[4:5], v[84:85], v[4:5]
	v_cmpx_gt_i64_e64 s[4:5], v[4:5]
	s_cbranch_execz .LBB178_79
; %bb.78:                               ;   in Loop: Header=BB178_53 Depth=1
	v_lshl_add_u64 v[4:5], v[4:5], 2, s[14:15]
	global_load_b32 v3, v[4:5], off
.LBB178_79:                             ;   in Loop: Header=BB178_53 Depth=1
	s_wait_xcnt 0x0
	s_or_b32 exec_lo, exec_lo, s18
.LBB178_80:                             ;   in Loop: Header=BB178_53 Depth=1
	s_delay_alu instid0(SALU_CYCLE_1)
	s_or_b32 exec_lo, exec_lo, s13
	v_add_nc_u64_e32 v[4:5], v[22:23], v[50:51]
	v_add_nc_u64_e32 v[6:7], v[52:53], v[50:51]
	;; [unrolled: 1-line block ×6, first 2 shown]
	global_load_u16 v16, v[4:5], off
	global_load_u16 v17, v[6:7], off
	;; [unrolled: 1-line block ×4, first 2 shown]
	s_wait_xcnt 0x3
	v_add_nc_u64_e32 v[4:5], v[36:37], v[50:51]
	s_wait_xcnt 0x2
	v_add_nc_u64_e32 v[6:7], v[34:35], v[50:51]
	;; [unrolled: 2-line block ×3, first 2 shown]
	v_add_nc_u64_e32 v[8:9], v[28:29], v[50:51]
	global_load_u16 v84, v[14:15], off
	global_load_u16 v85, v[12:13], off
	;; [unrolled: 1-line block ×4, first 2 shown]
	s_wait_xcnt 0x1
	v_add_nc_u64_e32 v[4:5], v[44:45], v[50:51]
	s_wait_xcnt 0x0
	v_add_nc_u64_e32 v[6:7], v[40:41], v[50:51]
	s_wait_loadcnt 0x8
	ds_bpermute_b32 v12, v2, v3 offset:16
	global_load_u16 v90, v[10:11], off
	global_load_u16 v91, v[8:9], off
	;; [unrolled: 1-line block ×4, first 2 shown]
	s_wait_xcnt 0x1
	v_add_nc_u64_e32 v[4:5], v[42:43], v[50:51]
	s_wait_xcnt 0x0
	v_add_nc_u64_e32 v[6:7], v[38:39], v[50:51]
	v_add_nc_u64_e32 v[8:9], v[48:49], v[50:51]
	;; [unrolled: 1-line block ×3, first 2 shown]
	global_load_u16 v94, v[4:5], off
	global_load_u16 v95, v[6:7], off
	;; [unrolled: 1-line block ×4, first 2 shown]
	s_wait_xcnt 0x3
	ds_bpermute_b32 v4, v2, v3
	ds_bpermute_b32 v5, v2, v3 offset:4
	s_wait_xcnt 0x2
	ds_bpermute_b32 v6, v2, v3 offset:8
	ds_bpermute_b32 v7, v2, v3 offset:12
	;; [unrolled: 1-line block ×3, first 2 shown]
	s_wait_loadcnt 0xf
	s_wait_xcnt 0x1
	v_cvt_f32_f16_e32 v9, v16
	s_wait_loadcnt 0xe
	v_cvt_f32_f16_e32 v8, v17
	s_wait_loadcnt 0xd
	s_wait_xcnt 0x0
	v_cvt_f32_f16_e32 v11, v18
	s_wait_loadcnt 0xc
	v_cvt_f32_f16_e32 v10, v19
	s_wait_loadcnt 0x9
	v_cvt_f32_f16_e32 v15, v88
	s_delay_alu instid0(VALU_DEP_2)
	v_pk_mul_f32 v[8:9], v[8:9], v[10:11]
	v_cvt_f32_f16_e32 v11, v84
	v_cvt_f32_f16_e32 v10, v85
	s_wait_loadcnt 0x8
	v_cvt_f32_f16_e32 v14, v89
	s_wait_loadcnt 0x7
	v_cvt_f32_f16_e32 v17, v90
	s_wait_dscnt 0x3
	v_pk_mul_f32 v[4:5], v[8:9], v[4:5]
	ds_bpermute_b32 v8, v2, v3 offset:24
	s_wait_loadcnt 0x6
	v_cvt_f32_f16_e32 v16, v91
	v_pk_mul_f32 v[10:11], v[10:11], v[14:15]
	s_wait_loadcnt 0x5
	v_cvt_f32_f16_e32 v15, v92
	s_wait_loadcnt 0x4
	v_cvt_f32_f16_e32 v14, v93
	ds_bpermute_b32 v9, v2, v3 offset:28
	s_wait_dscnt 0x3
	v_pk_mul_f32 v[6:7], v[10:11], v[6:7]
	v_add_f32_e32 v4, v87, v4
	s_wait_loadcnt 0x3
	v_cvt_f32_f16_e32 v11, v94
	s_delay_alu instid0(VALU_DEP_2)
	v_add_f32_e32 v10, v4, v5
	v_pk_mul_f32 v[4:5], v[16:17], v[14:15]
	s_wait_loadcnt 0x1
	v_cvt_f32_f16_e32 v15, v96
	s_wait_loadcnt 0x0
	v_cvt_f32_f16_e32 v14, v97
	v_add_f32_e32 v3, v10, v6
	v_cvt_f32_f16_e32 v10, v95
	s_wait_dscnt 0x2
	v_pk_mul_f32 v[4:5], v[4:5], v[12:13]
	s_delay_alu instid0(VALU_DEP_3) | instskip(NEXT) | instid1(VALU_DEP_3)
	v_add_f32_e32 v3, v3, v7
	v_pk_mul_f32 v[6:7], v[10:11], v[14:15]
	s_delay_alu instid0(VALU_DEP_2) | instskip(NEXT) | instid1(VALU_DEP_1)
	v_add_f32_e32 v3, v3, v4
	v_add_f32_e32 v3, v3, v5
	s_wait_dscnt 0x0
	s_delay_alu instid0(VALU_DEP_3) | instskip(NEXT) | instid1(VALU_DEP_1)
	v_pk_mul_f32 v[4:5], v[6:7], v[8:9]
	v_add_f32_e32 v3, v3, v4
	s_delay_alu instid0(VALU_DEP_1)
	v_add_f32_e32 v88, v3, v5
.LBB178_81:                             ;   in Loop: Header=BB178_53 Depth=1
	s_add_nc_u64 s[24:25], s[24:25], s[20:21]
	v_add_nc_u64_e32 v[52:53], s[8:9], v[52:53]
	v_cmp_ge_i64_e64 s13, s[24:25], s[4:5]
	v_add_nc_u64_e32 v[54:55], s[8:9], v[54:55]
	v_add_nc_u64_e32 v[20:21], s[20:21], v[20:21]
	;; [unrolled: 1-line block ×30, first 2 shown]
	s_and_b32 vcc_lo, exec_lo, s13
	s_add_nc_u64 s[10:11], s[10:11], s[20:21]
	s_cbranch_vccnz .LBB178_83
; %bb.82:                               ;   in Loop: Header=BB178_53 Depth=1
	v_mov_b32_e32 v87, v88
	s_branch .LBB178_53
.LBB178_83:
	s_mov_b32 s13, 0
	s_delay_alu instid0(SALU_CYCLE_1)
	s_lshl_b64 s[4:5], s[12:13], 5
	s_wait_kmcnt 0x0
	s_cmp_lg_u64 s[2:3], 0
	v_and_or_b32 v2, 0x3ff, v0, s4
	v_mov_b32_e32 v3, s5
	s_cselect_b32 s4, -1, 0
	s_delay_alu instid0(VALU_DEP_1) | instskip(SKIP_1) | instid1(SALU_CYCLE_1)
	v_cmp_gt_i64_e32 vcc_lo, s[6:7], v[2:3]
	s_and_b32 s4, vcc_lo, s4
	s_and_saveexec_b32 s5, s4
	s_cbranch_execz .LBB178_85
; %bb.84:
	s_load_u16 s0, s[0:1], 0x4e
	v_bfe_u32 v0, v0, 10, 10
	v_mov_b32_e32 v1, 0
	v_cvt_f16_f32_e32 v4, v88
	s_wait_kmcnt 0x0
	s_delay_alu instid0(VALU_DEP_2) | instskip(NEXT) | instid1(VALU_DEP_1)
	v_mad_nc_u64_u32 v[0:1], s0, s30, v[0:1]
	v_mul_u64_e32 v[0:1], s[6:7], v[0:1]
	s_delay_alu instid0(VALU_DEP_1) | instskip(NEXT) | instid1(VALU_DEP_1)
	v_lshl_add_u64 v[0:1], v[0:1], 1, s[2:3]
	v_lshl_add_u64 v[0:1], v[2:3], 1, v[0:1]
	global_store_b16 v[0:1], v4, off
.LBB178_85:
	s_sendmsg sendmsg(MSG_DEALLOC_VGPRS)
	s_endpgm
	.section	.rodata,"a",@progbits
	.p2align	6, 0x0
	.amdhsa_kernel _ZN2at6native12_GLOBAL__N_135GammaBetaBackwardCUDAKernelTemplateIN3c104HalfEfLj32ELj1ELj8ELb1ELb0ELb1EEEvllPKT_S7_PKT0_SA_PS5_SB_
		.amdhsa_group_segment_fixed_size 0
		.amdhsa_private_segment_fixed_size 0
		.amdhsa_kernarg_size 320
		.amdhsa_user_sgpr_count 2
		.amdhsa_user_sgpr_dispatch_ptr 0
		.amdhsa_user_sgpr_queue_ptr 0
		.amdhsa_user_sgpr_kernarg_segment_ptr 1
		.amdhsa_user_sgpr_dispatch_id 0
		.amdhsa_user_sgpr_kernarg_preload_length 0
		.amdhsa_user_sgpr_kernarg_preload_offset 0
		.amdhsa_user_sgpr_private_segment_size 0
		.amdhsa_wavefront_size32 1
		.amdhsa_uses_dynamic_stack 0
		.amdhsa_enable_private_segment 0
		.amdhsa_system_sgpr_workgroup_id_x 1
		.amdhsa_system_sgpr_workgroup_id_y 1
		.amdhsa_system_sgpr_workgroup_id_z 0
		.amdhsa_system_sgpr_workgroup_info 0
		.amdhsa_system_vgpr_workitem_id 1
		.amdhsa_next_free_vgpr 98
		.amdhsa_next_free_sgpr 36
		.amdhsa_named_barrier_count 0
		.amdhsa_reserve_vcc 1
		.amdhsa_float_round_mode_32 0
		.amdhsa_float_round_mode_16_64 0
		.amdhsa_float_denorm_mode_32 3
		.amdhsa_float_denorm_mode_16_64 3
		.amdhsa_fp16_overflow 0
		.amdhsa_memory_ordered 1
		.amdhsa_forward_progress 1
		.amdhsa_inst_pref_size 44
		.amdhsa_round_robin_scheduling 0
		.amdhsa_exception_fp_ieee_invalid_op 0
		.amdhsa_exception_fp_denorm_src 0
		.amdhsa_exception_fp_ieee_div_zero 0
		.amdhsa_exception_fp_ieee_overflow 0
		.amdhsa_exception_fp_ieee_underflow 0
		.amdhsa_exception_fp_ieee_inexact 0
		.amdhsa_exception_int_div_zero 0
	.end_amdhsa_kernel
	.section	.text._ZN2at6native12_GLOBAL__N_135GammaBetaBackwardCUDAKernelTemplateIN3c104HalfEfLj32ELj1ELj8ELb1ELb0ELb1EEEvllPKT_S7_PKT0_SA_PS5_SB_,"axG",@progbits,_ZN2at6native12_GLOBAL__N_135GammaBetaBackwardCUDAKernelTemplateIN3c104HalfEfLj32ELj1ELj8ELb1ELb0ELb1EEEvllPKT_S7_PKT0_SA_PS5_SB_,comdat
.Lfunc_end178:
	.size	_ZN2at6native12_GLOBAL__N_135GammaBetaBackwardCUDAKernelTemplateIN3c104HalfEfLj32ELj1ELj8ELb1ELb0ELb1EEEvllPKT_S7_PKT0_SA_PS5_SB_, .Lfunc_end178-_ZN2at6native12_GLOBAL__N_135GammaBetaBackwardCUDAKernelTemplateIN3c104HalfEfLj32ELj1ELj8ELb1ELb0ELb1EEEvllPKT_S7_PKT0_SA_PS5_SB_
                                        ; -- End function
	.set _ZN2at6native12_GLOBAL__N_135GammaBetaBackwardCUDAKernelTemplateIN3c104HalfEfLj32ELj1ELj8ELb1ELb0ELb1EEEvllPKT_S7_PKT0_SA_PS5_SB_.num_vgpr, 98
	.set _ZN2at6native12_GLOBAL__N_135GammaBetaBackwardCUDAKernelTemplateIN3c104HalfEfLj32ELj1ELj8ELb1ELb0ELb1EEEvllPKT_S7_PKT0_SA_PS5_SB_.num_agpr, 0
	.set _ZN2at6native12_GLOBAL__N_135GammaBetaBackwardCUDAKernelTemplateIN3c104HalfEfLj32ELj1ELj8ELb1ELb0ELb1EEEvllPKT_S7_PKT0_SA_PS5_SB_.numbered_sgpr, 36
	.set _ZN2at6native12_GLOBAL__N_135GammaBetaBackwardCUDAKernelTemplateIN3c104HalfEfLj32ELj1ELj8ELb1ELb0ELb1EEEvllPKT_S7_PKT0_SA_PS5_SB_.num_named_barrier, 0
	.set _ZN2at6native12_GLOBAL__N_135GammaBetaBackwardCUDAKernelTemplateIN3c104HalfEfLj32ELj1ELj8ELb1ELb0ELb1EEEvllPKT_S7_PKT0_SA_PS5_SB_.private_seg_size, 0
	.set _ZN2at6native12_GLOBAL__N_135GammaBetaBackwardCUDAKernelTemplateIN3c104HalfEfLj32ELj1ELj8ELb1ELb0ELb1EEEvllPKT_S7_PKT0_SA_PS5_SB_.uses_vcc, 1
	.set _ZN2at6native12_GLOBAL__N_135GammaBetaBackwardCUDAKernelTemplateIN3c104HalfEfLj32ELj1ELj8ELb1ELb0ELb1EEEvllPKT_S7_PKT0_SA_PS5_SB_.uses_flat_scratch, 0
	.set _ZN2at6native12_GLOBAL__N_135GammaBetaBackwardCUDAKernelTemplateIN3c104HalfEfLj32ELj1ELj8ELb1ELb0ELb1EEEvllPKT_S7_PKT0_SA_PS5_SB_.has_dyn_sized_stack, 0
	.set _ZN2at6native12_GLOBAL__N_135GammaBetaBackwardCUDAKernelTemplateIN3c104HalfEfLj32ELj1ELj8ELb1ELb0ELb1EEEvllPKT_S7_PKT0_SA_PS5_SB_.has_recursion, 0
	.set _ZN2at6native12_GLOBAL__N_135GammaBetaBackwardCUDAKernelTemplateIN3c104HalfEfLj32ELj1ELj8ELb1ELb0ELb1EEEvllPKT_S7_PKT0_SA_PS5_SB_.has_indirect_call, 0
	.section	.AMDGPU.csdata,"",@progbits
; Kernel info:
; codeLenInByte = 5532
; TotalNumSgprs: 38
; NumVgprs: 98
; ScratchSize: 0
; MemoryBound: 0
; FloatMode: 240
; IeeeMode: 1
; LDSByteSize: 0 bytes/workgroup (compile time only)
; SGPRBlocks: 0
; VGPRBlocks: 6
; NumSGPRsForWavesPerEU: 38
; NumVGPRsForWavesPerEU: 98
; NamedBarCnt: 0
; Occupancy: 9
; WaveLimiterHint : 0
; COMPUTE_PGM_RSRC2:SCRATCH_EN: 0
; COMPUTE_PGM_RSRC2:USER_SGPR: 2
; COMPUTE_PGM_RSRC2:TRAP_HANDLER: 0
; COMPUTE_PGM_RSRC2:TGID_X_EN: 1
; COMPUTE_PGM_RSRC2:TGID_Y_EN: 1
; COMPUTE_PGM_RSRC2:TGID_Z_EN: 0
; COMPUTE_PGM_RSRC2:TIDIG_COMP_CNT: 1
	.section	.text._ZN2at6native12_GLOBAL__N_135GammaBetaBackwardCUDAKernelTemplateIN3c104HalfEfLj32ELj8ELj64ELb0ELb1ELb1EEEvllPKT_S7_PKT0_SA_PS5_SB_,"axG",@progbits,_ZN2at6native12_GLOBAL__N_135GammaBetaBackwardCUDAKernelTemplateIN3c104HalfEfLj32ELj8ELj64ELb0ELb1ELb1EEEvllPKT_S7_PKT0_SA_PS5_SB_,comdat
	.globl	_ZN2at6native12_GLOBAL__N_135GammaBetaBackwardCUDAKernelTemplateIN3c104HalfEfLj32ELj8ELj64ELb0ELb1ELb1EEEvllPKT_S7_PKT0_SA_PS5_SB_ ; -- Begin function _ZN2at6native12_GLOBAL__N_135GammaBetaBackwardCUDAKernelTemplateIN3c104HalfEfLj32ELj8ELj64ELb0ELb1ELb1EEEvllPKT_S7_PKT0_SA_PS5_SB_
	.p2align	8
	.type	_ZN2at6native12_GLOBAL__N_135GammaBetaBackwardCUDAKernelTemplateIN3c104HalfEfLj32ELj8ELj64ELb0ELb1ELb1EEEvllPKT_S7_PKT0_SA_PS5_SB_,@function
_ZN2at6native12_GLOBAL__N_135GammaBetaBackwardCUDAKernelTemplateIN3c104HalfEfLj32ELj8ELj64ELb0ELb1ELb1EEEvllPKT_S7_PKT0_SA_PS5_SB_: ; @_ZN2at6native12_GLOBAL__N_135GammaBetaBackwardCUDAKernelTemplateIN3c104HalfEfLj32ELj8ELj64ELb0ELb1ELb1EEEvllPKT_S7_PKT0_SA_PS5_SB_
; %bb.0:
	s_load_b128 s[4:7], s[0:1], 0x0
	s_bfe_u32 s2, ttmp6, 0x40010
	s_bfe_u32 s3, ttmp6, 0x40004
	s_add_co_i32 s2, s2, 1
	s_getreg_b32 s20, hwreg(HW_REG_IB_STS2, 6, 4)
	s_mul_i32 s2, ttmp7, s2
	s_mov_b32 s13, 0
	s_add_co_i32 s3, s3, s2
	s_cmp_eq_u32 s20, 0
	v_bfe_u32 v9, v0, 10, 10
	s_cselect_b32 s2, ttmp7, s3
	s_delay_alu instid0(SALU_CYCLE_1)
	s_lshl_b32 s12, s2, 6
	s_wait_kmcnt 0x0
	v_cmp_gt_i64_e64 s2, s[4:5], s[12:13]
	s_and_b32 vcc_lo, exec_lo, s2
	s_cbranch_vccnz .LBB179_2
; %bb.1:
	v_bfe_u32 v1, v0, 10, 10
	s_mov_b32 s2, s13
	v_and_b32_e32 v8, 0x3ff, v0
	v_mov_b32_e32 v16, 0
	s_and_not1_b32 vcc_lo, exec_lo, s2
	s_cbranch_vccz .LBB179_3
	s_branch .LBB179_10
.LBB179_2:
                                        ; implicit-def: $vgpr1
	v_and_b32_e32 v8, 0x3ff, v0
	v_mov_b32_e32 v16, 0
.LBB179_3:
	v_dual_mov_b32 v1, 0 :: v_dual_lshlrev_b32 v0, 3, v9
	s_load_b32 s2, s[0:1], 0x4c
	s_bfe_u32 s14, ttmp6, 0x4000c
	s_clause 0x2
	s_load_b32 s3, s[0:1], 0x44
	s_load_b128 s[8:11], s[0:1], 0x10
	s_load_b64 s[16:17], s[0:1], 0x28
	s_add_co_i32 s14, s14, 1
	v_add_nc_u64_e32 v[2:3], s[12:13], v[0:1]
	s_and_b32 s18, ttmp6, 15
	s_mul_i32 s14, ttmp9, s14
	v_dual_mov_b32 v5, v1 :: v_dual_mov_b32 v15, v1
	s_add_co_i32 s18, s18, s14
	s_mov_b32 s15, 0
	s_delay_alu instid0(VALU_DEP_2)
	v_mul_u64_e32 v[6:7], s[6:7], v[2:3]
	v_dual_mov_b32 v0, 8 :: v_dual_mov_b32 v10, 4
	v_dual_mov_b32 v12, 16 :: v_dual_mov_b32 v13, 20
	v_mov_b32_e32 v11, 12
	s_wait_kmcnt 0x0
	s_and_b32 s2, s2, 0xffff
	s_cmp_eq_u32 s20, 0
	v_mad_u32_u24 v4, v9, s2, v8
	s_cselect_b32 s2, ttmp9, s18
	s_lshl_b32 s14, s3, 6
	v_lshl_add_u32 v14, s2, 5, v8
	s_mul_u64 s[18:19], s[6:7], s[14:15]
	v_and_b32_e32 v4, 31, v4
	s_lshl_b64 s[18:19], s[18:19], 1
	s_lshl_b64 s[6:7], s[6:7], 1
	v_lshlrev_b64_e32 v[16:17], 1, v[14:15]
	v_dual_mov_b32 v14, 24 :: v_dual_mov_b32 v15, 28
	v_add_nc_u64_e32 v[2:3], v[2:3], v[4:5]
	v_cmp_gt_u32_e64 s2, 8, v4
	s_delay_alu instid0(VALU_DEP_2)
	v_lshl_add_u64 v[4:5], v[2:3], 2, s[16:17]
	s_lshl_b64 s[16:17], s[14:15], 2
	v_lshl_add_u64 v[6:7], v[6:7], 1, v[16:17]
	v_mov_b32_e32 v16, 0
	s_branch .LBB179_6
.LBB179_4:                              ;   in Loop: Header=BB179_6 Depth=1
	s_wait_xcnt 0x0
	s_or_b32 exec_lo, exec_lo, s21
.LBB179_5:                              ;   in Loop: Header=BB179_6 Depth=1
	s_delay_alu instid0(SALU_CYCLE_1)
	s_or_b32 exec_lo, exec_lo, s3
	v_add_nc_u64_e32 v[18:19], s[8:9], v[6:7]
	v_add_nc_u64_e32 v[20:21], s[10:11], v[6:7]
	s_add_nc_u64 s[12:13], s[12:13], s[14:15]
	v_add_nc_u64_e32 v[4:5], s[16:17], v[4:5]
	v_cmp_lt_i64_e64 s3, s[12:13], s[4:5]
	v_add_nc_u64_e32 v[2:3], s[14:15], v[2:3]
	v_add_nc_u64_e32 v[6:7], s[18:19], v[6:7]
	;; [unrolled: 1-line block ×4, first 2 shown]
	global_load_u16 v30, v[18:19], off
	global_load_u16 v31, v[20:21], off
	;; [unrolled: 1-line block ×4, first 2 shown]
	s_and_b32 vcc_lo, exec_lo, s3
	v_add_nc_u64_e32 v[26:27], s[6:7], v[22:23]
	v_add_nc_u64_e32 v[28:29], s[6:7], v[24:25]
	global_load_u16 v34, v[26:27], off
	global_load_u16 v35, v[28:29], off
	s_wait_xcnt 0x5
	v_add_nc_u64_e32 v[18:19], s[6:7], v[26:27]
	s_wait_xcnt 0x4
	v_add_nc_u64_e32 v[20:21], s[6:7], v[28:29]
	global_load_u16 v27, v[18:19], off
	global_load_u16 v28, v[20:21], off
	v_add_nc_u64_e32 v[22:23], s[6:7], v[18:19]
	v_add_nc_u64_e32 v[24:25], s[6:7], v[20:21]
	global_load_u16 v29, v[22:23], off
	global_load_u16 v36, v[24:25], off
	s_wait_xcnt 0x3
	v_add_nc_u64_e32 v[18:19], s[6:7], v[22:23]
	s_wait_xcnt 0x2
	v_add_nc_u64_e32 v[20:21], s[6:7], v[24:25]
	global_load_u16 v37, v[18:19], off
	global_load_u16 v38, v[20:21], off
	s_wait_xcnt 0x3
	v_add_nc_u64_e32 v[22:23], s[6:7], v[18:19]
	s_wait_xcnt 0x2
	v_add_nc_u64_e32 v[24:25], s[6:7], v[20:21]
	s_wait_xcnt 0x1
	s_delay_alu instid0(VALU_DEP_2) | instskip(SKIP_1) | instid1(VALU_DEP_2)
	v_add_nc_u64_e32 v[18:19], s[6:7], v[22:23]
	s_wait_xcnt 0x0
	v_add_nc_u64_e32 v[20:21], s[6:7], v[24:25]
	global_load_u16 v39, v[22:23], off
	global_load_u16 v40, v[24:25], off
	;; [unrolled: 1-line block ×4, first 2 shown]
	s_wait_loadcnt 0x10
	s_wait_xcnt 0x1
	ds_bpermute_b32 v18, v1, v17
	ds_bpermute_b32 v19, v10, v17
	;; [unrolled: 1-line block ×4, first 2 shown]
	s_wait_loadcnt 0xf
	s_wait_xcnt 0x0
	v_cvt_f32_f16_e32 v20, v30
	s_wait_loadcnt 0xe
	v_cvt_f32_f16_e32 v22, v31
	s_wait_loadcnt 0xd
	;; [unrolled: 2-line block ×3, first 2 shown]
	v_cvt_f32_f16_e32 v23, v33
	s_delay_alu instid0(VALU_DEP_1)
	v_pk_mul_f32 v[20:21], v[20:21], v[22:23]
	s_wait_loadcnt 0xb
	v_cvt_f32_f16_e32 v22, v34
	s_wait_loadcnt 0xa
	v_cvt_f32_f16_e32 v26, v35
	s_wait_dscnt 0x2
	v_pk_mul_f32 v[18:19], v[20:21], v[18:19]
	ds_bpermute_b32 v20, v12, v17
	ds_bpermute_b32 v21, v13, v17
	s_wait_loadcnt 0x9
	v_cvt_f32_f16_e32 v23, v27
	s_wait_loadcnt 0x8
	v_cvt_f32_f16_e32 v27, v28
	s_delay_alu instid0(VALU_DEP_1) | instskip(SKIP_1) | instid1(VALU_DEP_1)
	v_pk_mul_f32 v[22:23], v[22:23], v[26:27]
	s_wait_dscnt 0x2
	v_pk_mul_f32 v[22:23], v[22:23], v[24:25]
	v_add_f32_e32 v18, v16, v18
	ds_bpermute_b32 v16, v14, v17
	s_wait_loadcnt 0x6
	v_cvt_f32_f16_e32 v24, v36
	ds_bpermute_b32 v17, v15, v17
	v_add_f32_e32 v26, v18, v19
	v_cvt_f32_f16_e32 v18, v29
	s_wait_loadcnt 0x5
	v_cvt_f32_f16_e32 v19, v37
	s_wait_loadcnt 0x4
	v_cvt_f32_f16_e32 v25, v38
	v_add_f32_e32 v22, v26, v22
	s_delay_alu instid0(VALU_DEP_2) | instskip(NEXT) | instid1(VALU_DEP_2)
	v_pk_mul_f32 v[18:19], v[18:19], v[24:25]
	v_add_f32_e32 v26, v22, v23
	s_wait_loadcnt 0x3
	v_cvt_f32_f16_e32 v22, v39
	s_wait_loadcnt 0x2
	v_cvt_f32_f16_e32 v24, v40
	s_wait_dscnt 0x2
	v_pk_mul_f32 v[18:19], v[18:19], v[20:21]
	s_wait_loadcnt 0x1
	v_cvt_f32_f16_e32 v23, v41
	s_wait_loadcnt 0x0
	v_cvt_f32_f16_e32 v25, v42
	v_add_f32_e32 v18, v26, v18
	s_delay_alu instid0(VALU_DEP_2) | instskip(NEXT) | instid1(VALU_DEP_2)
	v_pk_mul_f32 v[20:21], v[22:23], v[24:25]
	v_add_f32_e32 v18, v18, v19
	s_wait_dscnt 0x0
	s_delay_alu instid0(VALU_DEP_2) | instskip(NEXT) | instid1(VALU_DEP_1)
	v_pk_mul_f32 v[16:17], v[20:21], v[16:17]
	v_add_f32_e32 v16, v18, v16
	s_delay_alu instid0(VALU_DEP_1)
	v_add_f32_e32 v16, v16, v17
	s_cbranch_vccz .LBB179_9
.LBB179_6:                              ; =>This Inner Loop Header: Depth=1
	v_mov_b32_e32 v17, 0
	s_and_saveexec_b32 s3, s2
	s_cbranch_execz .LBB179_5
; %bb.7:                                ;   in Loop: Header=BB179_6 Depth=1
	v_mov_b32_e32 v17, 0
	s_mov_b32 s21, exec_lo
	v_cmpx_gt_i64_e64 s[4:5], v[2:3]
	s_cbranch_execz .LBB179_4
; %bb.8:                                ;   in Loop: Header=BB179_6 Depth=1
	global_load_b32 v17, v[4:5], off
	s_branch .LBB179_4
.LBB179_9:
	v_mov_b32_e32 v1, v9
.LBB179_10:
	s_load_b64 s[2:3], s[0:1], 0x30
	s_delay_alu instid0(VALU_DEP_1) | instskip(SKIP_3) | instid1(VALU_DEP_2)
	v_mad_u32_u24 v0, v1, 33, v8
	v_dual_lshrrev_b32 v2, 5, v8 :: v_dual_mov_b32 v4, 0
	s_wait_xcnt 0x0
	s_mov_b32 s0, exec_lo
	v_lshl_add_u32 v3, v0, 2, 0
	s_delay_alu instid0(VALU_DEP_2)
	v_add_nc_u32_e32 v0, v2, v1
	ds_store_b32 v3, v16
	ds_store_b32 v3, v4 offset:1056
	s_wait_dscnt 0x0
	s_barrier_signal -1
	s_barrier_wait -1
	v_cmpx_gt_u32_e32 32, v0
	s_cbranch_execz .LBB179_30
; %bb.11:
	v_and_b32_e32 v1, 31, v8
                                        ; implicit-def: $vgpr4
	s_delay_alu instid0(VALU_DEP_1)
	v_cmp_gt_u32_e32 vcc_lo, 8, v1
	v_mul_u32_u24_e32 v1, 33, v1
	s_and_saveexec_b32 s0, vcc_lo
; %bb.12:
	s_delay_alu instid0(VALU_DEP_1) | instskip(NEXT) | instid1(VALU_DEP_1)
	v_dual_lshlrev_b32 v2, 2, v0 :: v_dual_lshlrev_b32 v3, 2, v1
	v_add3_u32 v2, 0, v2, v3
	ds_load_b32 v4, v2
; %bb.13:
	s_or_b32 exec_lo, exec_lo, s0
	v_mbcnt_lo_u32_b32 v5, -1, 0
	s_wait_kmcnt 0x0
	s_cmp_lg_u64 s[2:3], 0
	s_cselect_b32 s1, -1, 0
	s_bfe_u32 s4, ttmp6, 0x4000c
	v_xor_b32_e32 v3, 2, v5
	v_xor_b32_e32 v2, 4, v5
	s_add_co_i32 s4, s4, 1
	s_and_b32 s5, ttmp6, 15
	s_mul_i32 s4, ttmp9, s4
	v_xor_b32_e32 v7, 1, v5
	v_cmp_gt_i32_e64 s0, 32, v2
	s_delay_alu instid0(VALU_DEP_1) | instskip(SKIP_1) | instid1(VALU_DEP_1)
	v_cndmask_b32_e64 v2, v5, v2, s0
	v_cmp_gt_i32_e64 s0, 32, v3
	v_cndmask_b32_e64 v3, v5, v3, s0
	v_cmp_gt_i32_e64 s0, 32, v7
	s_delay_alu instid0(VALU_DEP_2)
	v_dual_lshlrev_b32 v3, 2, v3 :: v_dual_lshlrev_b32 v2, 2, v2
	s_wait_dscnt 0x0
	ds_bpermute_b32 v6, v2, v4
	s_wait_dscnt 0x0
	v_add_f32_e32 v4, v4, v6
	ds_bpermute_b32 v6, v3, v4
	v_cndmask_b32_e64 v5, v5, v7, s0
	v_cmp_eq_u32_e64 s0, 0, v8
	s_and_b32 s1, s0, s1
	s_add_co_i32 s0, s5, s4
	s_cmp_eq_u32 s20, 0
	s_mov_b32 s5, 0
	s_cselect_b32 s4, ttmp9, s0
	s_delay_alu instid0(SALU_CYCLE_1) | instskip(NEXT) | instid1(SALU_CYCLE_1)
	s_lshl_b64 s[4:5], s[4:5], 6
	s_add_nc_u64 s[2:3], s[2:3], s[4:5]
	s_wait_dscnt 0x0
	v_dual_add_f32 v6, v4, v6 :: v_dual_lshlrev_b32 v4, 2, v5
	ds_bpermute_b32 v5, v4, v6
	s_wait_dscnt 0x0
	v_add_f32_e32 v5, v6, v5
	s_and_saveexec_b32 s0, s1
	s_cbranch_execz .LBB179_15
; %bb.14:
	s_delay_alu instid0(VALU_DEP_1)
	v_cvt_f16_f32_e32 v6, v5
	global_store_b16 v0, v6, s[2:3] scale_offset
.LBB179_15:
	s_wait_xcnt 0x0
	s_or_b32 exec_lo, exec_lo, s0
	v_cmp_gt_u32_e64 s0, 24, v0
	s_and_b32 exec_lo, exec_lo, s0
	s_cbranch_execz .LBB179_30
; %bb.16:
	s_and_saveexec_b32 s0, vcc_lo
; %bb.17:
	v_dual_lshlrev_b32 v5, 2, v0 :: v_dual_lshlrev_b32 v6, 2, v1
	s_delay_alu instid0(VALU_DEP_1)
	v_add3_u32 v5, 0, v5, v6
	ds_load_b32 v5, v5 offset:32
; %bb.18:
	s_or_b32 exec_lo, exec_lo, s0
	s_wait_dscnt 0x0
	ds_bpermute_b32 v6, v2, v5
	s_wait_dscnt 0x0
	v_add_f32_e32 v5, v5, v6
	ds_bpermute_b32 v6, v3, v5
	s_wait_dscnt 0x0
	v_add_f32_e32 v5, v5, v6
	;; [unrolled: 3-line block ×3, first 2 shown]
	s_and_saveexec_b32 s0, s1
	s_cbranch_execz .LBB179_20
; %bb.19:
	s_delay_alu instid0(VALU_DEP_1)
	v_cvt_f16_f32_e32 v6, v5
	global_store_b16 v0, v6, s[2:3] offset:16 scale_offset
.LBB179_20:
	s_wait_xcnt 0x0
	s_or_b32 exec_lo, exec_lo, s0
	v_cmp_gt_u32_e64 s0, 16, v0
	s_and_b32 exec_lo, exec_lo, s0
	s_cbranch_execz .LBB179_30
; %bb.21:
	s_and_saveexec_b32 s0, vcc_lo
; %bb.22:
	v_dual_lshlrev_b32 v5, 2, v0 :: v_dual_lshlrev_b32 v6, 2, v1
	s_delay_alu instid0(VALU_DEP_1)
	v_add3_u32 v5, 0, v5, v6
	ds_load_b32 v5, v5 offset:64
; %bb.23:
	s_or_b32 exec_lo, exec_lo, s0
	s_wait_dscnt 0x0
	ds_bpermute_b32 v6, v2, v5
	s_wait_dscnt 0x0
	v_add_f32_e32 v5, v5, v6
	ds_bpermute_b32 v6, v3, v5
	s_wait_dscnt 0x0
	v_add_f32_e32 v5, v5, v6
	;; [unrolled: 3-line block ×3, first 2 shown]
	s_and_saveexec_b32 s0, s1
	s_cbranch_execz .LBB179_25
; %bb.24:
	s_delay_alu instid0(VALU_DEP_1)
	v_cvt_f16_f32_e32 v6, v5
	global_store_b16 v0, v6, s[2:3] offset:32 scale_offset
.LBB179_25:
	s_wait_xcnt 0x0
	s_or_b32 exec_lo, exec_lo, s0
	v_cmp_gt_u32_e64 s0, 8, v0
	s_and_b32 exec_lo, exec_lo, s0
	s_cbranch_execz .LBB179_30
; %bb.26:
	s_and_saveexec_b32 s0, vcc_lo
; %bb.27:
	v_dual_lshlrev_b32 v5, 2, v0 :: v_dual_lshlrev_b32 v1, 2, v1
	s_delay_alu instid0(VALU_DEP_1)
	v_add3_u32 v1, 0, v5, v1
	ds_load_b32 v5, v1 offset:96
; %bb.28:
	s_or_b32 exec_lo, exec_lo, s0
	s_wait_dscnt 0x0
	ds_bpermute_b32 v1, v2, v5
	s_wait_dscnt 0x0
	v_add_f32_e32 v1, v5, v1
	ds_bpermute_b32 v2, v3, v1
	s_wait_dscnt 0x0
	v_add_f32_e32 v1, v1, v2
	ds_bpermute_b32 v2, v4, v1
	s_and_saveexec_b32 s0, s1
	s_delay_alu instid0(SALU_CYCLE_1)
	s_xor_b32 s0, exec_lo, s0
	s_cbranch_execz .LBB179_30
; %bb.29:
	s_wait_dscnt 0x0
	v_add_f32_e32 v1, v1, v2
	s_delay_alu instid0(VALU_DEP_1)
	v_cvt_f16_f32_e32 v1, v1
	global_store_b16 v0, v1, s[2:3] offset:48 scale_offset
.LBB179_30:
	s_endpgm
	.section	.rodata,"a",@progbits
	.p2align	6, 0x0
	.amdhsa_kernel _ZN2at6native12_GLOBAL__N_135GammaBetaBackwardCUDAKernelTemplateIN3c104HalfEfLj32ELj8ELj64ELb0ELb1ELb1EEEvllPKT_S7_PKT0_SA_PS5_SB_
		.amdhsa_group_segment_fixed_size 0
		.amdhsa_private_segment_fixed_size 0
		.amdhsa_kernarg_size 320
		.amdhsa_user_sgpr_count 2
		.amdhsa_user_sgpr_dispatch_ptr 0
		.amdhsa_user_sgpr_queue_ptr 0
		.amdhsa_user_sgpr_kernarg_segment_ptr 1
		.amdhsa_user_sgpr_dispatch_id 0
		.amdhsa_user_sgpr_kernarg_preload_length 0
		.amdhsa_user_sgpr_kernarg_preload_offset 0
		.amdhsa_user_sgpr_private_segment_size 0
		.amdhsa_wavefront_size32 1
		.amdhsa_uses_dynamic_stack 0
		.amdhsa_enable_private_segment 0
		.amdhsa_system_sgpr_workgroup_id_x 1
		.amdhsa_system_sgpr_workgroup_id_y 1
		.amdhsa_system_sgpr_workgroup_id_z 0
		.amdhsa_system_sgpr_workgroup_info 0
		.amdhsa_system_vgpr_workitem_id 1
		.amdhsa_next_free_vgpr 43
		.amdhsa_next_free_sgpr 22
		.amdhsa_named_barrier_count 0
		.amdhsa_reserve_vcc 1
		.amdhsa_float_round_mode_32 0
		.amdhsa_float_round_mode_16_64 0
		.amdhsa_float_denorm_mode_32 3
		.amdhsa_float_denorm_mode_16_64 3
		.amdhsa_fp16_overflow 0
		.amdhsa_memory_ordered 1
		.amdhsa_forward_progress 1
		.amdhsa_inst_pref_size 16
		.amdhsa_round_robin_scheduling 0
		.amdhsa_exception_fp_ieee_invalid_op 0
		.amdhsa_exception_fp_denorm_src 0
		.amdhsa_exception_fp_ieee_div_zero 0
		.amdhsa_exception_fp_ieee_overflow 0
		.amdhsa_exception_fp_ieee_underflow 0
		.amdhsa_exception_fp_ieee_inexact 0
		.amdhsa_exception_int_div_zero 0
	.end_amdhsa_kernel
	.section	.text._ZN2at6native12_GLOBAL__N_135GammaBetaBackwardCUDAKernelTemplateIN3c104HalfEfLj32ELj8ELj64ELb0ELb1ELb1EEEvllPKT_S7_PKT0_SA_PS5_SB_,"axG",@progbits,_ZN2at6native12_GLOBAL__N_135GammaBetaBackwardCUDAKernelTemplateIN3c104HalfEfLj32ELj8ELj64ELb0ELb1ELb1EEEvllPKT_S7_PKT0_SA_PS5_SB_,comdat
.Lfunc_end179:
	.size	_ZN2at6native12_GLOBAL__N_135GammaBetaBackwardCUDAKernelTemplateIN3c104HalfEfLj32ELj8ELj64ELb0ELb1ELb1EEEvllPKT_S7_PKT0_SA_PS5_SB_, .Lfunc_end179-_ZN2at6native12_GLOBAL__N_135GammaBetaBackwardCUDAKernelTemplateIN3c104HalfEfLj32ELj8ELj64ELb0ELb1ELb1EEEvllPKT_S7_PKT0_SA_PS5_SB_
                                        ; -- End function
	.set _ZN2at6native12_GLOBAL__N_135GammaBetaBackwardCUDAKernelTemplateIN3c104HalfEfLj32ELj8ELj64ELb0ELb1ELb1EEEvllPKT_S7_PKT0_SA_PS5_SB_.num_vgpr, 43
	.set _ZN2at6native12_GLOBAL__N_135GammaBetaBackwardCUDAKernelTemplateIN3c104HalfEfLj32ELj8ELj64ELb0ELb1ELb1EEEvllPKT_S7_PKT0_SA_PS5_SB_.num_agpr, 0
	.set _ZN2at6native12_GLOBAL__N_135GammaBetaBackwardCUDAKernelTemplateIN3c104HalfEfLj32ELj8ELj64ELb0ELb1ELb1EEEvllPKT_S7_PKT0_SA_PS5_SB_.numbered_sgpr, 22
	.set _ZN2at6native12_GLOBAL__N_135GammaBetaBackwardCUDAKernelTemplateIN3c104HalfEfLj32ELj8ELj64ELb0ELb1ELb1EEEvllPKT_S7_PKT0_SA_PS5_SB_.num_named_barrier, 0
	.set _ZN2at6native12_GLOBAL__N_135GammaBetaBackwardCUDAKernelTemplateIN3c104HalfEfLj32ELj8ELj64ELb0ELb1ELb1EEEvllPKT_S7_PKT0_SA_PS5_SB_.private_seg_size, 0
	.set _ZN2at6native12_GLOBAL__N_135GammaBetaBackwardCUDAKernelTemplateIN3c104HalfEfLj32ELj8ELj64ELb0ELb1ELb1EEEvllPKT_S7_PKT0_SA_PS5_SB_.uses_vcc, 1
	.set _ZN2at6native12_GLOBAL__N_135GammaBetaBackwardCUDAKernelTemplateIN3c104HalfEfLj32ELj8ELj64ELb0ELb1ELb1EEEvllPKT_S7_PKT0_SA_PS5_SB_.uses_flat_scratch, 0
	.set _ZN2at6native12_GLOBAL__N_135GammaBetaBackwardCUDAKernelTemplateIN3c104HalfEfLj32ELj8ELj64ELb0ELb1ELb1EEEvllPKT_S7_PKT0_SA_PS5_SB_.has_dyn_sized_stack, 0
	.set _ZN2at6native12_GLOBAL__N_135GammaBetaBackwardCUDAKernelTemplateIN3c104HalfEfLj32ELj8ELj64ELb0ELb1ELb1EEEvllPKT_S7_PKT0_SA_PS5_SB_.has_recursion, 0
	.set _ZN2at6native12_GLOBAL__N_135GammaBetaBackwardCUDAKernelTemplateIN3c104HalfEfLj32ELj8ELj64ELb0ELb1ELb1EEEvllPKT_S7_PKT0_SA_PS5_SB_.has_indirect_call, 0
	.section	.AMDGPU.csdata,"",@progbits
; Kernel info:
; codeLenInByte = 1936
; TotalNumSgprs: 24
; NumVgprs: 43
; ScratchSize: 0
; MemoryBound: 0
; FloatMode: 240
; IeeeMode: 1
; LDSByteSize: 0 bytes/workgroup (compile time only)
; SGPRBlocks: 0
; VGPRBlocks: 2
; NumSGPRsForWavesPerEU: 24
; NumVGPRsForWavesPerEU: 43
; NamedBarCnt: 0
; Occupancy: 16
; WaveLimiterHint : 0
; COMPUTE_PGM_RSRC2:SCRATCH_EN: 0
; COMPUTE_PGM_RSRC2:USER_SGPR: 2
; COMPUTE_PGM_RSRC2:TRAP_HANDLER: 0
; COMPUTE_PGM_RSRC2:TGID_X_EN: 1
; COMPUTE_PGM_RSRC2:TGID_Y_EN: 1
; COMPUTE_PGM_RSRC2:TGID_Z_EN: 0
; COMPUTE_PGM_RSRC2:TIDIG_COMP_CNT: 1
	.section	.text._ZN2at6native12_GLOBAL__N_135GammaBetaBackwardCUDAKernelTemplateIN3c104HalfEfLj32ELj8ELj64ELb0ELb0ELb1EEEvllPKT_S7_PKT0_SA_PS5_SB_,"axG",@progbits,_ZN2at6native12_GLOBAL__N_135GammaBetaBackwardCUDAKernelTemplateIN3c104HalfEfLj32ELj8ELj64ELb0ELb0ELb1EEEvllPKT_S7_PKT0_SA_PS5_SB_,comdat
	.globl	_ZN2at6native12_GLOBAL__N_135GammaBetaBackwardCUDAKernelTemplateIN3c104HalfEfLj32ELj8ELj64ELb0ELb0ELb1EEEvllPKT_S7_PKT0_SA_PS5_SB_ ; -- Begin function _ZN2at6native12_GLOBAL__N_135GammaBetaBackwardCUDAKernelTemplateIN3c104HalfEfLj32ELj8ELj64ELb0ELb0ELb1EEEvllPKT_S7_PKT0_SA_PS5_SB_
	.p2align	8
	.type	_ZN2at6native12_GLOBAL__N_135GammaBetaBackwardCUDAKernelTemplateIN3c104HalfEfLj32ELj8ELj64ELb0ELb0ELb1EEEvllPKT_S7_PKT0_SA_PS5_SB_,@function
_ZN2at6native12_GLOBAL__N_135GammaBetaBackwardCUDAKernelTemplateIN3c104HalfEfLj32ELj8ELj64ELb0ELb0ELb1EEEvllPKT_S7_PKT0_SA_PS5_SB_: ; @_ZN2at6native12_GLOBAL__N_135GammaBetaBackwardCUDAKernelTemplateIN3c104HalfEfLj32ELj8ELj64ELb0ELb0ELb1EEEvllPKT_S7_PKT0_SA_PS5_SB_
; %bb.0:
	s_load_b256 s[4:11], s[0:1], 0x0
	s_bfe_u32 s3, ttmp6, 0x4000c
	s_bfe_u32 s12, ttmp6, 0x40010
	s_add_co_i32 s3, s3, 1
	s_add_co_i32 s12, s12, 1
	s_and_b32 s2, ttmp6, 15
	s_bfe_u32 s13, ttmp6, 0x40004
	s_mul_i32 s3, ttmp9, s3
	s_mul_i32 s12, ttmp7, s12
	s_getreg_b32 s14, hwreg(HW_REG_IB_STS2, 6, 4)
	s_add_co_i32 s2, s2, s3
	s_add_co_i32 s13, s13, s12
	s_cmp_eq_u32 s14, 0
	s_mov_b32 s17, 0
	s_cselect_b32 s12, ttmp9, s2
	s_cselect_b32 s2, ttmp7, s13
	s_lshl_b32 s3, s12, 5
	s_load_b64 s[14:15], s[0:1], 0x28
	s_or_b32 s16, s3, 31
	s_wait_kmcnt 0x0
	v_cmp_le_i64_e64 s18, s[6:7], s[16:17]
	s_lshl_b32 s16, s2, 6
	s_delay_alu instid0(SALU_CYCLE_1) | instskip(SKIP_2) | instid1(VALU_DEP_1)
	v_cmp_gt_i64_e64 s13, s[4:5], s[16:17]
	s_and_b32 vcc_lo, exec_lo, s18
	v_cndmask_b32_e64 v1, 0, 1, s13
	v_cmp_ne_u32_e64 s2, 1, v1
	s_cbranch_vccz .LBB180_49
; %bb.1:
	v_mov_b32_e32 v3, 0
	s_and_b32 vcc_lo, exec_lo, s2
	s_cbranch_vccnz .LBB180_50
; %bb.2:
	v_bfe_u32 v1, v0, 10, 10
	v_mov_b32_e32 v2, 0
	v_and_b32_e32 v58, 0x3ff, v0
	s_load_b32 s18, s[0:1], 0x44
	s_mov_b32 s19, 0
	s_delay_alu instid0(VALU_DEP_2) | instskip(NEXT) | instid1(VALU_DEP_2)
	v_dual_mov_b32 v21, v2 :: v_dual_lshlrev_b32 v20, 3, v1
	v_dual_mov_b32 v19, v2 :: v_dual_add_nc_u32 v18, s3, v58
	v_mov_b32_e32 v59, 0
	s_mov_b32 s35, s19
	s_delay_alu instid0(VALU_DEP_3)
	v_add_nc_u64_e32 v[4:5], s[16:17], v[20:21]
	s_add_nc_u64 s[20:21], s[0:1], 64
	v_cmp_gt_i64_e64 s2, s[6:7], v[18:19]
	v_lshlrev_b64_e32 v[22:23], 1, v[18:19]
	s_mov_b64 s[22:23], 0xffffffffffffffc1
	s_mov_b64 s[24:25], 0xffffffffffffffc2
	;; [unrolled: 1-line block ×3, first 2 shown]
	v_mul_u64_e32 v[6:7], s[6:7], v[4:5]
	v_add_nc_u64_e32 v[8:9], 7, v[4:5]
	v_add_nc_u64_e32 v[10:11], 6, v[4:5]
	;; [unrolled: 1-line block ×6, first 2 shown]
	s_wait_kmcnt 0x0
	s_lshl_b32 s34, s18, 6
	v_mul_u64_e32 v[8:9], s[6:7], v[8:9]
	v_mul_u64_e32 v[10:11], s[6:7], v[10:11]
	;; [unrolled: 1-line block ×6, first 2 shown]
	s_mul_u64 s[42:43], s[6:7], s[34:35]
	s_mov_b64 s[28:29], 0xffffffffffffffc4
	s_mov_b64 s[30:31], 0xffffffffffffffc5
	;; [unrolled: 1-line block ×5, first 2 shown]
	s_lshl_b64 s[42:43], s[42:43], 1
	s_add_nc_u64 s[44:45], s[16:17], 63
	s_mov_b64 s[46:47], s[16:17]
	v_lshlrev_b64_e32 v[26:27], 1, v[6:7]
	v_add_nc_u64_e32 v[6:7], s[6:7], v[6:7]
	s_delay_alu instid0(VALU_DEP_2)
	v_add_nc_u64_e32 v[24:25], s[8:9], v[26:27]
	v_lshlrev_b64_e32 v[8:9], 1, v[8:9]
	v_lshlrev_b64_e32 v[10:11], 1, v[10:11]
	v_lshlrev_b64_e32 v[12:13], 1, v[12:13]
	v_lshlrev_b64_e32 v[14:15], 1, v[14:15]
	v_lshlrev_b64_e32 v[16:17], 1, v[16:17]
	v_lshlrev_b64_e32 v[4:5], 1, v[4:5]
	v_lshlrev_b64_e32 v[6:7], 1, v[6:7]
	v_add_nc_u64_e32 v[26:27], s[10:11], v[26:27]
	v_add_nc_u64_e32 v[28:29], s[8:9], v[8:9]
	;; [unrolled: 1-line block ×15, first 2 shown]
.LBB180_3:                              ; =>This Inner Loop Header: Depth=1
	v_cmp_ge_i64_e64 s18, s[44:45], s[4:5]
	v_add_nc_u64_e32 v[56:57], s[44:45], v[20:21]
                                        ; implicit-def: $vgpr4_vgpr5_vgpr6_vgpr7_vgpr8_vgpr9_vgpr10_vgpr11
                                        ; implicit-def: $vgpr3
                                        ; implicit-def: $vgpr12_vgpr13_vgpr14_vgpr15_vgpr16_vgpr17_vgpr18_vgpr19
                                        ; implicit-def: $vgpr4
	s_and_b32 vcc_lo, exec_lo, s18
	s_mov_b32 s18, -1
	s_cbranch_vccz .LBB180_25
; %bb.4:                                ;   in Loop: Header=BB180_3 Depth=1
	s_load_b32 s18, s[20:21], 0xc
	v_mov_b32_e32 v60, 0
	s_wait_kmcnt 0x0
	s_and_b32 s18, s18, 0xffff
	s_delay_alu instid0(SALU_CYCLE_1) | instskip(SKIP_1) | instid1(VALU_DEP_1)
	v_mad_u32_u24 v3, v1, s18, v58
	s_mov_b32 s18, exec_lo
	v_and_b32_e32 v4, 31, v3
	s_delay_alu instid0(VALU_DEP_1)
	v_cmpx_gt_u32_e32 8, v4
	s_cbranch_execz .LBB180_8
; %bb.5:                                ;   in Loop: Header=BB180_3 Depth=1
	v_dual_mov_b32 v5, v2 :: v_dual_mov_b32 v60, 0
	s_mov_b32 s33, exec_lo
	s_delay_alu instid0(VALU_DEP_1) | instskip(NEXT) | instid1(VALU_DEP_1)
	v_add_nc_u64_e32 v[4:5], v[56:57], v[4:5]
	v_add_nc_u64_e32 v[4:5], s[22:23], v[4:5]
	s_delay_alu instid0(VALU_DEP_1)
	v_cmpx_gt_i64_e64 s[4:5], v[4:5]
	s_cbranch_execz .LBB180_7
; %bb.6:                                ;   in Loop: Header=BB180_3 Depth=1
	v_lshl_add_u64 v[4:5], v[4:5], 2, s[14:15]
	global_load_b32 v60, v[4:5], off
.LBB180_7:                              ;   in Loop: Header=BB180_3 Depth=1
	s_wait_xcnt 0x0
	s_or_b32 exec_lo, exec_lo, s33
.LBB180_8:                              ;   in Loop: Header=BB180_3 Depth=1
	s_delay_alu instid0(SALU_CYCLE_1)
	s_or_b32 exec_lo, exec_lo, s18
	v_add_nc_u64_e32 v[10:11], s[22:23], v[56:57]
	v_dual_mov_b32 v7, v2 :: v_dual_mov_b32 v8, v2
	v_dual_mov_b32 v9, v2 :: v_dual_mov_b32 v3, v2
	;; [unrolled: 1-line block ×3, first 2 shown]
	v_mov_b32_e32 v6, v2
	v_cmp_gt_i64_e32 vcc_lo, s[4:5], v[10:11]
	s_delay_alu instid0(VALU_DEP_4)
	v_mov_b64_e32 v[18:19], v[8:9]
	v_mov_b64_e32 v[12:13], v[2:3]
	;; [unrolled: 1-line block ×8, first 2 shown]
	s_and_b32 s33, s2, vcc_lo
	s_delay_alu instid0(SALU_CYCLE_1)
	s_and_saveexec_b32 s18, s33
	s_cbranch_execz .LBB180_10
; %bb.9:                                ;   in Loop: Header=BB180_3 Depth=1
	v_add_nc_u64_e32 v[4:5], v[24:25], v[22:23]
	v_add_nc_u64_e32 v[6:7], v[26:27], v[22:23]
	v_dual_mov_b32 v9, v2 :: v_dual_mov_b32 v10, v2
	v_dual_mov_b32 v11, v2 :: v_dual_mov_b32 v13, v2
	v_dual_mov_b32 v14, v2 :: v_dual_mov_b32 v15, v2
	global_load_u16 v3, v[4:5], off
	global_load_u16 v12, v[6:7], off
	s_wait_xcnt 0x0
	v_dual_mov_b32 v5, v2 :: v_dual_mov_b32 v6, v2
	v_dual_mov_b32 v7, v2 :: v_dual_mov_b32 v8, v2
	;; [unrolled: 1-line block ×4, first 2 shown]
	s_wait_loadcnt 0x1
	v_cvt_f32_f16_e32 v4, v3
	s_wait_loadcnt 0x0
	v_cvt_f32_f16_e32 v12, v12
.LBB180_10:                             ;   in Loop: Header=BB180_3 Depth=1
	s_or_b32 exec_lo, exec_lo, s18
	v_add_nc_u64_e32 v[62:63], s[24:25], v[56:57]
	s_delay_alu instid0(VALU_DEP_1) | instskip(SKIP_1) | instid1(SALU_CYCLE_1)
	v_cmp_gt_i64_e32 vcc_lo, s[4:5], v[62:63]
	s_and_b32 s33, s2, vcc_lo
	s_and_saveexec_b32 s18, s33
	s_cbranch_execz .LBB180_12
; %bb.11:                               ;   in Loop: Header=BB180_3 Depth=1
	v_add_nc_u64_e32 v[62:63], v[52:53], v[22:23]
	v_add_nc_u64_e32 v[64:65], v[54:55], v[22:23]
	global_load_u16 v3, v[62:63], off
	global_load_u16 v13, v[64:65], off
	s_wait_loadcnt 0x1
	v_cvt_f32_f16_e32 v5, v3
	s_wait_loadcnt 0x0
	v_cvt_f32_f16_e32 v13, v13
.LBB180_12:                             ;   in Loop: Header=BB180_3 Depth=1
	s_or_b32 exec_lo, exec_lo, s18
	v_add_nc_u64_e32 v[62:63], s[26:27], v[56:57]
	s_delay_alu instid0(VALU_DEP_1) | instskip(SKIP_1) | instid1(SALU_CYCLE_1)
	v_cmp_gt_i64_e32 vcc_lo, s[4:5], v[62:63]
	s_and_b32 s33, s2, vcc_lo
	s_and_saveexec_b32 s18, s33
	s_cbranch_execz .LBB180_14
; %bb.13:                               ;   in Loop: Header=BB180_3 Depth=1
	v_add_nc_u64_e32 v[62:63], v[48:49], v[22:23]
	v_add_nc_u64_e32 v[64:65], v[50:51], v[22:23]
	global_load_u16 v3, v[62:63], off
	global_load_u16 v14, v[64:65], off
	s_wait_loadcnt 0x1
	v_cvt_f32_f16_e32 v6, v3
	s_wait_loadcnt 0x0
	v_cvt_f32_f16_e32 v14, v14
.LBB180_14:                             ;   in Loop: Header=BB180_3 Depth=1
	;; [unrolled: 17-line block ×7, first 2 shown]
	s_or_b32 exec_lo, exec_lo, s18
	s_wait_loadcnt 0x0
	ds_bpermute_b32 v3, v2, v60
	ds_bpermute_b32 v62, v2, v60 offset:4
	ds_bpermute_b32 v63, v2, v60 offset:8
	;; [unrolled: 1-line block ×4, first 2 shown]
	v_pk_mul_f32 v[6:7], v[14:15], v[6:7]
	v_dual_mul_f32 v14, v12, v4 :: v_dual_mul_f32 v4, v13, v5
	v_pk_mul_f32 v[8:9], v[16:17], v[8:9]
	ds_bpermute_b32 v12, v2, v60 offset:20
	v_dual_mov_b32 v5, v6 :: v_dual_mov_b32 v6, v7
	ds_bpermute_b32 v13, v2, v60 offset:24
	s_mov_b32 s18, 0
	v_dual_mov_b32 v7, v8 :: v_dual_mul_f32 v15, v18, v10
	s_wait_dscnt 0x6
	v_dual_fma_f32 v3, v14, v3, v59 :: v_dual_mov_b32 v14, v9
	s_wait_dscnt 0x4
	v_pk_mul_f32 v[4:5], v[4:5], v[62:63]
	s_wait_dscnt 0x2
	v_pk_mul_f32 v[6:7], v[6:7], v[64:65]
	s_delay_alu instid0(VALU_DEP_2) | instskip(SKIP_2) | instid1(VALU_DEP_1)
	v_add_f32_e32 v3, v3, v4
	ds_bpermute_b32 v4, v2, v60 offset:28
	v_add_f32_e32 v3, v3, v5
	v_add_f32_e32 v3, v3, v6
	s_delay_alu instid0(VALU_DEP_1) | instskip(SKIP_2) | instid1(VALU_DEP_1)
	v_add_f32_e32 v3, v3, v7
	s_wait_dscnt 0x1
	v_pk_mul_f32 v[6:7], v[14:15], v[12:13]
	v_add_f32_e32 v3, v3, v6
	s_delay_alu instid0(VALU_DEP_1)
	v_add_f32_e32 v3, v3, v7
.LBB180_25:                             ;   in Loop: Header=BB180_3 Depth=1
	s_and_b32 vcc_lo, exec_lo, s18
	s_cbranch_vccz .LBB180_40
; %bb.26:                               ;   in Loop: Header=BB180_3 Depth=1
	s_load_b32 s18, s[20:21], 0x0
	v_mov_b32_e32 v60, 0
	s_wait_kmcnt 0x0
	s_cmp_lt_u32 s12, s18
	s_cselect_b32 s18, 12, 18
	s_delay_alu instid0(SALU_CYCLE_1)
	s_add_nc_u64 s[48:49], s[20:21], s[18:19]
	s_load_u16 s18, s[48:49], 0x0
	s_wait_kmcnt 0x0
	v_mad_u32_u24 v3, v1, s18, v58
	s_mov_b32 s18, exec_lo
	s_wait_dscnt 0x0
	s_delay_alu instid0(VALU_DEP_1) | instskip(NEXT) | instid1(VALU_DEP_1)
	v_and_b32_e32 v4, 31, v3
	v_cmpx_gt_u32_e32 8, v4
	s_cbranch_execz .LBB180_30
; %bb.27:                               ;   in Loop: Header=BB180_3 Depth=1
	v_dual_mov_b32 v5, v2 :: v_dual_mov_b32 v60, 0
	s_mov_b32 s33, exec_lo
	s_delay_alu instid0(VALU_DEP_1) | instskip(NEXT) | instid1(VALU_DEP_1)
	v_add_nc_u64_e32 v[4:5], v[56:57], v[4:5]
	v_add_nc_u64_e32 v[4:5], s[22:23], v[4:5]
	s_delay_alu instid0(VALU_DEP_1)
	v_cmpx_gt_i64_e64 s[4:5], v[4:5]
	s_cbranch_execz .LBB180_29
; %bb.28:                               ;   in Loop: Header=BB180_3 Depth=1
	v_lshl_add_u64 v[4:5], v[4:5], 2, s[14:15]
	global_load_b32 v60, v[4:5], off
.LBB180_29:                             ;   in Loop: Header=BB180_3 Depth=1
	s_wait_xcnt 0x0
	s_or_b32 exec_lo, exec_lo, s33
.LBB180_30:                             ;   in Loop: Header=BB180_3 Depth=1
	s_delay_alu instid0(SALU_CYCLE_1) | instskip(SKIP_4) | instid1(VALU_DEP_3)
	s_or_b32 exec_lo, exec_lo, s18
	v_dual_mov_b32 v7, v2 :: v_dual_mov_b32 v8, v2
	v_dual_mov_b32 v9, v2 :: v_dual_mov_b32 v3, v2
	;; [unrolled: 1-line block ×3, first 2 shown]
	v_mov_b32_e32 v6, v2
	v_mov_b64_e32 v[18:19], v[8:9]
	s_delay_alu instid0(VALU_DEP_4) | instskip(NEXT) | instid1(VALU_DEP_4)
	v_mov_b64_e32 v[12:13], v[2:3]
	v_mov_b64_e32 v[14:15], v[4:5]
	s_delay_alu instid0(VALU_DEP_4)
	v_mov_b64_e32 v[16:17], v[6:7]
	v_mov_b64_e32 v[10:11], v[8:9]
	;; [unrolled: 1-line block ×5, first 2 shown]
	s_and_saveexec_b32 s18, s2
	s_cbranch_execnz .LBB180_42
; %bb.31:                               ;   in Loop: Header=BB180_3 Depth=1
	s_or_b32 exec_lo, exec_lo, s18
	s_and_saveexec_b32 s18, s2
	s_cbranch_execnz .LBB180_43
.LBB180_32:                             ;   in Loop: Header=BB180_3 Depth=1
	s_or_b32 exec_lo, exec_lo, s18
	s_and_saveexec_b32 s18, s2
	s_cbranch_execnz .LBB180_44
.LBB180_33:                             ;   in Loop: Header=BB180_3 Depth=1
	s_or_b32 exec_lo, exec_lo, s18
	s_and_saveexec_b32 s18, s2
	s_cbranch_execnz .LBB180_45
.LBB180_34:                             ;   in Loop: Header=BB180_3 Depth=1
	s_or_b32 exec_lo, exec_lo, s18
	s_and_saveexec_b32 s18, s2
	s_cbranch_execnz .LBB180_46
.LBB180_35:                             ;   in Loop: Header=BB180_3 Depth=1
	s_or_b32 exec_lo, exec_lo, s18
	s_and_saveexec_b32 s18, s2
	s_cbranch_execnz .LBB180_47
.LBB180_36:                             ;   in Loop: Header=BB180_3 Depth=1
	s_or_b32 exec_lo, exec_lo, s18
	s_and_saveexec_b32 s18, s2
	s_cbranch_execnz .LBB180_48
.LBB180_37:                             ;   in Loop: Header=BB180_3 Depth=1
	s_or_b32 exec_lo, exec_lo, s18
	s_and_saveexec_b32 s18, s2
	s_cbranch_execz .LBB180_39
.LBB180_38:                             ;   in Loop: Header=BB180_3 Depth=1
	v_add_nc_u64_e32 v[56:57], v[28:29], v[22:23]
	v_add_nc_u64_e32 v[62:63], v[30:31], v[22:23]
	global_load_u16 v3, v[56:57], off
	global_load_u16 v19, v[62:63], off
	s_wait_loadcnt 0x1
	v_cvt_f32_f16_e32 v11, v3
	s_wait_loadcnt 0x0
	v_cvt_f32_f16_e32 v19, v19
.LBB180_39:                             ;   in Loop: Header=BB180_3 Depth=1
	s_or_b32 exec_lo, exec_lo, s18
	s_wait_loadcnt 0x0
	ds_bpermute_b32 v3, v2, v60
	ds_bpermute_b32 v56, v2, v60 offset:4
	ds_bpermute_b32 v57, v2, v60 offset:8
	;; [unrolled: 1-line block ×4, first 2 shown]
	v_pk_mul_f32 v[6:7], v[14:15], v[6:7]
	v_dual_mul_f32 v14, v12, v4 :: v_dual_mul_f32 v4, v13, v5
	v_pk_mul_f32 v[8:9], v[16:17], v[8:9]
	ds_bpermute_b32 v12, v2, v60 offset:20
	v_dual_mov_b32 v5, v6 :: v_dual_mov_b32 v6, v7
	ds_bpermute_b32 v13, v2, v60 offset:24
	v_dual_mov_b32 v7, v8 :: v_dual_mul_f32 v15, v18, v10
	s_wait_dscnt 0x6
	v_dual_fmac_f32 v59, v14, v3 :: v_dual_mov_b32 v14, v9
	s_wait_dscnt 0x4
	v_pk_mul_f32 v[4:5], v[4:5], v[56:57]
	s_wait_dscnt 0x2
	v_pk_mul_f32 v[6:7], v[6:7], v[62:63]
	s_delay_alu instid0(VALU_DEP_2) | instskip(SKIP_2) | instid1(VALU_DEP_1)
	v_add_f32_e32 v3, v59, v4
	ds_bpermute_b32 v4, v2, v60 offset:28
	v_add_f32_e32 v3, v3, v5
	v_add_f32_e32 v3, v3, v6
	s_delay_alu instid0(VALU_DEP_1) | instskip(SKIP_2) | instid1(VALU_DEP_1)
	v_add_f32_e32 v3, v3, v7
	s_wait_dscnt 0x1
	v_pk_mul_f32 v[6:7], v[14:15], v[12:13]
	v_add_f32_e32 v3, v3, v6
	s_delay_alu instid0(VALU_DEP_1)
	v_add_f32_e32 v3, v3, v7
.LBB180_40:                             ;   in Loop: Header=BB180_3 Depth=1
	s_add_nc_u64 s[46:47], s[46:47], s[34:35]
	v_mul_f32_e32 v5, v11, v19
	v_cmp_lt_i64_e64 s18, s[46:47], s[4:5]
	v_add_nc_u64_e32 v[24:25], s[42:43], v[24:25]
	v_add_nc_u64_e32 v[26:27], s[42:43], v[26:27]
	;; [unrolled: 1-line block ×16, first 2 shown]
	s_wait_dscnt 0x0
	v_fmac_f32_e32 v3, v5, v4
	s_and_b32 vcc_lo, exec_lo, s18
	s_add_nc_u64 s[44:45], s[44:45], s[34:35]
	s_cbranch_vccz .LBB180_50
; %bb.41:                               ;   in Loop: Header=BB180_3 Depth=1
	s_delay_alu instid0(VALU_DEP_1)
	v_mov_b32_e32 v59, v3
	s_branch .LBB180_3
.LBB180_42:                             ;   in Loop: Header=BB180_3 Depth=1
	v_add_nc_u64_e32 v[4:5], v[24:25], v[22:23]
	v_add_nc_u64_e32 v[6:7], v[26:27], v[22:23]
	v_dual_mov_b32 v9, v2 :: v_dual_mov_b32 v10, v2
	v_dual_mov_b32 v11, v2 :: v_dual_mov_b32 v13, v2
	v_dual_mov_b32 v14, v2 :: v_dual_mov_b32 v15, v2
	global_load_u16 v3, v[4:5], off
	global_load_u16 v12, v[6:7], off
	s_wait_xcnt 0x0
	v_dual_mov_b32 v5, v2 :: v_dual_mov_b32 v6, v2
	v_dual_mov_b32 v7, v2 :: v_dual_mov_b32 v8, v2
	;; [unrolled: 1-line block ×4, first 2 shown]
	s_wait_loadcnt 0x1
	v_cvt_f32_f16_e32 v4, v3
	s_wait_loadcnt 0x0
	v_cvt_f32_f16_e32 v12, v12
	s_or_b32 exec_lo, exec_lo, s18
	s_and_saveexec_b32 s18, s2
	s_cbranch_execz .LBB180_32
.LBB180_43:                             ;   in Loop: Header=BB180_3 Depth=1
	v_add_nc_u64_e32 v[56:57], v[52:53], v[22:23]
	v_add_nc_u64_e32 v[62:63], v[54:55], v[22:23]
	global_load_u16 v3, v[56:57], off
	global_load_u16 v13, v[62:63], off
	s_wait_loadcnt 0x1
	v_cvt_f32_f16_e32 v5, v3
	s_wait_loadcnt 0x0
	v_cvt_f32_f16_e32 v13, v13
	s_or_b32 exec_lo, exec_lo, s18
	s_and_saveexec_b32 s18, s2
	s_cbranch_execz .LBB180_33
.LBB180_44:                             ;   in Loop: Header=BB180_3 Depth=1
	v_add_nc_u64_e32 v[56:57], v[48:49], v[22:23]
	v_add_nc_u64_e32 v[62:63], v[50:51], v[22:23]
	global_load_u16 v3, v[56:57], off
	global_load_u16 v14, v[62:63], off
	s_wait_loadcnt 0x1
	v_cvt_f32_f16_e32 v6, v3
	s_wait_loadcnt 0x0
	v_cvt_f32_f16_e32 v14, v14
	s_or_b32 exec_lo, exec_lo, s18
	s_and_saveexec_b32 s18, s2
	s_cbranch_execz .LBB180_34
.LBB180_45:                             ;   in Loop: Header=BB180_3 Depth=1
	v_add_nc_u64_e32 v[56:57], v[44:45], v[22:23]
	v_add_nc_u64_e32 v[62:63], v[46:47], v[22:23]
	global_load_u16 v3, v[56:57], off
	global_load_u16 v15, v[62:63], off
	s_wait_loadcnt 0x1
	v_cvt_f32_f16_e32 v7, v3
	s_wait_loadcnt 0x0
	v_cvt_f32_f16_e32 v15, v15
	s_or_b32 exec_lo, exec_lo, s18
	s_and_saveexec_b32 s18, s2
	s_cbranch_execz .LBB180_35
.LBB180_46:                             ;   in Loop: Header=BB180_3 Depth=1
	v_add_nc_u64_e32 v[56:57], v[40:41], v[22:23]
	v_add_nc_u64_e32 v[62:63], v[42:43], v[22:23]
	global_load_u16 v3, v[56:57], off
	global_load_u16 v16, v[62:63], off
	s_wait_loadcnt 0x1
	v_cvt_f32_f16_e32 v8, v3
	s_wait_loadcnt 0x0
	v_cvt_f32_f16_e32 v16, v16
	s_or_b32 exec_lo, exec_lo, s18
	s_and_saveexec_b32 s18, s2
	s_cbranch_execz .LBB180_36
.LBB180_47:                             ;   in Loop: Header=BB180_3 Depth=1
	v_add_nc_u64_e32 v[56:57], v[36:37], v[22:23]
	v_add_nc_u64_e32 v[62:63], v[38:39], v[22:23]
	global_load_u16 v3, v[56:57], off
	global_load_u16 v17, v[62:63], off
	s_wait_loadcnt 0x1
	v_cvt_f32_f16_e32 v9, v3
	s_wait_loadcnt 0x0
	v_cvt_f32_f16_e32 v17, v17
	s_or_b32 exec_lo, exec_lo, s18
	s_and_saveexec_b32 s18, s2
	s_cbranch_execz .LBB180_37
.LBB180_48:                             ;   in Loop: Header=BB180_3 Depth=1
	v_add_nc_u64_e32 v[56:57], v[32:33], v[22:23]
	v_add_nc_u64_e32 v[62:63], v[34:35], v[22:23]
	global_load_u16 v3, v[56:57], off
	global_load_u16 v18, v[62:63], off
	s_wait_loadcnt 0x1
	v_cvt_f32_f16_e32 v10, v3
	s_wait_loadcnt 0x0
	v_cvt_f32_f16_e32 v18, v18
	s_or_b32 exec_lo, exec_lo, s18
	s_and_saveexec_b32 s18, s2
	s_cbranch_execnz .LBB180_38
	s_branch .LBB180_39
.LBB180_49:
                                        ; implicit-def: $vgpr3
	s_branch .LBB180_51
.LBB180_50:
	s_cbranch_execnz .LBB180_83
.LBB180_51:
	v_mov_b32_e32 v3, 0
	s_and_not1_b32 vcc_lo, exec_lo, s13
	s_cbranch_vccnz .LBB180_83
; %bb.52:
	v_bfe_u32 v1, v0, 10, 10
	v_mov_b32_e32 v2, 0
	v_and_b32_e32 v86, 0x3ff, v0
	s_load_b32 s2, s[0:1], 0x44
	s_mov_b64 s[20:21], 0xffffffffffffffc3
	s_delay_alu instid0(VALU_DEP_2) | instskip(SKIP_3) | instid1(VALU_DEP_2)
	v_dual_mov_b32 v5, v2 :: v_dual_lshlrev_b32 v4, 4, v1
	v_dual_mov_b32 v21, v2 :: v_dual_lshlrev_b32 v20, 3, v1
	s_mov_b64 s[22:23], 0xffffffffffffffc4
	s_mov_b64 s[24:25], 0xffffffffffffffc5
	v_lshl_add_u64 v[4:5], s[16:17], 1, v[4:5]
	s_mov_b64 s[26:27], 0xffffffffffffffc6
	s_mov_b64 s[28:29], 0xffffffffffffffc7
	s_mov_b64 s[30:31], 0xffffffffffffffc8
	s_add_nc_u64 s[34:35], s[0:1], 64
	v_add_nc_u64_e32 v[6:7], 2, v[4:5]
	v_add_nc_u64_e32 v[10:11], 4, v[4:5]
	v_add_nc_u64_e32 v[12:13], 6, v[4:5]
	v_add_nc_u64_e32 v[14:15], 8, v[4:5]
	v_add_nc_u64_e32 v[16:17], 10, v[4:5]
	v_add_nc_u64_e32 v[18:19], 12, v[4:5]
	v_add_nc_u64_e32 v[4:5], 14, v[4:5]
	v_mad_nc_u64_u32 v[22:23], s6, v6, s[8:9]
	v_mul_lo_u32 v3, s6, v7
	v_mul_lo_u32 v44, s7, v6
	v_mad_nc_u64_u32 v[24:25], s6, v10, s[8:9]
	v_mul_lo_u32 v46, s6, v11
	v_mul_lo_u32 v47, s7, v10
	;; [unrolled: 3-line block ×3, first 2 shown]
	v_mad_nc_u64_u32 v[32:33], s6, v6, s[10:11]
	v_mad_nc_u64_u32 v[34:35], s6, v10, s[10:11]
	;; [unrolled: 1-line block ×4, first 2 shown]
	v_add3_u32 v23, v44, v23, v3
	v_mul_lo_u32 v53, s7, v18
	v_mad_nc_u64_u32 v[28:29], s6, v14, s[8:9]
	v_add3_u32 v25, v47, v25, v46
	v_mul_lo_u32 v50, s6, v15
	v_mul_lo_u32 v51, s7, v14
	v_add3_u32 v27, v49, v27, v48
	v_add3_u32 v33, v44, v33, v3
	v_mad_nc_u64_u32 v[44:45], s6, v18, s[10:11]
	v_add3_u32 v35, v47, v35, v46
	v_add3_u32 v37, v49, v37, v48
	v_mad_nc_u64_u32 v[46:47], s6, v4, s[8:9]
	v_mul_lo_u32 v18, s7, v4
	v_mad_nc_u64_u32 v[48:49], s6, v4, s[10:11]
	v_add_nc_u32_e32 v4, s3, v86
	v_add_nc_u64_e32 v[8:9], s[16:17], v[20:21]
	v_mad_nc_u64_u32 v[40:41], s6, v14, s[10:11]
	v_mul_lo_u32 v3, s6, v5
	v_dual_mov_b32 v5, v2 :: v_dual_mov_b32 v87, 0
	v_mad_nc_u64_u32 v[30:31], s6, v16, s[8:9]
	v_mul_lo_u32 v17, s6, v17
	v_add_nc_u64_e32 v[6:7], 7, v[8:9]
	v_add_nc_u64_e32 v[10:11], 6, v[8:9]
	;; [unrolled: 1-line block ×3, first 2 shown]
	v_mul_u64_e32 v[60:61], s[6:7], v[8:9]
	v_add_nc_u64_e32 v[42:43], 4, v[8:9]
	v_add_nc_u64_e32 v[14:15], 3, v[8:9]
	;; [unrolled: 1-line block ×3, first 2 shown]
	v_mul_u64_e32 v[6:7], s[6:7], v[6:7]
	v_mul_u64_e32 v[10:11], s[6:7], v[10:11]
	;; [unrolled: 1-line block ×3, first 2 shown]
	v_mul_lo_u32 v52, s7, v16
	v_mul_u64_e32 v[62:63], s[6:7], v[42:43]
	v_mul_u64_e32 v[14:15], s[6:7], v[14:15]
	;; [unrolled: 1-line block ×3, first 2 shown]
	v_mad_nc_u64_u32 v[42:43], s6, v16, s[10:11]
	v_add3_u32 v29, v51, v29, v50
	v_add3_u32 v41, v51, v41, v50
	v_lshlrev_b64_e32 v[50:51], 1, v[4:5]
	v_mul_lo_u32 v19, s6, v19
	s_mov_b32 s3, 0
	s_wait_kmcnt 0x0
	s_lshl_b32 s18, s2, 6
	v_add3_u32 v31, v52, v31, v17
	s_mov_b32 s19, s3
	v_add3_u32 v47, v18, v47, v3
	v_add3_u32 v49, v18, v49, v3
	;; [unrolled: 1-line block ×3, first 2 shown]
	s_mul_u64 s[36:37], s[6:7], s[18:19]
	s_add_nc_u64 s[38:39], s[16:17], 63
	s_lshl_b64 s[36:37], s[36:37], 1
	v_add3_u32 v39, v53, v39, v19
	v_add3_u32 v45, v53, v45, v19
	v_lshlrev_b64_e32 v[16:17], 1, v[60:61]
	v_lshlrev_b64_e32 v[6:7], 1, v[6:7]
	;; [unrolled: 1-line block ×3, first 2 shown]
	s_delay_alu instid0(VALU_DEP_3)
	v_add_nc_u64_e32 v[52:53], s[8:9], v[16:17]
	v_lshlrev_b64_e32 v[10:11], 1, v[62:63]
	v_add_nc_u64_e32 v[54:55], s[10:11], v[16:17]
	v_lshlrev_b64_e32 v[8:9], 1, v[8:9]
	v_add_nc_u64_e32 v[56:57], s[8:9], v[6:7]
	v_add_nc_u64_e32 v[58:59], s[10:11], v[6:7]
	v_lshlrev_b64_e32 v[6:7], 1, v[12:13]
	v_add_nc_u64_e32 v[12:13], s[6:7], v[60:61]
	v_add_nc_u64_e32 v[60:61], s[8:9], v[4:5]
	;; [unrolled: 1-line block ×3, first 2 shown]
	v_lshlrev_b64_e32 v[4:5], 1, v[14:15]
	v_add_nc_u64_e32 v[68:69], s[8:9], v[10:11]
	v_add_nc_u64_e32 v[70:71], s[10:11], v[10:11]
	;; [unrolled: 1-line block ×4, first 2 shown]
	v_lshlrev_b64_e32 v[6:7], 1, v[12:13]
	v_add_nc_u64_e32 v[76:77], s[8:9], v[8:9]
	v_add_nc_u64_e32 v[72:73], s[8:9], v[4:5]
	v_add_nc_u64_e32 v[74:75], s[10:11], v[4:5]
	v_add_nc_u64_e32 v[78:79], s[10:11], v[8:9]
	v_add_nc_u64_e32 v[80:81], s[8:9], v[6:7]
	v_add_nc_u64_e32 v[82:83], s[10:11], v[6:7]
	s_mov_b64 s[8:9], 0xffffffffffffffc1
	s_mov_b64 s[10:11], 0xffffffffffffffc2
.LBB180_53:                             ; =>This Inner Loop Header: Depth=1
	v_cmp_ge_i64_e64 s2, s[38:39], s[4:5]
	v_add_nc_u64_e32 v[84:85], s[38:39], v[20:21]
                                        ; implicit-def: $vgpr3
	s_and_b32 vcc_lo, exec_lo, s2
	s_mov_b32 s2, -1
	s_cbranch_vccz .LBB180_75
; %bb.54:                               ;   in Loop: Header=BB180_53 Depth=1
	s_load_b32 s2, s[34:35], 0xc
	v_mov_b32_e32 v88, 0
	s_wait_kmcnt 0x0
	s_and_b32 s2, s2, 0xffff
	s_delay_alu instid0(SALU_CYCLE_1) | instskip(SKIP_1) | instid1(VALU_DEP_1)
	v_mad_u32_u24 v3, v1, s2, v86
	s_mov_b32 s2, exec_lo
	v_and_b32_e32 v4, 31, v3
	s_delay_alu instid0(VALU_DEP_1)
	v_cmpx_gt_u32_e32 8, v4
	s_cbranch_execz .LBB180_58
; %bb.55:                               ;   in Loop: Header=BB180_53 Depth=1
	v_dual_mov_b32 v5, v2 :: v_dual_mov_b32 v88, 0
	s_mov_b32 s13, exec_lo
	s_delay_alu instid0(VALU_DEP_1) | instskip(NEXT) | instid1(VALU_DEP_1)
	v_add_nc_u64_e32 v[4:5], v[84:85], v[4:5]
	v_add_nc_u64_e32 v[4:5], s[8:9], v[4:5]
	s_delay_alu instid0(VALU_DEP_1)
	v_cmpx_gt_i64_e64 s[4:5], v[4:5]
	s_cbranch_execz .LBB180_57
; %bb.56:                               ;   in Loop: Header=BB180_53 Depth=1
	v_lshl_add_u64 v[4:5], v[4:5], 2, s[14:15]
	global_load_b32 v88, v[4:5], off
.LBB180_57:                             ;   in Loop: Header=BB180_53 Depth=1
	s_wait_xcnt 0x0
	s_or_b32 exec_lo, exec_lo, s13
.LBB180_58:                             ;   in Loop: Header=BB180_53 Depth=1
	s_delay_alu instid0(SALU_CYCLE_1)
	s_or_b32 exec_lo, exec_lo, s2
	v_add_nc_u64_e32 v[10:11], s[8:9], v[84:85]
	v_dual_mov_b32 v7, v2 :: v_dual_mov_b32 v8, v2
	v_dual_mov_b32 v9, v2 :: v_dual_mov_b32 v3, v2
	;; [unrolled: 1-line block ×3, first 2 shown]
	v_mov_b32_e32 v6, v2
	s_delay_alu instid0(VALU_DEP_3)
	v_mov_b64_e32 v[18:19], v[8:9]
	v_cmp_gt_i64_e32 vcc_lo, s[4:5], v[10:11]
	v_mov_b64_e32 v[12:13], v[2:3]
	v_mov_b64_e32 v[14:15], v[4:5]
	v_mov_b64_e32 v[16:17], v[6:7]
	v_mov_b64_e32 v[10:11], v[8:9]
	v_mov_b64_e32 v[8:9], v[6:7]
	v_mov_b64_e32 v[6:7], v[4:5]
	v_mov_b64_e32 v[4:5], v[2:3]
	s_and_saveexec_b32 s2, vcc_lo
	s_cbranch_execz .LBB180_60
; %bb.59:                               ;   in Loop: Header=BB180_53 Depth=1
	v_add_nc_u64_e32 v[4:5], v[52:53], v[50:51]
	v_add_nc_u64_e32 v[6:7], v[54:55], v[50:51]
	v_dual_mov_b32 v9, v2 :: v_dual_mov_b32 v10, v2
	v_dual_mov_b32 v11, v2 :: v_dual_mov_b32 v13, v2
	;; [unrolled: 1-line block ×3, first 2 shown]
	global_load_u16 v3, v[4:5], off
	global_load_u16 v12, v[6:7], off
	s_wait_xcnt 0x0
	v_dual_mov_b32 v5, v2 :: v_dual_mov_b32 v6, v2
	v_dual_mov_b32 v7, v2 :: v_dual_mov_b32 v8, v2
	;; [unrolled: 1-line block ×4, first 2 shown]
	s_wait_loadcnt 0x1
	v_cvt_f32_f16_e32 v4, v3
	s_wait_loadcnt 0x0
	v_cvt_f32_f16_e32 v12, v12
.LBB180_60:                             ;   in Loop: Header=BB180_53 Depth=1
	s_or_b32 exec_lo, exec_lo, s2
	v_add_nc_u64_e32 v[90:91], s[10:11], v[84:85]
	s_mov_b32 s2, exec_lo
	s_delay_alu instid0(VALU_DEP_1)
	v_cmpx_gt_i64_e64 s[4:5], v[90:91]
	s_cbranch_execz .LBB180_62
; %bb.61:                               ;   in Loop: Header=BB180_53 Depth=1
	v_add_nc_u64_e32 v[90:91], v[80:81], v[50:51]
	v_add_nc_u64_e32 v[92:93], v[82:83], v[50:51]
	global_load_u16 v3, v[90:91], off
	global_load_u16 v13, v[92:93], off
	s_wait_loadcnt 0x1
	v_cvt_f32_f16_e32 v5, v3
	s_wait_loadcnt 0x0
	v_cvt_f32_f16_e32 v13, v13
.LBB180_62:                             ;   in Loop: Header=BB180_53 Depth=1
	s_or_b32 exec_lo, exec_lo, s2
	v_add_nc_u64_e32 v[90:91], s[20:21], v[84:85]
	s_mov_b32 s2, exec_lo
	s_delay_alu instid0(VALU_DEP_1)
	v_cmpx_gt_i64_e64 s[4:5], v[90:91]
	s_cbranch_execz .LBB180_64
; %bb.63:                               ;   in Loop: Header=BB180_53 Depth=1
	v_add_nc_u64_e32 v[90:91], v[76:77], v[50:51]
	v_add_nc_u64_e32 v[92:93], v[78:79], v[50:51]
	global_load_u16 v3, v[90:91], off
	global_load_u16 v14, v[92:93], off
	s_wait_loadcnt 0x1
	v_cvt_f32_f16_e32 v6, v3
	s_wait_loadcnt 0x0
	v_cvt_f32_f16_e32 v14, v14
.LBB180_64:                             ;   in Loop: Header=BB180_53 Depth=1
	;; [unrolled: 16-line block ×7, first 2 shown]
	s_or_b32 exec_lo, exec_lo, s2
	s_wait_loadcnt 0x0
	ds_bpermute_b32 v90, v2, v88
	ds_bpermute_b32 v91, v2, v88 offset:4
	ds_bpermute_b32 v92, v2, v88 offset:8
	;; [unrolled: 1-line block ×3, first 2 shown]
	v_pk_mul_f32 v[4:5], v[12:13], v[4:5]
	ds_bpermute_b32 v12, v2, v88 offset:16
	ds_bpermute_b32 v13, v2, v88 offset:20
	v_pk_mul_f32 v[6:7], v[14:15], v[6:7]
	v_pk_mul_f32 v[8:9], v[16:17], v[8:9]
	s_mov_b32 s2, 0
	s_wait_dscnt 0x4
	v_pk_mul_f32 v[4:5], v[4:5], v[90:91]
	s_wait_dscnt 0x2
	v_pk_mul_f32 v[6:7], v[6:7], v[92:93]
	;; [unrolled: 2-line block ×3, first 2 shown]
	v_add_f32_e32 v3, v87, v4
	ds_bpermute_b32 v4, v2, v88 offset:24
	v_add_f32_e32 v3, v3, v5
	ds_bpermute_b32 v5, v2, v88 offset:28
	v_add_f32_e32 v3, v3, v6
	s_delay_alu instid0(VALU_DEP_1) | instskip(SKIP_1) | instid1(VALU_DEP_2)
	v_add_f32_e32 v3, v3, v7
	v_pk_mul_f32 v[6:7], v[18:19], v[10:11]
	v_add_f32_e32 v3, v3, v8
	s_delay_alu instid0(VALU_DEP_1) | instskip(SKIP_1) | instid1(VALU_DEP_3)
	v_add_f32_e32 v3, v3, v9
	s_wait_dscnt 0x0
	v_pk_mul_f32 v[4:5], v[6:7], v[4:5]
	s_delay_alu instid0(VALU_DEP_1) | instskip(NEXT) | instid1(VALU_DEP_1)
	v_add_f32_e32 v3, v3, v4
	v_add_f32_e32 v3, v3, v5
.LBB180_75:                             ;   in Loop: Header=BB180_53 Depth=1
	s_and_b32 vcc_lo, exec_lo, s2
	s_cbranch_vccz .LBB180_81
; %bb.76:                               ;   in Loop: Header=BB180_53 Depth=1
	s_load_b32 s2, s[34:35], 0x0
	s_wait_kmcnt 0x0
	s_cmp_lt_u32 s12, s2
	s_cselect_b32 s2, 12, 18
	s_delay_alu instid0(SALU_CYCLE_1) | instskip(SKIP_4) | instid1(VALU_DEP_1)
	s_add_nc_u64 s[40:41], s[34:35], s[2:3]
	s_load_u16 s2, s[40:41], 0x0
	s_wait_kmcnt 0x0
	v_mad_u32_u24 v3, v1, s2, v86
	s_mov_b32 s2, exec_lo
	v_dual_mov_b32 v3, 0 :: v_dual_bitop2_b32 v4, 31, v3 bitop3:0x40
	s_delay_alu instid0(VALU_DEP_1)
	v_cmpx_gt_u32_e32 8, v4
	s_cbranch_execz .LBB180_80
; %bb.77:                               ;   in Loop: Header=BB180_53 Depth=1
	v_dual_mov_b32 v5, v2 :: v_dual_mov_b32 v3, 0
	s_mov_b32 s13, exec_lo
	s_delay_alu instid0(VALU_DEP_1) | instskip(NEXT) | instid1(VALU_DEP_1)
	v_add_nc_u64_e32 v[4:5], v[84:85], v[4:5]
	v_add_nc_u64_e32 v[4:5], s[8:9], v[4:5]
	s_delay_alu instid0(VALU_DEP_1)
	v_cmpx_gt_i64_e64 s[4:5], v[4:5]
	s_cbranch_execz .LBB180_79
; %bb.78:                               ;   in Loop: Header=BB180_53 Depth=1
	v_lshl_add_u64 v[4:5], v[4:5], 2, s[14:15]
	global_load_b32 v3, v[4:5], off
.LBB180_79:                             ;   in Loop: Header=BB180_53 Depth=1
	s_wait_xcnt 0x0
	s_or_b32 exec_lo, exec_lo, s13
.LBB180_80:                             ;   in Loop: Header=BB180_53 Depth=1
	s_delay_alu instid0(SALU_CYCLE_1)
	s_or_b32 exec_lo, exec_lo, s2
	v_add_nc_u64_e32 v[4:5], v[22:23], v[50:51]
	v_add_nc_u64_e32 v[6:7], v[52:53], v[50:51]
	;; [unrolled: 1-line block ×6, first 2 shown]
	global_load_u16 v16, v[4:5], off
	global_load_u16 v17, v[6:7], off
	;; [unrolled: 1-line block ×4, first 2 shown]
	s_wait_xcnt 0x3
	v_add_nc_u64_e32 v[4:5], v[36:37], v[50:51]
	s_wait_xcnt 0x2
	v_add_nc_u64_e32 v[6:7], v[34:35], v[50:51]
	;; [unrolled: 2-line block ×3, first 2 shown]
	v_add_nc_u64_e32 v[8:9], v[28:29], v[50:51]
	global_load_u16 v84, v[14:15], off
	global_load_u16 v85, v[12:13], off
	;; [unrolled: 1-line block ×4, first 2 shown]
	s_wait_xcnt 0x1
	v_add_nc_u64_e32 v[4:5], v[42:43], v[50:51]
	s_wait_xcnt 0x0
	v_add_nc_u64_e32 v[6:7], v[40:41], v[50:51]
	s_wait_loadcnt 0x8
	ds_bpermute_b32 v12, v2, v3 offset:16
	global_load_u16 v90, v[10:11], off
	global_load_u16 v91, v[8:9], off
	;; [unrolled: 1-line block ×4, first 2 shown]
	s_wait_xcnt 0x1
	v_add_nc_u64_e32 v[4:5], v[46:47], v[50:51]
	s_wait_xcnt 0x0
	v_add_nc_u64_e32 v[6:7], v[38:39], v[50:51]
	v_add_nc_u64_e32 v[8:9], v[48:49], v[50:51]
	;; [unrolled: 1-line block ×3, first 2 shown]
	global_load_u16 v94, v[4:5], off
	global_load_u16 v95, v[6:7], off
	;; [unrolled: 1-line block ×4, first 2 shown]
	s_wait_xcnt 0x3
	ds_bpermute_b32 v4, v2, v3
	ds_bpermute_b32 v5, v2, v3 offset:4
	s_wait_xcnt 0x2
	ds_bpermute_b32 v6, v2, v3 offset:8
	ds_bpermute_b32 v7, v2, v3 offset:12
	;; [unrolled: 1-line block ×3, first 2 shown]
	s_wait_loadcnt 0xf
	s_wait_xcnt 0x1
	v_cvt_f32_f16_e32 v9, v16
	s_wait_loadcnt 0xe
	v_cvt_f32_f16_e32 v8, v17
	s_wait_loadcnt 0xd
	s_wait_xcnt 0x0
	v_cvt_f32_f16_e32 v11, v18
	s_wait_loadcnt 0xc
	v_cvt_f32_f16_e32 v10, v19
	s_wait_loadcnt 0x9
	v_cvt_f32_f16_e32 v15, v88
	s_delay_alu instid0(VALU_DEP_2)
	v_pk_mul_f32 v[8:9], v[8:9], v[10:11]
	v_cvt_f32_f16_e32 v11, v84
	v_cvt_f32_f16_e32 v10, v85
	s_wait_loadcnt 0x8
	v_cvt_f32_f16_e32 v14, v89
	s_wait_loadcnt 0x7
	v_cvt_f32_f16_e32 v17, v90
	s_wait_dscnt 0x3
	v_pk_mul_f32 v[4:5], v[8:9], v[4:5]
	ds_bpermute_b32 v8, v2, v3 offset:24
	s_wait_loadcnt 0x6
	v_cvt_f32_f16_e32 v16, v91
	v_pk_mul_f32 v[10:11], v[10:11], v[14:15]
	s_wait_loadcnt 0x5
	v_cvt_f32_f16_e32 v15, v92
	s_wait_loadcnt 0x4
	v_cvt_f32_f16_e32 v14, v93
	ds_bpermute_b32 v9, v2, v3 offset:28
	s_wait_dscnt 0x3
	v_pk_mul_f32 v[6:7], v[10:11], v[6:7]
	v_add_f32_e32 v4, v87, v4
	s_wait_loadcnt 0x3
	v_cvt_f32_f16_e32 v11, v94
	s_delay_alu instid0(VALU_DEP_2)
	v_add_f32_e32 v10, v4, v5
	v_pk_mul_f32 v[4:5], v[16:17], v[14:15]
	s_wait_loadcnt 0x1
	v_cvt_f32_f16_e32 v15, v96
	s_wait_loadcnt 0x0
	v_cvt_f32_f16_e32 v14, v97
	v_add_f32_e32 v3, v10, v6
	v_cvt_f32_f16_e32 v10, v95
	s_wait_dscnt 0x2
	v_pk_mul_f32 v[4:5], v[4:5], v[12:13]
	s_delay_alu instid0(VALU_DEP_3) | instskip(NEXT) | instid1(VALU_DEP_3)
	v_add_f32_e32 v3, v3, v7
	v_pk_mul_f32 v[6:7], v[10:11], v[14:15]
	s_delay_alu instid0(VALU_DEP_2) | instskip(NEXT) | instid1(VALU_DEP_1)
	v_add_f32_e32 v3, v3, v4
	v_add_f32_e32 v3, v3, v5
	s_wait_dscnt 0x0
	s_delay_alu instid0(VALU_DEP_3) | instskip(NEXT) | instid1(VALU_DEP_1)
	v_pk_mul_f32 v[4:5], v[6:7], v[8:9]
	v_add_f32_e32 v3, v3, v4
	s_delay_alu instid0(VALU_DEP_1)
	v_add_f32_e32 v3, v3, v5
.LBB180_81:                             ;   in Loop: Header=BB180_53 Depth=1
	s_add_nc_u64 s[16:17], s[16:17], s[18:19]
	v_add_nc_u64_e32 v[52:53], s[36:37], v[52:53]
	v_cmp_ge_i64_e64 s2, s[16:17], s[4:5]
	v_add_nc_u64_e32 v[54:55], s[36:37], v[54:55]
	v_add_nc_u64_e32 v[22:23], s[36:37], v[22:23]
	;; [unrolled: 1-line block ×29, first 2 shown]
	s_and_b32 vcc_lo, exec_lo, s2
	s_add_nc_u64 s[38:39], s[38:39], s[18:19]
	s_cbranch_vccnz .LBB180_83
; %bb.82:                               ;   in Loop: Header=BB180_53 Depth=1
	v_mov_b32_e32 v87, v3
	s_branch .LBB180_53
.LBB180_83:
	v_and_b32_e32 v1, 0x3ff, v0
	v_bfe_u32 v2, v0, 10, 10
	v_bfe_u32 v0, v0, 5, 5
	s_mov_b32 s2, exec_lo
	s_delay_alu instid0(VALU_DEP_2) | instskip(NEXT) | instid1(VALU_DEP_2)
	v_mad_u32_u24 v4, v2, 33, v1
	v_add_nc_u32_e32 v0, v0, v2
	s_delay_alu instid0(VALU_DEP_2)
	v_lshl_add_u32 v2, v4, 2, 0
	v_mov_b32_e32 v4, 0
	ds_store_b32 v2, v3
	ds_store_b32 v2, v4 offset:1056
	s_wait_dscnt 0x0
	s_barrier_signal -1
	s_barrier_wait -1
	v_cmpx_gt_u32_e32 32, v0
	s_cbranch_execz .LBB180_103
; %bb.84:
	s_load_b64 s[2:3], s[0:1], 0x30
	v_and_b32_e32 v2, 31, v1
	s_delay_alu instid0(VALU_DEP_1)
	v_cmp_gt_u32_e32 vcc_lo, 8, v2
	v_mul_u32_u24_e32 v4, 33, v2
                                        ; implicit-def: $vgpr2
	s_wait_xcnt 0x0
	s_and_saveexec_b32 s0, vcc_lo
	s_cbranch_execz .LBB180_86
; %bb.85:
	v_lshlrev_b32_e32 v2, 2, v0
	v_lshlrev_b32_e32 v3, 2, v4
	s_delay_alu instid0(VALU_DEP_1)
	v_add3_u32 v2, 0, v2, v3
	ds_load_b32 v2, v2
.LBB180_86:
	s_or_b32 exec_lo, exec_lo, s0
	v_mbcnt_lo_u32_b32 v3, -1, 0
	s_mov_b32 s13, 0
	s_delay_alu instid0(SALU_CYCLE_1)
	s_lshl_b64 s[4:5], s[12:13], 5
	s_wait_kmcnt 0x0
	s_cmp_eq_u64 s[2:3], 0
	v_xor_b32_e32 v8, 1, v3
	v_xor_b32_e32 v6, 2, v3
	;; [unrolled: 1-line block ×3, first 2 shown]
	s_cselect_b32 s8, -1, 0
	s_delay_alu instid0(VALU_DEP_1) | instskip(NEXT) | instid1(VALU_DEP_1)
	v_cmp_gt_i32_e64 s0, 32, v5
	v_cndmask_b32_e64 v5, v3, v5, s0
	v_cmp_gt_i32_e64 s0, 32, v6
	s_delay_alu instid0(VALU_DEP_1) | instskip(SKIP_1) | instid1(VALU_DEP_2)
	v_cndmask_b32_e64 v6, v3, v6, s0
	v_cmp_gt_i32_e64 s0, 32, v8
	v_dual_lshlrev_b32 v6, 2, v6 :: v_dual_lshlrev_b32 v5, 2, v5
	s_delay_alu instid0(VALU_DEP_2)
	v_cndmask_b32_e64 v3, v3, v8, s0
	v_cmp_ne_u32_e64 s0, 0, v1
	s_wait_dscnt 0x0
	ds_bpermute_b32 v7, v5, v2
	s_wait_dscnt 0x0
	v_add_f32_e32 v2, v2, v7
	ds_bpermute_b32 v7, v6, v2
	s_wait_dscnt 0x0
	v_dual_add_f32 v8, v2, v7 :: v_dual_bitop2_b32 v2, s4, v0 bitop3:0x54
	v_lshlrev_b32_e32 v7, 2, v3
	ds_bpermute_b32 v9, v7, v8
	s_wait_dscnt 0x0
	v_dual_mov_b32 v3, s5 :: v_dual_add_f32 v8, v8, v9
	s_delay_alu instid0(VALU_DEP_1) | instskip(SKIP_1) | instid1(SALU_CYCLE_1)
	v_cmp_le_i64_e64 s1, s[6:7], v[2:3]
	s_or_b32 s1, s0, s1
	s_nor_b32 s9, s8, s1
	s_delay_alu instid0(SALU_CYCLE_1)
	s_and_saveexec_b32 s1, s9
	s_cbranch_execz .LBB180_88
; %bb.87:
	v_lshl_add_u64 v[2:3], v[2:3], 1, s[2:3]
	v_cvt_f16_f32_e32 v1, v8
	global_store_b16 v[2:3], v1, off
.LBB180_88:
	s_wait_xcnt 0x0
	s_or_b32 exec_lo, exec_lo, s1
	v_cmp_gt_u32_e64 s1, 24, v0
	s_and_b32 exec_lo, exec_lo, s1
	s_cbranch_execz .LBB180_103
; %bb.89:
	v_mov_b32_e32 v1, 0
	s_and_saveexec_b32 s1, vcc_lo
	s_cbranch_execz .LBB180_91
; %bb.90:
	v_lshlrev_b32_e32 v2, 2, v0
	v_lshlrev_b32_e32 v3, 2, v4
	s_delay_alu instid0(VALU_DEP_1)
	v_add3_u32 v2, 0, v2, v3
	ds_load_b32 v8, v2 offset:32
.LBB180_91:
	s_or_b32 exec_lo, exec_lo, s1
	s_wait_dscnt 0x0
	ds_bpermute_b32 v2, v5, v8
	s_wait_dscnt 0x0
	v_add_f32_e32 v2, v8, v2
	ds_bpermute_b32 v3, v6, v2
	s_wait_dscnt 0x0
	v_dual_add_f32 v8, v2, v3 :: v_dual_add_nc_u32 v2, 8, v0
	v_mov_b32_e32 v3, v1
	ds_bpermute_b32 v9, v7, v8
	v_add_nc_u64_e32 v[2:3], s[4:5], v[2:3]
	s_delay_alu instid0(VALU_DEP_1) | instskip(SKIP_1) | instid1(SALU_CYCLE_1)
	v_cmp_le_i64_e64 s1, s[6:7], v[2:3]
	s_or_b32 s1, s0, s1
	s_nor_b32 s9, s8, s1
	s_wait_dscnt 0x0
	v_add_f32_e32 v2, v8, v9
	s_and_saveexec_b32 s1, s9
	s_cbranch_execz .LBB180_93
; %bb.92:
	v_add_nc_u64_e32 v[8:9], s[4:5], v[0:1]
	s_delay_alu instid0(VALU_DEP_2) | instskip(NEXT) | instid1(VALU_DEP_2)
	v_cvt_f16_f32_e32 v3, v2
	v_lshl_add_u64 v[8:9], v[8:9], 1, s[2:3]
	global_store_b16 v[8:9], v3, off offset:16
.LBB180_93:
	s_wait_xcnt 0x0
	s_or_b32 exec_lo, exec_lo, s1
	v_cmp_gt_u32_e64 s1, 16, v0
	s_and_b32 exec_lo, exec_lo, s1
	s_cbranch_execz .LBB180_103
; %bb.94:
	s_and_saveexec_b32 s1, vcc_lo
	s_cbranch_execz .LBB180_96
; %bb.95:
	v_lshlrev_b32_e32 v2, 2, v0
	v_lshlrev_b32_e32 v3, 2, v4
	s_delay_alu instid0(VALU_DEP_1)
	v_add3_u32 v2, 0, v2, v3
	ds_load_b32 v2, v2 offset:64
.LBB180_96:
	s_or_b32 exec_lo, exec_lo, s1
	s_wait_dscnt 0x0
	ds_bpermute_b32 v3, v5, v2
	s_wait_dscnt 0x0
	v_add_f32_e32 v2, v2, v3
	ds_bpermute_b32 v3, v6, v2
	s_wait_dscnt 0x0
	v_dual_add_f32 v8, v2, v3 :: v_dual_add_nc_u32 v2, 16, v0
	v_mov_b32_e32 v3, s5
	ds_bpermute_b32 v9, v7, v8
	v_or_b32_e32 v2, s4, v2
	s_delay_alu instid0(VALU_DEP_1) | instskip(SKIP_1) | instid1(SALU_CYCLE_1)
	v_cmp_le_i64_e64 s1, s[6:7], v[2:3]
	s_or_b32 s1, s0, s1
	s_nor_b32 s9, s8, s1
	s_wait_dscnt 0x0
	v_add_f32_e32 v2, v8, v9
	s_and_saveexec_b32 s1, s9
	s_cbranch_execz .LBB180_98
; %bb.97:
	v_add_nc_u64_e32 v[8:9], s[4:5], v[0:1]
	s_delay_alu instid0(VALU_DEP_2) | instskip(NEXT) | instid1(VALU_DEP_2)
	v_cvt_f16_f32_e32 v3, v2
	v_lshl_add_u64 v[8:9], v[8:9], 1, s[2:3]
	global_store_b16 v[8:9], v3, off offset:32
.LBB180_98:
	s_wait_xcnt 0x0
	s_or_b32 exec_lo, exec_lo, s1
	v_cmp_gt_u32_e64 s1, 8, v0
	s_and_b32 exec_lo, exec_lo, s1
	s_cbranch_execz .LBB180_103
; %bb.99:
	s_and_saveexec_b32 s1, vcc_lo
	s_cbranch_execz .LBB180_101
; %bb.100:
	v_lshlrev_b32_e32 v2, 2, v0
	v_lshlrev_b32_e32 v3, 2, v4
	s_delay_alu instid0(VALU_DEP_1)
	v_add3_u32 v2, 0, v2, v3
	ds_load_b32 v2, v2 offset:96
.LBB180_101:
	s_or_b32 exec_lo, exec_lo, s1
	s_wait_dscnt 0x0
	ds_bpermute_b32 v3, v5, v2
	v_dual_mov_b32 v5, s5 :: v_dual_add_nc_u32 v4, 24, v0
	s_delay_alu instid0(VALU_DEP_1) | instskip(NEXT) | instid1(VALU_DEP_1)
	v_or_b32_e32 v4, s4, v4
	v_cmp_le_i64_e32 vcc_lo, s[6:7], v[4:5]
	s_or_b32 s0, s0, vcc_lo
	s_wait_dscnt 0x0
	v_add_f32_e32 v2, v2, v3
	s_nor_b32 s0, s8, s0
	ds_bpermute_b32 v3, v6, v2
	s_wait_dscnt 0x0
	v_add_f32_e32 v2, v2, v3
	ds_bpermute_b32 v3, v7, v2
	s_and_saveexec_b32 s1, s0
	s_delay_alu instid0(SALU_CYCLE_1)
	s_xor_b32 s1, exec_lo, s1
	s_cbranch_execz .LBB180_103
; %bb.102:
	v_add_nc_u64_e32 v[0:1], s[4:5], v[0:1]
	s_wait_dscnt 0x0
	v_add_f32_e32 v2, v2, v3
	s_delay_alu instid0(VALU_DEP_1) | instskip(NEXT) | instid1(VALU_DEP_3)
	v_cvt_f16_f32_e32 v2, v2
	v_lshl_add_u64 v[0:1], v[0:1], 1, s[2:3]
	global_store_b16 v[0:1], v2, off offset:48
.LBB180_103:
	s_sendmsg sendmsg(MSG_DEALLOC_VGPRS)
	s_endpgm
	.section	.rodata,"a",@progbits
	.p2align	6, 0x0
	.amdhsa_kernel _ZN2at6native12_GLOBAL__N_135GammaBetaBackwardCUDAKernelTemplateIN3c104HalfEfLj32ELj8ELj64ELb0ELb0ELb1EEEvllPKT_S7_PKT0_SA_PS5_SB_
		.amdhsa_group_segment_fixed_size 0
		.amdhsa_private_segment_fixed_size 0
		.amdhsa_kernarg_size 320
		.amdhsa_user_sgpr_count 2
		.amdhsa_user_sgpr_dispatch_ptr 0
		.amdhsa_user_sgpr_queue_ptr 0
		.amdhsa_user_sgpr_kernarg_segment_ptr 1
		.amdhsa_user_sgpr_dispatch_id 0
		.amdhsa_user_sgpr_kernarg_preload_length 0
		.amdhsa_user_sgpr_kernarg_preload_offset 0
		.amdhsa_user_sgpr_private_segment_size 0
		.amdhsa_wavefront_size32 1
		.amdhsa_uses_dynamic_stack 0
		.amdhsa_enable_private_segment 0
		.amdhsa_system_sgpr_workgroup_id_x 1
		.amdhsa_system_sgpr_workgroup_id_y 1
		.amdhsa_system_sgpr_workgroup_id_z 0
		.amdhsa_system_sgpr_workgroup_info 0
		.amdhsa_system_vgpr_workitem_id 1
		.amdhsa_next_free_vgpr 98
		.amdhsa_next_free_sgpr 50
		.amdhsa_named_barrier_count 0
		.amdhsa_reserve_vcc 1
		.amdhsa_float_round_mode_32 0
		.amdhsa_float_round_mode_16_64 0
		.amdhsa_float_denorm_mode_32 3
		.amdhsa_float_denorm_mode_16_64 3
		.amdhsa_fp16_overflow 0
		.amdhsa_memory_ordered 1
		.amdhsa_forward_progress 1
		.amdhsa_inst_pref_size 51
		.amdhsa_round_robin_scheduling 0
		.amdhsa_exception_fp_ieee_invalid_op 0
		.amdhsa_exception_fp_denorm_src 0
		.amdhsa_exception_fp_ieee_div_zero 0
		.amdhsa_exception_fp_ieee_overflow 0
		.amdhsa_exception_fp_ieee_underflow 0
		.amdhsa_exception_fp_ieee_inexact 0
		.amdhsa_exception_int_div_zero 0
	.end_amdhsa_kernel
	.section	.text._ZN2at6native12_GLOBAL__N_135GammaBetaBackwardCUDAKernelTemplateIN3c104HalfEfLj32ELj8ELj64ELb0ELb0ELb1EEEvllPKT_S7_PKT0_SA_PS5_SB_,"axG",@progbits,_ZN2at6native12_GLOBAL__N_135GammaBetaBackwardCUDAKernelTemplateIN3c104HalfEfLj32ELj8ELj64ELb0ELb0ELb1EEEvllPKT_S7_PKT0_SA_PS5_SB_,comdat
.Lfunc_end180:
	.size	_ZN2at6native12_GLOBAL__N_135GammaBetaBackwardCUDAKernelTemplateIN3c104HalfEfLj32ELj8ELj64ELb0ELb0ELb1EEEvllPKT_S7_PKT0_SA_PS5_SB_, .Lfunc_end180-_ZN2at6native12_GLOBAL__N_135GammaBetaBackwardCUDAKernelTemplateIN3c104HalfEfLj32ELj8ELj64ELb0ELb0ELb1EEEvllPKT_S7_PKT0_SA_PS5_SB_
                                        ; -- End function
	.set _ZN2at6native12_GLOBAL__N_135GammaBetaBackwardCUDAKernelTemplateIN3c104HalfEfLj32ELj8ELj64ELb0ELb0ELb1EEEvllPKT_S7_PKT0_SA_PS5_SB_.num_vgpr, 98
	.set _ZN2at6native12_GLOBAL__N_135GammaBetaBackwardCUDAKernelTemplateIN3c104HalfEfLj32ELj8ELj64ELb0ELb0ELb1EEEvllPKT_S7_PKT0_SA_PS5_SB_.num_agpr, 0
	.set _ZN2at6native12_GLOBAL__N_135GammaBetaBackwardCUDAKernelTemplateIN3c104HalfEfLj32ELj8ELj64ELb0ELb0ELb1EEEvllPKT_S7_PKT0_SA_PS5_SB_.numbered_sgpr, 50
	.set _ZN2at6native12_GLOBAL__N_135GammaBetaBackwardCUDAKernelTemplateIN3c104HalfEfLj32ELj8ELj64ELb0ELb0ELb1EEEvllPKT_S7_PKT0_SA_PS5_SB_.num_named_barrier, 0
	.set _ZN2at6native12_GLOBAL__N_135GammaBetaBackwardCUDAKernelTemplateIN3c104HalfEfLj32ELj8ELj64ELb0ELb0ELb1EEEvllPKT_S7_PKT0_SA_PS5_SB_.private_seg_size, 0
	.set _ZN2at6native12_GLOBAL__N_135GammaBetaBackwardCUDAKernelTemplateIN3c104HalfEfLj32ELj8ELj64ELb0ELb0ELb1EEEvllPKT_S7_PKT0_SA_PS5_SB_.uses_vcc, 1
	.set _ZN2at6native12_GLOBAL__N_135GammaBetaBackwardCUDAKernelTemplateIN3c104HalfEfLj32ELj8ELj64ELb0ELb0ELb1EEEvllPKT_S7_PKT0_SA_PS5_SB_.uses_flat_scratch, 0
	.set _ZN2at6native12_GLOBAL__N_135GammaBetaBackwardCUDAKernelTemplateIN3c104HalfEfLj32ELj8ELj64ELb0ELb0ELb1EEEvllPKT_S7_PKT0_SA_PS5_SB_.has_dyn_sized_stack, 0
	.set _ZN2at6native12_GLOBAL__N_135GammaBetaBackwardCUDAKernelTemplateIN3c104HalfEfLj32ELj8ELj64ELb0ELb0ELb1EEEvllPKT_S7_PKT0_SA_PS5_SB_.has_recursion, 0
	.set _ZN2at6native12_GLOBAL__N_135GammaBetaBackwardCUDAKernelTemplateIN3c104HalfEfLj32ELj8ELj64ELb0ELb0ELb1EEEvllPKT_S7_PKT0_SA_PS5_SB_.has_indirect_call, 0
	.section	.AMDGPU.csdata,"",@progbits
; Kernel info:
; codeLenInByte = 6504
; TotalNumSgprs: 52
; NumVgprs: 98
; ScratchSize: 0
; MemoryBound: 0
; FloatMode: 240
; IeeeMode: 1
; LDSByteSize: 0 bytes/workgroup (compile time only)
; SGPRBlocks: 0
; VGPRBlocks: 6
; NumSGPRsForWavesPerEU: 52
; NumVGPRsForWavesPerEU: 98
; NamedBarCnt: 0
; Occupancy: 9
; WaveLimiterHint : 0
; COMPUTE_PGM_RSRC2:SCRATCH_EN: 0
; COMPUTE_PGM_RSRC2:USER_SGPR: 2
; COMPUTE_PGM_RSRC2:TRAP_HANDLER: 0
; COMPUTE_PGM_RSRC2:TGID_X_EN: 1
; COMPUTE_PGM_RSRC2:TGID_Y_EN: 1
; COMPUTE_PGM_RSRC2:TGID_Z_EN: 0
; COMPUTE_PGM_RSRC2:TIDIG_COMP_CNT: 1
	.section	.text._ZN2at6native12_GLOBAL__N_135GammaBetaBackwardCUDAKernelTemplateIN3c104HalfEfLj32ELj16ELj128ELb0ELb1ELb1EEEvllPKT_S7_PKT0_SA_PS5_SB_,"axG",@progbits,_ZN2at6native12_GLOBAL__N_135GammaBetaBackwardCUDAKernelTemplateIN3c104HalfEfLj32ELj16ELj128ELb0ELb1ELb1EEEvllPKT_S7_PKT0_SA_PS5_SB_,comdat
	.globl	_ZN2at6native12_GLOBAL__N_135GammaBetaBackwardCUDAKernelTemplateIN3c104HalfEfLj32ELj16ELj128ELb0ELb1ELb1EEEvllPKT_S7_PKT0_SA_PS5_SB_ ; -- Begin function _ZN2at6native12_GLOBAL__N_135GammaBetaBackwardCUDAKernelTemplateIN3c104HalfEfLj32ELj16ELj128ELb0ELb1ELb1EEEvllPKT_S7_PKT0_SA_PS5_SB_
	.p2align	8
	.type	_ZN2at6native12_GLOBAL__N_135GammaBetaBackwardCUDAKernelTemplateIN3c104HalfEfLj32ELj16ELj128ELb0ELb1ELb1EEEvllPKT_S7_PKT0_SA_PS5_SB_,@function
_ZN2at6native12_GLOBAL__N_135GammaBetaBackwardCUDAKernelTemplateIN3c104HalfEfLj32ELj16ELj128ELb0ELb1ELb1EEEvllPKT_S7_PKT0_SA_PS5_SB_: ; @_ZN2at6native12_GLOBAL__N_135GammaBetaBackwardCUDAKernelTemplateIN3c104HalfEfLj32ELj16ELj128ELb0ELb1ELb1EEEvllPKT_S7_PKT0_SA_PS5_SB_
; %bb.0:
	s_load_b128 s[4:7], s[0:1], 0x0
	s_bfe_u32 s2, ttmp6, 0x40010
	s_bfe_u32 s3, ttmp6, 0x40004
	s_add_co_i32 s2, s2, 1
	s_getreg_b32 s20, hwreg(HW_REG_IB_STS2, 6, 4)
	s_mul_i32 s2, ttmp7, s2
	s_mov_b32 s13, 0
	s_add_co_i32 s3, s3, s2
	s_cmp_eq_u32 s20, 0
	v_bfe_u32 v9, v0, 10, 10
	s_cselect_b32 s2, ttmp7, s3
	s_delay_alu instid0(SALU_CYCLE_1)
	s_lshl_b32 s12, s2, 7
	s_wait_kmcnt 0x0
	v_cmp_gt_i64_e64 s2, s[4:5], s[12:13]
	s_and_b32 vcc_lo, exec_lo, s2
	s_cbranch_vccnz .LBB181_2
; %bb.1:
	v_bfe_u32 v1, v0, 10, 10
	s_mov_b32 s2, s13
	v_and_b32_e32 v8, 0x3ff, v0
	v_mov_b32_e32 v16, 0
	s_and_not1_b32 vcc_lo, exec_lo, s2
	s_cbranch_vccz .LBB181_3
	s_branch .LBB181_10
.LBB181_2:
                                        ; implicit-def: $vgpr1
	v_and_b32_e32 v8, 0x3ff, v0
	v_mov_b32_e32 v16, 0
.LBB181_3:
	v_dual_mov_b32 v1, 0 :: v_dual_lshlrev_b32 v0, 3, v9
	s_load_b32 s2, s[0:1], 0x4c
	s_bfe_u32 s14, ttmp6, 0x4000c
	s_clause 0x2
	s_load_b32 s3, s[0:1], 0x44
	s_load_b128 s[8:11], s[0:1], 0x10
	s_load_b64 s[16:17], s[0:1], 0x28
	s_add_co_i32 s14, s14, 1
	v_add_nc_u64_e32 v[2:3], s[12:13], v[0:1]
	s_and_b32 s18, ttmp6, 15
	s_mul_i32 s14, ttmp9, s14
	v_dual_mov_b32 v5, v1 :: v_dual_mov_b32 v15, v1
	s_add_co_i32 s18, s18, s14
	s_mov_b32 s15, 0
	s_delay_alu instid0(VALU_DEP_2)
	v_mul_u64_e32 v[6:7], s[6:7], v[2:3]
	v_dual_mov_b32 v0, 8 :: v_dual_mov_b32 v10, 4
	v_dual_mov_b32 v12, 16 :: v_dual_mov_b32 v13, 20
	v_mov_b32_e32 v11, 12
	s_wait_kmcnt 0x0
	s_and_b32 s2, s2, 0xffff
	s_cmp_eq_u32 s20, 0
	v_mad_u32_u24 v4, v9, s2, v8
	s_cselect_b32 s2, ttmp9, s18
	s_lshl_b32 s14, s3, 7
	v_lshl_add_u32 v14, s2, 5, v8
	s_mul_u64 s[18:19], s[6:7], s[14:15]
	v_and_b32_e32 v4, 31, v4
	s_lshl_b64 s[18:19], s[18:19], 1
	s_lshl_b64 s[6:7], s[6:7], 1
	v_lshlrev_b64_e32 v[16:17], 1, v[14:15]
	v_dual_mov_b32 v14, 24 :: v_dual_mov_b32 v15, 28
	v_add_nc_u64_e32 v[2:3], v[2:3], v[4:5]
	v_cmp_gt_u32_e64 s2, 8, v4
	s_delay_alu instid0(VALU_DEP_2)
	v_lshl_add_u64 v[4:5], v[2:3], 2, s[16:17]
	s_lshl_b64 s[16:17], s[14:15], 2
	v_lshl_add_u64 v[6:7], v[6:7], 1, v[16:17]
	v_mov_b32_e32 v16, 0
	s_branch .LBB181_6
.LBB181_4:                              ;   in Loop: Header=BB181_6 Depth=1
	s_wait_xcnt 0x0
	s_or_b32 exec_lo, exec_lo, s21
.LBB181_5:                              ;   in Loop: Header=BB181_6 Depth=1
	s_delay_alu instid0(SALU_CYCLE_1)
	s_or_b32 exec_lo, exec_lo, s3
	v_add_nc_u64_e32 v[18:19], s[8:9], v[6:7]
	v_add_nc_u64_e32 v[20:21], s[10:11], v[6:7]
	s_add_nc_u64 s[12:13], s[12:13], s[14:15]
	v_add_nc_u64_e32 v[4:5], s[16:17], v[4:5]
	v_cmp_lt_i64_e64 s3, s[12:13], s[4:5]
	v_add_nc_u64_e32 v[2:3], s[14:15], v[2:3]
	v_add_nc_u64_e32 v[6:7], s[18:19], v[6:7]
	;; [unrolled: 1-line block ×4, first 2 shown]
	global_load_u16 v30, v[18:19], off
	global_load_u16 v31, v[20:21], off
	;; [unrolled: 1-line block ×4, first 2 shown]
	s_and_b32 vcc_lo, exec_lo, s3
	v_add_nc_u64_e32 v[26:27], s[6:7], v[22:23]
	v_add_nc_u64_e32 v[28:29], s[6:7], v[24:25]
	global_load_u16 v34, v[26:27], off
	global_load_u16 v35, v[28:29], off
	s_wait_xcnt 0x5
	v_add_nc_u64_e32 v[18:19], s[6:7], v[26:27]
	s_wait_xcnt 0x4
	v_add_nc_u64_e32 v[20:21], s[6:7], v[28:29]
	global_load_u16 v27, v[18:19], off
	global_load_u16 v28, v[20:21], off
	v_add_nc_u64_e32 v[22:23], s[6:7], v[18:19]
	v_add_nc_u64_e32 v[24:25], s[6:7], v[20:21]
	global_load_u16 v29, v[22:23], off
	global_load_u16 v36, v[24:25], off
	s_wait_xcnt 0x3
	v_add_nc_u64_e32 v[18:19], s[6:7], v[22:23]
	s_wait_xcnt 0x2
	v_add_nc_u64_e32 v[20:21], s[6:7], v[24:25]
	global_load_u16 v37, v[18:19], off
	global_load_u16 v38, v[20:21], off
	s_wait_xcnt 0x3
	v_add_nc_u64_e32 v[22:23], s[6:7], v[18:19]
	s_wait_xcnt 0x2
	v_add_nc_u64_e32 v[24:25], s[6:7], v[20:21]
	s_wait_xcnt 0x1
	s_delay_alu instid0(VALU_DEP_2) | instskip(SKIP_1) | instid1(VALU_DEP_2)
	v_add_nc_u64_e32 v[18:19], s[6:7], v[22:23]
	s_wait_xcnt 0x0
	v_add_nc_u64_e32 v[20:21], s[6:7], v[24:25]
	global_load_u16 v39, v[22:23], off
	global_load_u16 v40, v[24:25], off
	;; [unrolled: 1-line block ×4, first 2 shown]
	s_wait_loadcnt 0x10
	s_wait_xcnt 0x1
	ds_bpermute_b32 v18, v1, v17
	ds_bpermute_b32 v19, v10, v17
	;; [unrolled: 1-line block ×4, first 2 shown]
	s_wait_loadcnt 0xf
	s_wait_xcnt 0x0
	v_cvt_f32_f16_e32 v20, v30
	s_wait_loadcnt 0xe
	v_cvt_f32_f16_e32 v22, v31
	s_wait_loadcnt 0xd
	v_cvt_f32_f16_e32 v21, v32
	s_wait_loadcnt 0xc
	v_cvt_f32_f16_e32 v23, v33
	s_delay_alu instid0(VALU_DEP_1)
	v_pk_mul_f32 v[20:21], v[20:21], v[22:23]
	s_wait_loadcnt 0xb
	v_cvt_f32_f16_e32 v22, v34
	s_wait_loadcnt 0xa
	v_cvt_f32_f16_e32 v26, v35
	s_wait_dscnt 0x2
	v_pk_mul_f32 v[18:19], v[20:21], v[18:19]
	ds_bpermute_b32 v20, v12, v17
	ds_bpermute_b32 v21, v13, v17
	s_wait_loadcnt 0x9
	v_cvt_f32_f16_e32 v23, v27
	s_wait_loadcnt 0x8
	v_cvt_f32_f16_e32 v27, v28
	s_delay_alu instid0(VALU_DEP_1) | instskip(SKIP_1) | instid1(VALU_DEP_1)
	v_pk_mul_f32 v[22:23], v[22:23], v[26:27]
	s_wait_dscnt 0x2
	v_pk_mul_f32 v[22:23], v[22:23], v[24:25]
	v_add_f32_e32 v18, v16, v18
	ds_bpermute_b32 v16, v14, v17
	s_wait_loadcnt 0x6
	v_cvt_f32_f16_e32 v24, v36
	ds_bpermute_b32 v17, v15, v17
	v_add_f32_e32 v26, v18, v19
	v_cvt_f32_f16_e32 v18, v29
	s_wait_loadcnt 0x5
	v_cvt_f32_f16_e32 v19, v37
	s_wait_loadcnt 0x4
	v_cvt_f32_f16_e32 v25, v38
	v_add_f32_e32 v22, v26, v22
	s_delay_alu instid0(VALU_DEP_2) | instskip(NEXT) | instid1(VALU_DEP_2)
	v_pk_mul_f32 v[18:19], v[18:19], v[24:25]
	v_add_f32_e32 v26, v22, v23
	s_wait_loadcnt 0x3
	v_cvt_f32_f16_e32 v22, v39
	s_wait_loadcnt 0x2
	v_cvt_f32_f16_e32 v24, v40
	s_wait_dscnt 0x2
	v_pk_mul_f32 v[18:19], v[18:19], v[20:21]
	s_wait_loadcnt 0x1
	v_cvt_f32_f16_e32 v23, v41
	s_wait_loadcnt 0x0
	v_cvt_f32_f16_e32 v25, v42
	v_add_f32_e32 v18, v26, v18
	s_delay_alu instid0(VALU_DEP_2) | instskip(NEXT) | instid1(VALU_DEP_2)
	v_pk_mul_f32 v[20:21], v[22:23], v[24:25]
	v_add_f32_e32 v18, v18, v19
	s_wait_dscnt 0x0
	s_delay_alu instid0(VALU_DEP_2) | instskip(NEXT) | instid1(VALU_DEP_1)
	v_pk_mul_f32 v[16:17], v[20:21], v[16:17]
	v_add_f32_e32 v16, v18, v16
	s_delay_alu instid0(VALU_DEP_1)
	v_add_f32_e32 v16, v16, v17
	s_cbranch_vccz .LBB181_9
.LBB181_6:                              ; =>This Inner Loop Header: Depth=1
	v_mov_b32_e32 v17, 0
	s_and_saveexec_b32 s3, s2
	s_cbranch_execz .LBB181_5
; %bb.7:                                ;   in Loop: Header=BB181_6 Depth=1
	v_mov_b32_e32 v17, 0
	s_mov_b32 s21, exec_lo
	v_cmpx_gt_i64_e64 s[4:5], v[2:3]
	s_cbranch_execz .LBB181_4
; %bb.8:                                ;   in Loop: Header=BB181_6 Depth=1
	global_load_b32 v17, v[4:5], off
	s_branch .LBB181_4
.LBB181_9:
	v_mov_b32_e32 v1, v9
.LBB181_10:
	s_load_b64 s[2:3], s[0:1], 0x30
	s_delay_alu instid0(VALU_DEP_1) | instskip(SKIP_3) | instid1(VALU_DEP_2)
	v_mad_u32_u24 v0, v1, 33, v8
	v_dual_lshrrev_b32 v2, 5, v8 :: v_dual_mov_b32 v4, 0
	s_wait_xcnt 0x0
	s_mov_b32 s0, exec_lo
	v_lshl_add_u32 v3, v0, 2, 0
	s_delay_alu instid0(VALU_DEP_2)
	v_add_nc_u32_e32 v0, v2, v1
	ds_store_b32 v3, v16
	ds_store_b32 v3, v4 offset:2112
	s_wait_dscnt 0x0
	s_barrier_signal -1
	s_barrier_wait -1
	v_cmpx_gt_u32_e32 32, v0
	s_cbranch_execz .LBB181_20
; %bb.11:
	v_and_b32_e32 v1, 31, v8
                                        ; implicit-def: $vgpr4
	s_delay_alu instid0(VALU_DEP_1)
	v_cmp_gt_u32_e32 vcc_lo, 16, v1
	v_mul_u32_u24_e32 v1, 33, v1
	s_and_saveexec_b32 s0, vcc_lo
; %bb.12:
	s_delay_alu instid0(VALU_DEP_1) | instskip(NEXT) | instid1(VALU_DEP_1)
	v_dual_lshlrev_b32 v2, 2, v0 :: v_dual_lshlrev_b32 v3, 2, v1
	v_add3_u32 v2, 0, v2, v3
	ds_load_b32 v4, v2
; %bb.13:
	s_or_b32 exec_lo, exec_lo, s0
	v_mbcnt_lo_u32_b32 v5, -1, 0
	s_wait_kmcnt 0x0
	s_cmp_lg_u64 s[2:3], 0
	s_cselect_b32 s1, -1, 0
	s_bfe_u32 s4, ttmp6, 0x4000c
	v_xor_b32_e32 v3, 4, v5
	v_xor_b32_e32 v2, 8, v5
	s_add_co_i32 s4, s4, 1
	s_and_b32 s5, ttmp6, 15
	s_mul_i32 s4, ttmp9, s4
	v_xor_b32_e32 v9, 1, v5
	v_cmp_gt_i32_e64 s0, 32, v2
	s_delay_alu instid0(VALU_DEP_1) | instskip(SKIP_1) | instid1(VALU_DEP_1)
	v_cndmask_b32_e64 v2, v5, v2, s0
	v_cmp_gt_i32_e64 s0, 32, v3
	v_cndmask_b32_e64 v3, v5, v3, s0
	s_delay_alu instid0(VALU_DEP_1)
	v_dual_lshlrev_b32 v3, 2, v3 :: v_dual_lshlrev_b32 v2, 2, v2
	s_wait_dscnt 0x0
	ds_bpermute_b32 v6, v2, v4
	s_wait_dscnt 0x0
	v_dual_add_f32 v6, v4, v6 :: v_dual_bitop2_b32 v4, 2, v5 bitop3:0x14
	ds_bpermute_b32 v7, v3, v6
	v_cmp_gt_i32_e64 s0, 32, v4
	s_delay_alu instid0(VALU_DEP_1) | instskip(SKIP_2) | instid1(VALU_DEP_2)
	v_cndmask_b32_e64 v4, v5, v4, s0
	v_cmp_gt_i32_e64 s0, 32, v9
	s_wait_dscnt 0x0
	v_dual_add_f32 v6, v6, v7 :: v_dual_lshlrev_b32 v4, 2, v4
	ds_bpermute_b32 v7, v4, v6
	v_cndmask_b32_e64 v5, v5, v9, s0
	v_cmp_eq_u32_e64 s0, 0, v8
	s_and_b32 s1, s0, s1
	s_add_co_i32 s0, s5, s4
	s_cmp_eq_u32 s20, 0
	s_mov_b32 s5, 0
	s_cselect_b32 s4, ttmp9, s0
	s_delay_alu instid0(SALU_CYCLE_1) | instskip(NEXT) | instid1(SALU_CYCLE_1)
	s_lshl_b64 s[4:5], s[4:5], 6
	s_add_nc_u64 s[2:3], s[2:3], s[4:5]
	s_wait_dscnt 0x0
	v_dual_add_f32 v6, v6, v7 :: v_dual_lshlrev_b32 v5, 2, v5
	ds_bpermute_b32 v7, v5, v6
	s_wait_dscnt 0x0
	v_add_f32_e32 v6, v6, v7
	s_and_saveexec_b32 s0, s1
	s_cbranch_execz .LBB181_15
; %bb.14:
	s_delay_alu instid0(VALU_DEP_1)
	v_cvt_f16_f32_e32 v7, v6
	global_store_b16 v0, v7, s[2:3] scale_offset
.LBB181_15:
	s_wait_xcnt 0x0
	s_or_b32 exec_lo, exec_lo, s0
	v_cmp_gt_u32_e64 s0, 16, v0
	s_and_b32 exec_lo, exec_lo, s0
	s_cbranch_execz .LBB181_20
; %bb.16:
	s_and_saveexec_b32 s0, vcc_lo
; %bb.17:
	v_dual_lshlrev_b32 v6, 2, v0 :: v_dual_lshlrev_b32 v1, 2, v1
	s_delay_alu instid0(VALU_DEP_1)
	v_add3_u32 v1, 0, v6, v1
	ds_load_b32 v6, v1 offset:64
; %bb.18:
	s_or_b32 exec_lo, exec_lo, s0
	s_wait_dscnt 0x0
	ds_bpermute_b32 v1, v2, v6
	s_wait_dscnt 0x0
	v_add_f32_e32 v1, v6, v1
	ds_bpermute_b32 v2, v3, v1
	s_wait_dscnt 0x0
	v_add_f32_e32 v1, v1, v2
	;; [unrolled: 3-line block ×3, first 2 shown]
	ds_bpermute_b32 v2, v5, v1
	s_and_saveexec_b32 s0, s1
	s_delay_alu instid0(SALU_CYCLE_1)
	s_xor_b32 s0, exec_lo, s0
	s_cbranch_execz .LBB181_20
; %bb.19:
	s_wait_dscnt 0x0
	v_add_f32_e32 v1, v1, v2
	s_delay_alu instid0(VALU_DEP_1)
	v_cvt_f16_f32_e32 v1, v1
	global_store_b16 v0, v1, s[2:3] offset:32 scale_offset
.LBB181_20:
	s_endpgm
	.section	.rodata,"a",@progbits
	.p2align	6, 0x0
	.amdhsa_kernel _ZN2at6native12_GLOBAL__N_135GammaBetaBackwardCUDAKernelTemplateIN3c104HalfEfLj32ELj16ELj128ELb0ELb1ELb1EEEvllPKT_S7_PKT0_SA_PS5_SB_
		.amdhsa_group_segment_fixed_size 0
		.amdhsa_private_segment_fixed_size 0
		.amdhsa_kernarg_size 320
		.amdhsa_user_sgpr_count 2
		.amdhsa_user_sgpr_dispatch_ptr 0
		.amdhsa_user_sgpr_queue_ptr 0
		.amdhsa_user_sgpr_kernarg_segment_ptr 1
		.amdhsa_user_sgpr_dispatch_id 0
		.amdhsa_user_sgpr_kernarg_preload_length 0
		.amdhsa_user_sgpr_kernarg_preload_offset 0
		.amdhsa_user_sgpr_private_segment_size 0
		.amdhsa_wavefront_size32 1
		.amdhsa_uses_dynamic_stack 0
		.amdhsa_enable_private_segment 0
		.amdhsa_system_sgpr_workgroup_id_x 1
		.amdhsa_system_sgpr_workgroup_id_y 1
		.amdhsa_system_sgpr_workgroup_id_z 0
		.amdhsa_system_sgpr_workgroup_info 0
		.amdhsa_system_vgpr_workitem_id 1
		.amdhsa_next_free_vgpr 43
		.amdhsa_next_free_sgpr 22
		.amdhsa_named_barrier_count 0
		.amdhsa_reserve_vcc 1
		.amdhsa_float_round_mode_32 0
		.amdhsa_float_round_mode_16_64 0
		.amdhsa_float_denorm_mode_32 3
		.amdhsa_float_denorm_mode_16_64 3
		.amdhsa_fp16_overflow 0
		.amdhsa_memory_ordered 1
		.amdhsa_forward_progress 1
		.amdhsa_inst_pref_size 14
		.amdhsa_round_robin_scheduling 0
		.amdhsa_exception_fp_ieee_invalid_op 0
		.amdhsa_exception_fp_denorm_src 0
		.amdhsa_exception_fp_ieee_div_zero 0
		.amdhsa_exception_fp_ieee_overflow 0
		.amdhsa_exception_fp_ieee_underflow 0
		.amdhsa_exception_fp_ieee_inexact 0
		.amdhsa_exception_int_div_zero 0
	.end_amdhsa_kernel
	.section	.text._ZN2at6native12_GLOBAL__N_135GammaBetaBackwardCUDAKernelTemplateIN3c104HalfEfLj32ELj16ELj128ELb0ELb1ELb1EEEvllPKT_S7_PKT0_SA_PS5_SB_,"axG",@progbits,_ZN2at6native12_GLOBAL__N_135GammaBetaBackwardCUDAKernelTemplateIN3c104HalfEfLj32ELj16ELj128ELb0ELb1ELb1EEEvllPKT_S7_PKT0_SA_PS5_SB_,comdat
.Lfunc_end181:
	.size	_ZN2at6native12_GLOBAL__N_135GammaBetaBackwardCUDAKernelTemplateIN3c104HalfEfLj32ELj16ELj128ELb0ELb1ELb1EEEvllPKT_S7_PKT0_SA_PS5_SB_, .Lfunc_end181-_ZN2at6native12_GLOBAL__N_135GammaBetaBackwardCUDAKernelTemplateIN3c104HalfEfLj32ELj16ELj128ELb0ELb1ELb1EEEvllPKT_S7_PKT0_SA_PS5_SB_
                                        ; -- End function
	.set _ZN2at6native12_GLOBAL__N_135GammaBetaBackwardCUDAKernelTemplateIN3c104HalfEfLj32ELj16ELj128ELb0ELb1ELb1EEEvllPKT_S7_PKT0_SA_PS5_SB_.num_vgpr, 43
	.set _ZN2at6native12_GLOBAL__N_135GammaBetaBackwardCUDAKernelTemplateIN3c104HalfEfLj32ELj16ELj128ELb0ELb1ELb1EEEvllPKT_S7_PKT0_SA_PS5_SB_.num_agpr, 0
	.set _ZN2at6native12_GLOBAL__N_135GammaBetaBackwardCUDAKernelTemplateIN3c104HalfEfLj32ELj16ELj128ELb0ELb1ELb1EEEvllPKT_S7_PKT0_SA_PS5_SB_.numbered_sgpr, 22
	.set _ZN2at6native12_GLOBAL__N_135GammaBetaBackwardCUDAKernelTemplateIN3c104HalfEfLj32ELj16ELj128ELb0ELb1ELb1EEEvllPKT_S7_PKT0_SA_PS5_SB_.num_named_barrier, 0
	.set _ZN2at6native12_GLOBAL__N_135GammaBetaBackwardCUDAKernelTemplateIN3c104HalfEfLj32ELj16ELj128ELb0ELb1ELb1EEEvllPKT_S7_PKT0_SA_PS5_SB_.private_seg_size, 0
	.set _ZN2at6native12_GLOBAL__N_135GammaBetaBackwardCUDAKernelTemplateIN3c104HalfEfLj32ELj16ELj128ELb0ELb1ELb1EEEvllPKT_S7_PKT0_SA_PS5_SB_.uses_vcc, 1
	.set _ZN2at6native12_GLOBAL__N_135GammaBetaBackwardCUDAKernelTemplateIN3c104HalfEfLj32ELj16ELj128ELb0ELb1ELb1EEEvllPKT_S7_PKT0_SA_PS5_SB_.uses_flat_scratch, 0
	.set _ZN2at6native12_GLOBAL__N_135GammaBetaBackwardCUDAKernelTemplateIN3c104HalfEfLj32ELj16ELj128ELb0ELb1ELb1EEEvllPKT_S7_PKT0_SA_PS5_SB_.has_dyn_sized_stack, 0
	.set _ZN2at6native12_GLOBAL__N_135GammaBetaBackwardCUDAKernelTemplateIN3c104HalfEfLj32ELj16ELj128ELb0ELb1ELb1EEEvllPKT_S7_PKT0_SA_PS5_SB_.has_recursion, 0
	.set _ZN2at6native12_GLOBAL__N_135GammaBetaBackwardCUDAKernelTemplateIN3c104HalfEfLj32ELj16ELj128ELb0ELb1ELb1EEEvllPKT_S7_PKT0_SA_PS5_SB_.has_indirect_call, 0
	.section	.AMDGPU.csdata,"",@progbits
; Kernel info:
; codeLenInByte = 1712
; TotalNumSgprs: 24
; NumVgprs: 43
; ScratchSize: 0
; MemoryBound: 0
; FloatMode: 240
; IeeeMode: 1
; LDSByteSize: 0 bytes/workgroup (compile time only)
; SGPRBlocks: 0
; VGPRBlocks: 2
; NumSGPRsForWavesPerEU: 24
; NumVGPRsForWavesPerEU: 43
; NamedBarCnt: 0
; Occupancy: 16
; WaveLimiterHint : 0
; COMPUTE_PGM_RSRC2:SCRATCH_EN: 0
; COMPUTE_PGM_RSRC2:USER_SGPR: 2
; COMPUTE_PGM_RSRC2:TRAP_HANDLER: 0
; COMPUTE_PGM_RSRC2:TGID_X_EN: 1
; COMPUTE_PGM_RSRC2:TGID_Y_EN: 1
; COMPUTE_PGM_RSRC2:TGID_Z_EN: 0
; COMPUTE_PGM_RSRC2:TIDIG_COMP_CNT: 1
	.section	.text._ZN2at6native12_GLOBAL__N_135GammaBetaBackwardCUDAKernelTemplateIN3c104HalfEfLj32ELj16ELj128ELb0ELb0ELb1EEEvllPKT_S7_PKT0_SA_PS5_SB_,"axG",@progbits,_ZN2at6native12_GLOBAL__N_135GammaBetaBackwardCUDAKernelTemplateIN3c104HalfEfLj32ELj16ELj128ELb0ELb0ELb1EEEvllPKT_S7_PKT0_SA_PS5_SB_,comdat
	.globl	_ZN2at6native12_GLOBAL__N_135GammaBetaBackwardCUDAKernelTemplateIN3c104HalfEfLj32ELj16ELj128ELb0ELb0ELb1EEEvllPKT_S7_PKT0_SA_PS5_SB_ ; -- Begin function _ZN2at6native12_GLOBAL__N_135GammaBetaBackwardCUDAKernelTemplateIN3c104HalfEfLj32ELj16ELj128ELb0ELb0ELb1EEEvllPKT_S7_PKT0_SA_PS5_SB_
	.p2align	8
	.type	_ZN2at6native12_GLOBAL__N_135GammaBetaBackwardCUDAKernelTemplateIN3c104HalfEfLj32ELj16ELj128ELb0ELb0ELb1EEEvllPKT_S7_PKT0_SA_PS5_SB_,@function
_ZN2at6native12_GLOBAL__N_135GammaBetaBackwardCUDAKernelTemplateIN3c104HalfEfLj32ELj16ELj128ELb0ELb0ELb1EEEvllPKT_S7_PKT0_SA_PS5_SB_: ; @_ZN2at6native12_GLOBAL__N_135GammaBetaBackwardCUDAKernelTemplateIN3c104HalfEfLj32ELj16ELj128ELb0ELb0ELb1EEEvllPKT_S7_PKT0_SA_PS5_SB_
; %bb.0:
	s_load_b256 s[4:11], s[0:1], 0x0
	s_bfe_u32 s3, ttmp6, 0x4000c
	s_bfe_u32 s12, ttmp6, 0x40010
	s_add_co_i32 s3, s3, 1
	s_add_co_i32 s12, s12, 1
	s_and_b32 s2, ttmp6, 15
	s_bfe_u32 s13, ttmp6, 0x40004
	s_mul_i32 s3, ttmp9, s3
	s_mul_i32 s12, ttmp7, s12
	s_getreg_b32 s14, hwreg(HW_REG_IB_STS2, 6, 4)
	s_add_co_i32 s2, s2, s3
	s_add_co_i32 s13, s13, s12
	s_cmp_eq_u32 s14, 0
	s_mov_b32 s17, 0
	s_cselect_b32 s12, ttmp9, s2
	s_cselect_b32 s2, ttmp7, s13
	s_lshl_b32 s3, s12, 5
	s_load_b64 s[14:15], s[0:1], 0x28
	s_or_b32 s16, s3, 31
	s_wait_kmcnt 0x0
	v_cmp_le_i64_e64 s18, s[6:7], s[16:17]
	s_lshl_b32 s16, s2, 7
	s_delay_alu instid0(SALU_CYCLE_1) | instskip(SKIP_2) | instid1(VALU_DEP_1)
	v_cmp_gt_i64_e64 s13, s[4:5], s[16:17]
	s_and_b32 vcc_lo, exec_lo, s18
	v_cndmask_b32_e64 v1, 0, 1, s13
	v_cmp_ne_u32_e64 s2, 1, v1
	s_cbranch_vccz .LBB182_49
; %bb.1:
	v_mov_b32_e32 v3, 0
	s_and_b32 vcc_lo, exec_lo, s2
	s_cbranch_vccnz .LBB182_50
; %bb.2:
	v_bfe_u32 v1, v0, 10, 10
	v_mov_b32_e32 v2, 0
	v_and_b32_e32 v58, 0x3ff, v0
	s_load_b32 s18, s[0:1], 0x44
	s_mov_b32 s19, 0
	s_delay_alu instid0(VALU_DEP_2) | instskip(NEXT) | instid1(VALU_DEP_2)
	v_dual_mov_b32 v21, v2 :: v_dual_lshlrev_b32 v20, 3, v1
	v_dual_mov_b32 v19, v2 :: v_dual_add_nc_u32 v18, s3, v58
	v_mov_b32_e32 v59, 0
	s_mov_b32 s35, s19
	s_delay_alu instid0(VALU_DEP_3)
	v_add_nc_u64_e32 v[4:5], s[16:17], v[20:21]
	s_add_nc_u64 s[20:21], s[0:1], 64
	v_cmp_gt_i64_e64 s2, s[6:7], v[18:19]
	v_lshlrev_b64_e32 v[22:23], 1, v[18:19]
	s_mov_b64 s[22:23], 0xffffffffffffff81
	s_mov_b64 s[24:25], 0xffffffffffffff82
	;; [unrolled: 1-line block ×3, first 2 shown]
	v_mul_u64_e32 v[6:7], s[6:7], v[4:5]
	v_add_nc_u64_e32 v[8:9], 7, v[4:5]
	v_add_nc_u64_e32 v[10:11], 6, v[4:5]
	;; [unrolled: 1-line block ×6, first 2 shown]
	s_wait_kmcnt 0x0
	s_lshl_b32 s34, s18, 7
	v_mul_u64_e32 v[8:9], s[6:7], v[8:9]
	v_mul_u64_e32 v[10:11], s[6:7], v[10:11]
	;; [unrolled: 1-line block ×6, first 2 shown]
	s_mul_u64 s[42:43], s[6:7], s[34:35]
	s_mov_b64 s[28:29], 0xffffffffffffff84
	s_mov_b64 s[30:31], 0xffffffffffffff85
	;; [unrolled: 1-line block ×5, first 2 shown]
	s_lshl_b64 s[42:43], s[42:43], 1
	s_add_nc_u64 s[44:45], s[16:17], 0x7f
	s_mov_b64 s[46:47], s[16:17]
	v_lshlrev_b64_e32 v[26:27], 1, v[6:7]
	v_add_nc_u64_e32 v[6:7], s[6:7], v[6:7]
	s_delay_alu instid0(VALU_DEP_2)
	v_add_nc_u64_e32 v[24:25], s[8:9], v[26:27]
	v_lshlrev_b64_e32 v[8:9], 1, v[8:9]
	v_lshlrev_b64_e32 v[10:11], 1, v[10:11]
	;; [unrolled: 1-line block ×7, first 2 shown]
	v_add_nc_u64_e32 v[26:27], s[10:11], v[26:27]
	v_add_nc_u64_e32 v[28:29], s[8:9], v[8:9]
	;; [unrolled: 1-line block ×15, first 2 shown]
.LBB182_3:                              ; =>This Inner Loop Header: Depth=1
	v_cmp_ge_i64_e64 s18, s[44:45], s[4:5]
	v_add_nc_u64_e32 v[56:57], s[44:45], v[20:21]
                                        ; implicit-def: $vgpr4_vgpr5_vgpr6_vgpr7_vgpr8_vgpr9_vgpr10_vgpr11
                                        ; implicit-def: $vgpr3
                                        ; implicit-def: $vgpr12_vgpr13_vgpr14_vgpr15_vgpr16_vgpr17_vgpr18_vgpr19
                                        ; implicit-def: $vgpr4
	s_and_b32 vcc_lo, exec_lo, s18
	s_mov_b32 s18, -1
	s_cbranch_vccz .LBB182_25
; %bb.4:                                ;   in Loop: Header=BB182_3 Depth=1
	s_load_b32 s18, s[20:21], 0xc
	v_mov_b32_e32 v60, 0
	s_wait_kmcnt 0x0
	s_and_b32 s18, s18, 0xffff
	s_delay_alu instid0(SALU_CYCLE_1) | instskip(SKIP_1) | instid1(VALU_DEP_1)
	v_mad_u32_u24 v3, v1, s18, v58
	s_mov_b32 s18, exec_lo
	v_and_b32_e32 v4, 31, v3
	s_delay_alu instid0(VALU_DEP_1)
	v_cmpx_gt_u32_e32 8, v4
	s_cbranch_execz .LBB182_8
; %bb.5:                                ;   in Loop: Header=BB182_3 Depth=1
	v_dual_mov_b32 v5, v2 :: v_dual_mov_b32 v60, 0
	s_mov_b32 s33, exec_lo
	s_delay_alu instid0(VALU_DEP_1) | instskip(NEXT) | instid1(VALU_DEP_1)
	v_add_nc_u64_e32 v[4:5], v[56:57], v[4:5]
	v_add_nc_u64_e32 v[4:5], s[22:23], v[4:5]
	s_delay_alu instid0(VALU_DEP_1)
	v_cmpx_gt_i64_e64 s[4:5], v[4:5]
	s_cbranch_execz .LBB182_7
; %bb.6:                                ;   in Loop: Header=BB182_3 Depth=1
	v_lshl_add_u64 v[4:5], v[4:5], 2, s[14:15]
	global_load_b32 v60, v[4:5], off
.LBB182_7:                              ;   in Loop: Header=BB182_3 Depth=1
	s_wait_xcnt 0x0
	s_or_b32 exec_lo, exec_lo, s33
.LBB182_8:                              ;   in Loop: Header=BB182_3 Depth=1
	s_delay_alu instid0(SALU_CYCLE_1)
	s_or_b32 exec_lo, exec_lo, s18
	v_add_nc_u64_e32 v[10:11], s[22:23], v[56:57]
	v_dual_mov_b32 v7, v2 :: v_dual_mov_b32 v8, v2
	v_dual_mov_b32 v9, v2 :: v_dual_mov_b32 v3, v2
	;; [unrolled: 1-line block ×3, first 2 shown]
	v_mov_b32_e32 v6, v2
	v_cmp_gt_i64_e32 vcc_lo, s[4:5], v[10:11]
	s_delay_alu instid0(VALU_DEP_4)
	v_mov_b64_e32 v[18:19], v[8:9]
	v_mov_b64_e32 v[12:13], v[2:3]
	;; [unrolled: 1-line block ×8, first 2 shown]
	s_and_b32 s33, s2, vcc_lo
	s_delay_alu instid0(SALU_CYCLE_1)
	s_and_saveexec_b32 s18, s33
	s_cbranch_execz .LBB182_10
; %bb.9:                                ;   in Loop: Header=BB182_3 Depth=1
	v_add_nc_u64_e32 v[4:5], v[24:25], v[22:23]
	v_add_nc_u64_e32 v[6:7], v[26:27], v[22:23]
	v_dual_mov_b32 v9, v2 :: v_dual_mov_b32 v10, v2
	v_dual_mov_b32 v11, v2 :: v_dual_mov_b32 v13, v2
	;; [unrolled: 1-line block ×3, first 2 shown]
	global_load_u16 v3, v[4:5], off
	global_load_u16 v12, v[6:7], off
	s_wait_xcnt 0x0
	v_dual_mov_b32 v5, v2 :: v_dual_mov_b32 v6, v2
	v_dual_mov_b32 v7, v2 :: v_dual_mov_b32 v8, v2
	;; [unrolled: 1-line block ×4, first 2 shown]
	s_wait_loadcnt 0x1
	v_cvt_f32_f16_e32 v4, v3
	s_wait_loadcnt 0x0
	v_cvt_f32_f16_e32 v12, v12
.LBB182_10:                             ;   in Loop: Header=BB182_3 Depth=1
	s_or_b32 exec_lo, exec_lo, s18
	v_add_nc_u64_e32 v[62:63], s[24:25], v[56:57]
	s_delay_alu instid0(VALU_DEP_1) | instskip(SKIP_1) | instid1(SALU_CYCLE_1)
	v_cmp_gt_i64_e32 vcc_lo, s[4:5], v[62:63]
	s_and_b32 s33, s2, vcc_lo
	s_and_saveexec_b32 s18, s33
	s_cbranch_execz .LBB182_12
; %bb.11:                               ;   in Loop: Header=BB182_3 Depth=1
	v_add_nc_u64_e32 v[62:63], v[52:53], v[22:23]
	v_add_nc_u64_e32 v[64:65], v[54:55], v[22:23]
	global_load_u16 v3, v[62:63], off
	global_load_u16 v13, v[64:65], off
	s_wait_loadcnt 0x1
	v_cvt_f32_f16_e32 v5, v3
	s_wait_loadcnt 0x0
	v_cvt_f32_f16_e32 v13, v13
.LBB182_12:                             ;   in Loop: Header=BB182_3 Depth=1
	s_or_b32 exec_lo, exec_lo, s18
	v_add_nc_u64_e32 v[62:63], s[26:27], v[56:57]
	s_delay_alu instid0(VALU_DEP_1) | instskip(SKIP_1) | instid1(SALU_CYCLE_1)
	v_cmp_gt_i64_e32 vcc_lo, s[4:5], v[62:63]
	s_and_b32 s33, s2, vcc_lo
	s_and_saveexec_b32 s18, s33
	s_cbranch_execz .LBB182_14
; %bb.13:                               ;   in Loop: Header=BB182_3 Depth=1
	v_add_nc_u64_e32 v[62:63], v[48:49], v[22:23]
	v_add_nc_u64_e32 v[64:65], v[50:51], v[22:23]
	global_load_u16 v3, v[62:63], off
	global_load_u16 v14, v[64:65], off
	s_wait_loadcnt 0x1
	v_cvt_f32_f16_e32 v6, v3
	s_wait_loadcnt 0x0
	v_cvt_f32_f16_e32 v14, v14
.LBB182_14:                             ;   in Loop: Header=BB182_3 Depth=1
	;; [unrolled: 17-line block ×7, first 2 shown]
	s_or_b32 exec_lo, exec_lo, s18
	s_wait_loadcnt 0x0
	ds_bpermute_b32 v3, v2, v60
	ds_bpermute_b32 v62, v2, v60 offset:4
	ds_bpermute_b32 v63, v2, v60 offset:8
	;; [unrolled: 1-line block ×4, first 2 shown]
	v_pk_mul_f32 v[6:7], v[14:15], v[6:7]
	v_dual_mul_f32 v14, v12, v4 :: v_dual_mul_f32 v4, v13, v5
	v_pk_mul_f32 v[8:9], v[16:17], v[8:9]
	ds_bpermute_b32 v12, v2, v60 offset:20
	v_dual_mov_b32 v5, v6 :: v_dual_mov_b32 v6, v7
	ds_bpermute_b32 v13, v2, v60 offset:24
	s_mov_b32 s18, 0
	v_dual_mov_b32 v7, v8 :: v_dual_mul_f32 v15, v18, v10
	s_wait_dscnt 0x6
	v_dual_fma_f32 v3, v14, v3, v59 :: v_dual_mov_b32 v14, v9
	s_wait_dscnt 0x4
	v_pk_mul_f32 v[4:5], v[4:5], v[62:63]
	s_wait_dscnt 0x2
	v_pk_mul_f32 v[6:7], v[6:7], v[64:65]
	s_delay_alu instid0(VALU_DEP_2) | instskip(SKIP_2) | instid1(VALU_DEP_1)
	v_add_f32_e32 v3, v3, v4
	ds_bpermute_b32 v4, v2, v60 offset:28
	v_add_f32_e32 v3, v3, v5
	v_add_f32_e32 v3, v3, v6
	s_delay_alu instid0(VALU_DEP_1) | instskip(SKIP_2) | instid1(VALU_DEP_1)
	v_add_f32_e32 v3, v3, v7
	s_wait_dscnt 0x1
	v_pk_mul_f32 v[6:7], v[14:15], v[12:13]
	v_add_f32_e32 v3, v3, v6
	s_delay_alu instid0(VALU_DEP_1)
	v_add_f32_e32 v3, v3, v7
.LBB182_25:                             ;   in Loop: Header=BB182_3 Depth=1
	s_and_b32 vcc_lo, exec_lo, s18
	s_cbranch_vccz .LBB182_40
; %bb.26:                               ;   in Loop: Header=BB182_3 Depth=1
	s_load_b32 s18, s[20:21], 0x0
	v_mov_b32_e32 v60, 0
	s_wait_kmcnt 0x0
	s_cmp_lt_u32 s12, s18
	s_cselect_b32 s18, 12, 18
	s_delay_alu instid0(SALU_CYCLE_1)
	s_add_nc_u64 s[48:49], s[20:21], s[18:19]
	s_load_u16 s18, s[48:49], 0x0
	s_wait_kmcnt 0x0
	v_mad_u32_u24 v3, v1, s18, v58
	s_mov_b32 s18, exec_lo
	s_wait_dscnt 0x0
	s_delay_alu instid0(VALU_DEP_1) | instskip(NEXT) | instid1(VALU_DEP_1)
	v_and_b32_e32 v4, 31, v3
	v_cmpx_gt_u32_e32 8, v4
	s_cbranch_execz .LBB182_30
; %bb.27:                               ;   in Loop: Header=BB182_3 Depth=1
	v_dual_mov_b32 v5, v2 :: v_dual_mov_b32 v60, 0
	s_mov_b32 s33, exec_lo
	s_delay_alu instid0(VALU_DEP_1) | instskip(NEXT) | instid1(VALU_DEP_1)
	v_add_nc_u64_e32 v[4:5], v[56:57], v[4:5]
	v_add_nc_u64_e32 v[4:5], s[22:23], v[4:5]
	s_delay_alu instid0(VALU_DEP_1)
	v_cmpx_gt_i64_e64 s[4:5], v[4:5]
	s_cbranch_execz .LBB182_29
; %bb.28:                               ;   in Loop: Header=BB182_3 Depth=1
	v_lshl_add_u64 v[4:5], v[4:5], 2, s[14:15]
	global_load_b32 v60, v[4:5], off
.LBB182_29:                             ;   in Loop: Header=BB182_3 Depth=1
	s_wait_xcnt 0x0
	s_or_b32 exec_lo, exec_lo, s33
.LBB182_30:                             ;   in Loop: Header=BB182_3 Depth=1
	s_delay_alu instid0(SALU_CYCLE_1) | instskip(SKIP_4) | instid1(VALU_DEP_3)
	s_or_b32 exec_lo, exec_lo, s18
	v_dual_mov_b32 v7, v2 :: v_dual_mov_b32 v8, v2
	v_dual_mov_b32 v9, v2 :: v_dual_mov_b32 v3, v2
	;; [unrolled: 1-line block ×3, first 2 shown]
	v_mov_b32_e32 v6, v2
	v_mov_b64_e32 v[18:19], v[8:9]
	s_delay_alu instid0(VALU_DEP_4) | instskip(NEXT) | instid1(VALU_DEP_4)
	v_mov_b64_e32 v[12:13], v[2:3]
	v_mov_b64_e32 v[14:15], v[4:5]
	s_delay_alu instid0(VALU_DEP_4)
	v_mov_b64_e32 v[16:17], v[6:7]
	v_mov_b64_e32 v[10:11], v[8:9]
	;; [unrolled: 1-line block ×5, first 2 shown]
	s_and_saveexec_b32 s18, s2
	s_cbranch_execnz .LBB182_42
; %bb.31:                               ;   in Loop: Header=BB182_3 Depth=1
	s_or_b32 exec_lo, exec_lo, s18
	s_and_saveexec_b32 s18, s2
	s_cbranch_execnz .LBB182_43
.LBB182_32:                             ;   in Loop: Header=BB182_3 Depth=1
	s_or_b32 exec_lo, exec_lo, s18
	s_and_saveexec_b32 s18, s2
	s_cbranch_execnz .LBB182_44
.LBB182_33:                             ;   in Loop: Header=BB182_3 Depth=1
	s_or_b32 exec_lo, exec_lo, s18
	s_and_saveexec_b32 s18, s2
	s_cbranch_execnz .LBB182_45
.LBB182_34:                             ;   in Loop: Header=BB182_3 Depth=1
	s_or_b32 exec_lo, exec_lo, s18
	s_and_saveexec_b32 s18, s2
	s_cbranch_execnz .LBB182_46
.LBB182_35:                             ;   in Loop: Header=BB182_3 Depth=1
	s_or_b32 exec_lo, exec_lo, s18
	s_and_saveexec_b32 s18, s2
	s_cbranch_execnz .LBB182_47
.LBB182_36:                             ;   in Loop: Header=BB182_3 Depth=1
	s_or_b32 exec_lo, exec_lo, s18
	s_and_saveexec_b32 s18, s2
	s_cbranch_execnz .LBB182_48
.LBB182_37:                             ;   in Loop: Header=BB182_3 Depth=1
	s_or_b32 exec_lo, exec_lo, s18
	s_and_saveexec_b32 s18, s2
	s_cbranch_execz .LBB182_39
.LBB182_38:                             ;   in Loop: Header=BB182_3 Depth=1
	v_add_nc_u64_e32 v[56:57], v[28:29], v[22:23]
	v_add_nc_u64_e32 v[62:63], v[30:31], v[22:23]
	global_load_u16 v3, v[56:57], off
	global_load_u16 v19, v[62:63], off
	s_wait_loadcnt 0x1
	v_cvt_f32_f16_e32 v11, v3
	s_wait_loadcnt 0x0
	v_cvt_f32_f16_e32 v19, v19
.LBB182_39:                             ;   in Loop: Header=BB182_3 Depth=1
	s_or_b32 exec_lo, exec_lo, s18
	s_wait_loadcnt 0x0
	ds_bpermute_b32 v3, v2, v60
	ds_bpermute_b32 v56, v2, v60 offset:4
	ds_bpermute_b32 v57, v2, v60 offset:8
	;; [unrolled: 1-line block ×4, first 2 shown]
	v_pk_mul_f32 v[6:7], v[14:15], v[6:7]
	v_dual_mul_f32 v14, v12, v4 :: v_dual_mul_f32 v4, v13, v5
	v_pk_mul_f32 v[8:9], v[16:17], v[8:9]
	ds_bpermute_b32 v12, v2, v60 offset:20
	v_dual_mov_b32 v5, v6 :: v_dual_mov_b32 v6, v7
	ds_bpermute_b32 v13, v2, v60 offset:24
	v_dual_mov_b32 v7, v8 :: v_dual_mul_f32 v15, v18, v10
	s_wait_dscnt 0x6
	v_dual_fmac_f32 v59, v14, v3 :: v_dual_mov_b32 v14, v9
	s_wait_dscnt 0x4
	v_pk_mul_f32 v[4:5], v[4:5], v[56:57]
	s_wait_dscnt 0x2
	v_pk_mul_f32 v[6:7], v[6:7], v[62:63]
	s_delay_alu instid0(VALU_DEP_2) | instskip(SKIP_2) | instid1(VALU_DEP_1)
	v_add_f32_e32 v3, v59, v4
	ds_bpermute_b32 v4, v2, v60 offset:28
	v_add_f32_e32 v3, v3, v5
	v_add_f32_e32 v3, v3, v6
	s_delay_alu instid0(VALU_DEP_1) | instskip(SKIP_2) | instid1(VALU_DEP_1)
	v_add_f32_e32 v3, v3, v7
	s_wait_dscnt 0x1
	v_pk_mul_f32 v[6:7], v[14:15], v[12:13]
	v_add_f32_e32 v3, v3, v6
	s_delay_alu instid0(VALU_DEP_1)
	v_add_f32_e32 v3, v3, v7
.LBB182_40:                             ;   in Loop: Header=BB182_3 Depth=1
	s_add_nc_u64 s[46:47], s[46:47], s[34:35]
	v_mul_f32_e32 v5, v11, v19
	v_cmp_lt_i64_e64 s18, s[46:47], s[4:5]
	v_add_nc_u64_e32 v[24:25], s[42:43], v[24:25]
	v_add_nc_u64_e32 v[26:27], s[42:43], v[26:27]
	v_add_nc_u64_e32 v[28:29], s[42:43], v[28:29]
	v_add_nc_u64_e32 v[30:31], s[42:43], v[30:31]
	v_add_nc_u64_e32 v[32:33], s[42:43], v[32:33]
	v_add_nc_u64_e32 v[34:35], s[42:43], v[34:35]
	v_add_nc_u64_e32 v[36:37], s[42:43], v[36:37]
	v_add_nc_u64_e32 v[38:39], s[42:43], v[38:39]
	v_add_nc_u64_e32 v[40:41], s[42:43], v[40:41]
	v_add_nc_u64_e32 v[42:43], s[42:43], v[42:43]
	v_add_nc_u64_e32 v[44:45], s[42:43], v[44:45]
	v_add_nc_u64_e32 v[46:47], s[42:43], v[46:47]
	v_add_nc_u64_e32 v[48:49], s[42:43], v[48:49]
	v_add_nc_u64_e32 v[50:51], s[42:43], v[50:51]
	v_add_nc_u64_e32 v[52:53], s[42:43], v[52:53]
	v_add_nc_u64_e32 v[54:55], s[42:43], v[54:55]
	s_wait_dscnt 0x0
	v_fmac_f32_e32 v3, v5, v4
	s_and_b32 vcc_lo, exec_lo, s18
	s_add_nc_u64 s[44:45], s[44:45], s[34:35]
	s_cbranch_vccz .LBB182_50
; %bb.41:                               ;   in Loop: Header=BB182_3 Depth=1
	s_delay_alu instid0(VALU_DEP_1)
	v_mov_b32_e32 v59, v3
	s_branch .LBB182_3
.LBB182_42:                             ;   in Loop: Header=BB182_3 Depth=1
	v_add_nc_u64_e32 v[4:5], v[24:25], v[22:23]
	v_add_nc_u64_e32 v[6:7], v[26:27], v[22:23]
	v_dual_mov_b32 v9, v2 :: v_dual_mov_b32 v10, v2
	v_dual_mov_b32 v11, v2 :: v_dual_mov_b32 v13, v2
	;; [unrolled: 1-line block ×3, first 2 shown]
	global_load_u16 v3, v[4:5], off
	global_load_u16 v12, v[6:7], off
	s_wait_xcnt 0x0
	v_dual_mov_b32 v5, v2 :: v_dual_mov_b32 v6, v2
	v_dual_mov_b32 v7, v2 :: v_dual_mov_b32 v8, v2
	;; [unrolled: 1-line block ×4, first 2 shown]
	s_wait_loadcnt 0x1
	v_cvt_f32_f16_e32 v4, v3
	s_wait_loadcnt 0x0
	v_cvt_f32_f16_e32 v12, v12
	s_or_b32 exec_lo, exec_lo, s18
	s_and_saveexec_b32 s18, s2
	s_cbranch_execz .LBB182_32
.LBB182_43:                             ;   in Loop: Header=BB182_3 Depth=1
	v_add_nc_u64_e32 v[56:57], v[52:53], v[22:23]
	v_add_nc_u64_e32 v[62:63], v[54:55], v[22:23]
	global_load_u16 v3, v[56:57], off
	global_load_u16 v13, v[62:63], off
	s_wait_loadcnt 0x1
	v_cvt_f32_f16_e32 v5, v3
	s_wait_loadcnt 0x0
	v_cvt_f32_f16_e32 v13, v13
	s_or_b32 exec_lo, exec_lo, s18
	s_and_saveexec_b32 s18, s2
	s_cbranch_execz .LBB182_33
.LBB182_44:                             ;   in Loop: Header=BB182_3 Depth=1
	v_add_nc_u64_e32 v[56:57], v[48:49], v[22:23]
	v_add_nc_u64_e32 v[62:63], v[50:51], v[22:23]
	global_load_u16 v3, v[56:57], off
	global_load_u16 v14, v[62:63], off
	s_wait_loadcnt 0x1
	v_cvt_f32_f16_e32 v6, v3
	s_wait_loadcnt 0x0
	v_cvt_f32_f16_e32 v14, v14
	s_or_b32 exec_lo, exec_lo, s18
	s_and_saveexec_b32 s18, s2
	s_cbranch_execz .LBB182_34
.LBB182_45:                             ;   in Loop: Header=BB182_3 Depth=1
	v_add_nc_u64_e32 v[56:57], v[44:45], v[22:23]
	v_add_nc_u64_e32 v[62:63], v[46:47], v[22:23]
	global_load_u16 v3, v[56:57], off
	global_load_u16 v15, v[62:63], off
	s_wait_loadcnt 0x1
	v_cvt_f32_f16_e32 v7, v3
	s_wait_loadcnt 0x0
	v_cvt_f32_f16_e32 v15, v15
	s_or_b32 exec_lo, exec_lo, s18
	s_and_saveexec_b32 s18, s2
	s_cbranch_execz .LBB182_35
.LBB182_46:                             ;   in Loop: Header=BB182_3 Depth=1
	v_add_nc_u64_e32 v[56:57], v[40:41], v[22:23]
	v_add_nc_u64_e32 v[62:63], v[42:43], v[22:23]
	global_load_u16 v3, v[56:57], off
	global_load_u16 v16, v[62:63], off
	s_wait_loadcnt 0x1
	v_cvt_f32_f16_e32 v8, v3
	s_wait_loadcnt 0x0
	v_cvt_f32_f16_e32 v16, v16
	s_or_b32 exec_lo, exec_lo, s18
	s_and_saveexec_b32 s18, s2
	s_cbranch_execz .LBB182_36
.LBB182_47:                             ;   in Loop: Header=BB182_3 Depth=1
	v_add_nc_u64_e32 v[56:57], v[36:37], v[22:23]
	v_add_nc_u64_e32 v[62:63], v[38:39], v[22:23]
	global_load_u16 v3, v[56:57], off
	global_load_u16 v17, v[62:63], off
	s_wait_loadcnt 0x1
	v_cvt_f32_f16_e32 v9, v3
	s_wait_loadcnt 0x0
	v_cvt_f32_f16_e32 v17, v17
	s_or_b32 exec_lo, exec_lo, s18
	s_and_saveexec_b32 s18, s2
	s_cbranch_execz .LBB182_37
.LBB182_48:                             ;   in Loop: Header=BB182_3 Depth=1
	v_add_nc_u64_e32 v[56:57], v[32:33], v[22:23]
	v_add_nc_u64_e32 v[62:63], v[34:35], v[22:23]
	global_load_u16 v3, v[56:57], off
	global_load_u16 v18, v[62:63], off
	s_wait_loadcnt 0x1
	v_cvt_f32_f16_e32 v10, v3
	s_wait_loadcnt 0x0
	v_cvt_f32_f16_e32 v18, v18
	s_or_b32 exec_lo, exec_lo, s18
	s_and_saveexec_b32 s18, s2
	s_cbranch_execnz .LBB182_38
	s_branch .LBB182_39
.LBB182_49:
                                        ; implicit-def: $vgpr3
	s_branch .LBB182_51
.LBB182_50:
	s_cbranch_execnz .LBB182_83
.LBB182_51:
	v_mov_b32_e32 v3, 0
	s_and_not1_b32 vcc_lo, exec_lo, s13
	s_cbranch_vccnz .LBB182_83
; %bb.52:
	v_bfe_u32 v1, v0, 10, 10
	v_mov_b32_e32 v2, 0
	v_and_b32_e32 v86, 0x3ff, v0
	s_load_b32 s2, s[0:1], 0x44
	s_mov_b64 s[20:21], 0xffffffffffffff83
	s_delay_alu instid0(VALU_DEP_2) | instskip(SKIP_3) | instid1(VALU_DEP_2)
	v_dual_mov_b32 v5, v2 :: v_dual_lshlrev_b32 v4, 4, v1
	v_dual_mov_b32 v21, v2 :: v_dual_lshlrev_b32 v20, 3, v1
	s_mov_b64 s[22:23], 0xffffffffffffff84
	s_mov_b64 s[24:25], 0xffffffffffffff85
	v_lshl_add_u64 v[4:5], s[16:17], 1, v[4:5]
	s_mov_b64 s[26:27], 0xffffffffffffff86
	s_mov_b64 s[28:29], 0xffffffffffffff87
	;; [unrolled: 1-line block ×3, first 2 shown]
	s_add_nc_u64 s[34:35], s[0:1], 64
	v_add_nc_u64_e32 v[6:7], 2, v[4:5]
	v_add_nc_u64_e32 v[10:11], 4, v[4:5]
	;; [unrolled: 1-line block ×7, first 2 shown]
	v_mad_nc_u64_u32 v[22:23], s6, v6, s[8:9]
	v_mul_lo_u32 v3, s6, v7
	v_mul_lo_u32 v44, s7, v6
	v_mad_nc_u64_u32 v[24:25], s6, v10, s[8:9]
	v_mul_lo_u32 v46, s6, v11
	v_mul_lo_u32 v47, s7, v10
	;; [unrolled: 3-line block ×3, first 2 shown]
	v_mad_nc_u64_u32 v[32:33], s6, v6, s[10:11]
	v_mad_nc_u64_u32 v[34:35], s6, v10, s[10:11]
	;; [unrolled: 1-line block ×4, first 2 shown]
	v_add3_u32 v23, v44, v23, v3
	v_mul_lo_u32 v53, s7, v18
	v_mad_nc_u64_u32 v[28:29], s6, v14, s[8:9]
	v_add3_u32 v25, v47, v25, v46
	v_mul_lo_u32 v50, s6, v15
	v_mul_lo_u32 v51, s7, v14
	v_add3_u32 v27, v49, v27, v48
	v_add3_u32 v33, v44, v33, v3
	v_mad_nc_u64_u32 v[44:45], s6, v18, s[10:11]
	v_add3_u32 v35, v47, v35, v46
	v_add3_u32 v37, v49, v37, v48
	v_mad_nc_u64_u32 v[46:47], s6, v4, s[8:9]
	v_mul_lo_u32 v18, s7, v4
	v_mad_nc_u64_u32 v[48:49], s6, v4, s[10:11]
	v_add_nc_u32_e32 v4, s3, v86
	v_add_nc_u64_e32 v[8:9], s[16:17], v[20:21]
	v_mad_nc_u64_u32 v[40:41], s6, v14, s[10:11]
	v_mul_lo_u32 v3, s6, v5
	v_dual_mov_b32 v5, v2 :: v_dual_mov_b32 v87, 0
	v_mad_nc_u64_u32 v[30:31], s6, v16, s[8:9]
	v_mul_lo_u32 v17, s6, v17
	v_add_nc_u64_e32 v[6:7], 7, v[8:9]
	v_add_nc_u64_e32 v[10:11], 6, v[8:9]
	;; [unrolled: 1-line block ×3, first 2 shown]
	v_mul_u64_e32 v[60:61], s[6:7], v[8:9]
	v_add_nc_u64_e32 v[42:43], 4, v[8:9]
	v_add_nc_u64_e32 v[14:15], 3, v[8:9]
	;; [unrolled: 1-line block ×3, first 2 shown]
	v_mul_u64_e32 v[6:7], s[6:7], v[6:7]
	v_mul_u64_e32 v[10:11], s[6:7], v[10:11]
	v_mul_u64_e32 v[12:13], s[6:7], v[12:13]
	v_mul_lo_u32 v52, s7, v16
	v_mul_u64_e32 v[62:63], s[6:7], v[42:43]
	v_mul_u64_e32 v[14:15], s[6:7], v[14:15]
	;; [unrolled: 1-line block ×3, first 2 shown]
	v_mad_nc_u64_u32 v[42:43], s6, v16, s[10:11]
	v_add3_u32 v29, v51, v29, v50
	v_add3_u32 v41, v51, v41, v50
	v_lshlrev_b64_e32 v[50:51], 1, v[4:5]
	v_mul_lo_u32 v19, s6, v19
	s_mov_b32 s3, 0
	s_wait_kmcnt 0x0
	s_lshl_b32 s18, s2, 7
	v_add3_u32 v31, v52, v31, v17
	s_mov_b32 s19, s3
	v_add3_u32 v47, v18, v47, v3
	v_add3_u32 v49, v18, v49, v3
	;; [unrolled: 1-line block ×3, first 2 shown]
	s_mul_u64 s[36:37], s[6:7], s[18:19]
	s_add_nc_u64 s[38:39], s[16:17], 0x7f
	s_lshl_b64 s[36:37], s[36:37], 1
	v_add3_u32 v39, v53, v39, v19
	v_add3_u32 v45, v53, v45, v19
	v_lshlrev_b64_e32 v[16:17], 1, v[60:61]
	v_lshlrev_b64_e32 v[6:7], 1, v[6:7]
	;; [unrolled: 1-line block ×3, first 2 shown]
	s_delay_alu instid0(VALU_DEP_3)
	v_add_nc_u64_e32 v[52:53], s[8:9], v[16:17]
	v_lshlrev_b64_e32 v[10:11], 1, v[62:63]
	v_add_nc_u64_e32 v[54:55], s[10:11], v[16:17]
	v_lshlrev_b64_e32 v[8:9], 1, v[8:9]
	v_add_nc_u64_e32 v[56:57], s[8:9], v[6:7]
	v_add_nc_u64_e32 v[58:59], s[10:11], v[6:7]
	v_lshlrev_b64_e32 v[6:7], 1, v[12:13]
	v_add_nc_u64_e32 v[12:13], s[6:7], v[60:61]
	v_add_nc_u64_e32 v[60:61], s[8:9], v[4:5]
	;; [unrolled: 1-line block ×3, first 2 shown]
	v_lshlrev_b64_e32 v[4:5], 1, v[14:15]
	v_add_nc_u64_e32 v[68:69], s[8:9], v[10:11]
	v_add_nc_u64_e32 v[70:71], s[10:11], v[10:11]
	;; [unrolled: 1-line block ×4, first 2 shown]
	v_lshlrev_b64_e32 v[6:7], 1, v[12:13]
	v_add_nc_u64_e32 v[76:77], s[8:9], v[8:9]
	v_add_nc_u64_e32 v[72:73], s[8:9], v[4:5]
	;; [unrolled: 1-line block ×6, first 2 shown]
	s_mov_b64 s[8:9], 0xffffffffffffff81
	s_mov_b64 s[10:11], 0xffffffffffffff82
.LBB182_53:                             ; =>This Inner Loop Header: Depth=1
	v_cmp_ge_i64_e64 s2, s[38:39], s[4:5]
	v_add_nc_u64_e32 v[84:85], s[38:39], v[20:21]
                                        ; implicit-def: $vgpr3
	s_and_b32 vcc_lo, exec_lo, s2
	s_mov_b32 s2, -1
	s_cbranch_vccz .LBB182_75
; %bb.54:                               ;   in Loop: Header=BB182_53 Depth=1
	s_load_b32 s2, s[34:35], 0xc
	v_mov_b32_e32 v88, 0
	s_wait_kmcnt 0x0
	s_and_b32 s2, s2, 0xffff
	s_delay_alu instid0(SALU_CYCLE_1) | instskip(SKIP_1) | instid1(VALU_DEP_1)
	v_mad_u32_u24 v3, v1, s2, v86
	s_mov_b32 s2, exec_lo
	v_and_b32_e32 v4, 31, v3
	s_delay_alu instid0(VALU_DEP_1)
	v_cmpx_gt_u32_e32 8, v4
	s_cbranch_execz .LBB182_58
; %bb.55:                               ;   in Loop: Header=BB182_53 Depth=1
	v_dual_mov_b32 v5, v2 :: v_dual_mov_b32 v88, 0
	s_mov_b32 s13, exec_lo
	s_delay_alu instid0(VALU_DEP_1) | instskip(NEXT) | instid1(VALU_DEP_1)
	v_add_nc_u64_e32 v[4:5], v[84:85], v[4:5]
	v_add_nc_u64_e32 v[4:5], s[8:9], v[4:5]
	s_delay_alu instid0(VALU_DEP_1)
	v_cmpx_gt_i64_e64 s[4:5], v[4:5]
	s_cbranch_execz .LBB182_57
; %bb.56:                               ;   in Loop: Header=BB182_53 Depth=1
	v_lshl_add_u64 v[4:5], v[4:5], 2, s[14:15]
	global_load_b32 v88, v[4:5], off
.LBB182_57:                             ;   in Loop: Header=BB182_53 Depth=1
	s_wait_xcnt 0x0
	s_or_b32 exec_lo, exec_lo, s13
.LBB182_58:                             ;   in Loop: Header=BB182_53 Depth=1
	s_delay_alu instid0(SALU_CYCLE_1)
	s_or_b32 exec_lo, exec_lo, s2
	v_add_nc_u64_e32 v[10:11], s[8:9], v[84:85]
	v_dual_mov_b32 v7, v2 :: v_dual_mov_b32 v8, v2
	v_dual_mov_b32 v9, v2 :: v_dual_mov_b32 v3, v2
	v_dual_mov_b32 v4, v2 :: v_dual_mov_b32 v5, v2
	v_mov_b32_e32 v6, v2
	s_delay_alu instid0(VALU_DEP_3)
	v_mov_b64_e32 v[18:19], v[8:9]
	v_cmp_gt_i64_e32 vcc_lo, s[4:5], v[10:11]
	v_mov_b64_e32 v[12:13], v[2:3]
	v_mov_b64_e32 v[14:15], v[4:5]
	;; [unrolled: 1-line block ×7, first 2 shown]
	s_and_saveexec_b32 s2, vcc_lo
	s_cbranch_execz .LBB182_60
; %bb.59:                               ;   in Loop: Header=BB182_53 Depth=1
	v_add_nc_u64_e32 v[4:5], v[52:53], v[50:51]
	v_add_nc_u64_e32 v[6:7], v[54:55], v[50:51]
	v_dual_mov_b32 v9, v2 :: v_dual_mov_b32 v10, v2
	v_dual_mov_b32 v11, v2 :: v_dual_mov_b32 v13, v2
	;; [unrolled: 1-line block ×3, first 2 shown]
	global_load_u16 v3, v[4:5], off
	global_load_u16 v12, v[6:7], off
	s_wait_xcnt 0x0
	v_dual_mov_b32 v5, v2 :: v_dual_mov_b32 v6, v2
	v_dual_mov_b32 v7, v2 :: v_dual_mov_b32 v8, v2
	;; [unrolled: 1-line block ×4, first 2 shown]
	s_wait_loadcnt 0x1
	v_cvt_f32_f16_e32 v4, v3
	s_wait_loadcnt 0x0
	v_cvt_f32_f16_e32 v12, v12
.LBB182_60:                             ;   in Loop: Header=BB182_53 Depth=1
	s_or_b32 exec_lo, exec_lo, s2
	v_add_nc_u64_e32 v[90:91], s[10:11], v[84:85]
	s_mov_b32 s2, exec_lo
	s_delay_alu instid0(VALU_DEP_1)
	v_cmpx_gt_i64_e64 s[4:5], v[90:91]
	s_cbranch_execz .LBB182_62
; %bb.61:                               ;   in Loop: Header=BB182_53 Depth=1
	v_add_nc_u64_e32 v[90:91], v[80:81], v[50:51]
	v_add_nc_u64_e32 v[92:93], v[82:83], v[50:51]
	global_load_u16 v3, v[90:91], off
	global_load_u16 v13, v[92:93], off
	s_wait_loadcnt 0x1
	v_cvt_f32_f16_e32 v5, v3
	s_wait_loadcnt 0x0
	v_cvt_f32_f16_e32 v13, v13
.LBB182_62:                             ;   in Loop: Header=BB182_53 Depth=1
	s_or_b32 exec_lo, exec_lo, s2
	v_add_nc_u64_e32 v[90:91], s[20:21], v[84:85]
	s_mov_b32 s2, exec_lo
	s_delay_alu instid0(VALU_DEP_1)
	v_cmpx_gt_i64_e64 s[4:5], v[90:91]
	s_cbranch_execz .LBB182_64
; %bb.63:                               ;   in Loop: Header=BB182_53 Depth=1
	v_add_nc_u64_e32 v[90:91], v[76:77], v[50:51]
	v_add_nc_u64_e32 v[92:93], v[78:79], v[50:51]
	global_load_u16 v3, v[90:91], off
	global_load_u16 v14, v[92:93], off
	s_wait_loadcnt 0x1
	v_cvt_f32_f16_e32 v6, v3
	s_wait_loadcnt 0x0
	v_cvt_f32_f16_e32 v14, v14
.LBB182_64:                             ;   in Loop: Header=BB182_53 Depth=1
	;; [unrolled: 16-line block ×7, first 2 shown]
	s_or_b32 exec_lo, exec_lo, s2
	s_wait_loadcnt 0x0
	ds_bpermute_b32 v90, v2, v88
	ds_bpermute_b32 v91, v2, v88 offset:4
	ds_bpermute_b32 v92, v2, v88 offset:8
	;; [unrolled: 1-line block ×3, first 2 shown]
	v_pk_mul_f32 v[4:5], v[12:13], v[4:5]
	ds_bpermute_b32 v12, v2, v88 offset:16
	ds_bpermute_b32 v13, v2, v88 offset:20
	v_pk_mul_f32 v[6:7], v[14:15], v[6:7]
	v_pk_mul_f32 v[8:9], v[16:17], v[8:9]
	s_mov_b32 s2, 0
	s_wait_dscnt 0x4
	v_pk_mul_f32 v[4:5], v[4:5], v[90:91]
	s_wait_dscnt 0x2
	v_pk_mul_f32 v[6:7], v[6:7], v[92:93]
	;; [unrolled: 2-line block ×3, first 2 shown]
	v_add_f32_e32 v3, v87, v4
	ds_bpermute_b32 v4, v2, v88 offset:24
	v_add_f32_e32 v3, v3, v5
	ds_bpermute_b32 v5, v2, v88 offset:28
	v_add_f32_e32 v3, v3, v6
	s_delay_alu instid0(VALU_DEP_1) | instskip(SKIP_1) | instid1(VALU_DEP_2)
	v_add_f32_e32 v3, v3, v7
	v_pk_mul_f32 v[6:7], v[18:19], v[10:11]
	v_add_f32_e32 v3, v3, v8
	s_delay_alu instid0(VALU_DEP_1) | instskip(SKIP_1) | instid1(VALU_DEP_3)
	v_add_f32_e32 v3, v3, v9
	s_wait_dscnt 0x0
	v_pk_mul_f32 v[4:5], v[6:7], v[4:5]
	s_delay_alu instid0(VALU_DEP_1) | instskip(NEXT) | instid1(VALU_DEP_1)
	v_add_f32_e32 v3, v3, v4
	v_add_f32_e32 v3, v3, v5
.LBB182_75:                             ;   in Loop: Header=BB182_53 Depth=1
	s_and_b32 vcc_lo, exec_lo, s2
	s_cbranch_vccz .LBB182_81
; %bb.76:                               ;   in Loop: Header=BB182_53 Depth=1
	s_load_b32 s2, s[34:35], 0x0
	s_wait_kmcnt 0x0
	s_cmp_lt_u32 s12, s2
	s_cselect_b32 s2, 12, 18
	s_delay_alu instid0(SALU_CYCLE_1) | instskip(SKIP_4) | instid1(VALU_DEP_1)
	s_add_nc_u64 s[40:41], s[34:35], s[2:3]
	s_load_u16 s2, s[40:41], 0x0
	s_wait_kmcnt 0x0
	v_mad_u32_u24 v3, v1, s2, v86
	s_mov_b32 s2, exec_lo
	v_dual_mov_b32 v3, 0 :: v_dual_bitop2_b32 v4, 31, v3 bitop3:0x40
	s_delay_alu instid0(VALU_DEP_1)
	v_cmpx_gt_u32_e32 8, v4
	s_cbranch_execz .LBB182_80
; %bb.77:                               ;   in Loop: Header=BB182_53 Depth=1
	v_dual_mov_b32 v5, v2 :: v_dual_mov_b32 v3, 0
	s_mov_b32 s13, exec_lo
	s_delay_alu instid0(VALU_DEP_1) | instskip(NEXT) | instid1(VALU_DEP_1)
	v_add_nc_u64_e32 v[4:5], v[84:85], v[4:5]
	v_add_nc_u64_e32 v[4:5], s[8:9], v[4:5]
	s_delay_alu instid0(VALU_DEP_1)
	v_cmpx_gt_i64_e64 s[4:5], v[4:5]
	s_cbranch_execz .LBB182_79
; %bb.78:                               ;   in Loop: Header=BB182_53 Depth=1
	v_lshl_add_u64 v[4:5], v[4:5], 2, s[14:15]
	global_load_b32 v3, v[4:5], off
.LBB182_79:                             ;   in Loop: Header=BB182_53 Depth=1
	s_wait_xcnt 0x0
	s_or_b32 exec_lo, exec_lo, s13
.LBB182_80:                             ;   in Loop: Header=BB182_53 Depth=1
	s_delay_alu instid0(SALU_CYCLE_1)
	s_or_b32 exec_lo, exec_lo, s2
	v_add_nc_u64_e32 v[4:5], v[22:23], v[50:51]
	v_add_nc_u64_e32 v[6:7], v[52:53], v[50:51]
	;; [unrolled: 1-line block ×6, first 2 shown]
	global_load_u16 v16, v[4:5], off
	global_load_u16 v17, v[6:7], off
	;; [unrolled: 1-line block ×4, first 2 shown]
	s_wait_xcnt 0x3
	v_add_nc_u64_e32 v[4:5], v[36:37], v[50:51]
	s_wait_xcnt 0x2
	v_add_nc_u64_e32 v[6:7], v[34:35], v[50:51]
	s_wait_xcnt 0x0
	v_add_nc_u64_e32 v[10:11], v[30:31], v[50:51]
	v_add_nc_u64_e32 v[8:9], v[28:29], v[50:51]
	global_load_u16 v84, v[14:15], off
	global_load_u16 v85, v[12:13], off
	;; [unrolled: 1-line block ×4, first 2 shown]
	s_wait_xcnt 0x1
	v_add_nc_u64_e32 v[4:5], v[42:43], v[50:51]
	s_wait_xcnt 0x0
	v_add_nc_u64_e32 v[6:7], v[40:41], v[50:51]
	s_wait_loadcnt 0x8
	ds_bpermute_b32 v12, v2, v3 offset:16
	global_load_u16 v90, v[10:11], off
	global_load_u16 v91, v[8:9], off
	;; [unrolled: 1-line block ×4, first 2 shown]
	s_wait_xcnt 0x1
	v_add_nc_u64_e32 v[4:5], v[46:47], v[50:51]
	s_wait_xcnt 0x0
	v_add_nc_u64_e32 v[6:7], v[38:39], v[50:51]
	v_add_nc_u64_e32 v[8:9], v[48:49], v[50:51]
	;; [unrolled: 1-line block ×3, first 2 shown]
	global_load_u16 v94, v[4:5], off
	global_load_u16 v95, v[6:7], off
	;; [unrolled: 1-line block ×4, first 2 shown]
	s_wait_xcnt 0x3
	ds_bpermute_b32 v4, v2, v3
	ds_bpermute_b32 v5, v2, v3 offset:4
	s_wait_xcnt 0x2
	ds_bpermute_b32 v6, v2, v3 offset:8
	ds_bpermute_b32 v7, v2, v3 offset:12
	;; [unrolled: 1-line block ×3, first 2 shown]
	s_wait_loadcnt 0xf
	s_wait_xcnt 0x1
	v_cvt_f32_f16_e32 v9, v16
	s_wait_loadcnt 0xe
	v_cvt_f32_f16_e32 v8, v17
	s_wait_loadcnt 0xd
	s_wait_xcnt 0x0
	v_cvt_f32_f16_e32 v11, v18
	s_wait_loadcnt 0xc
	v_cvt_f32_f16_e32 v10, v19
	s_wait_loadcnt 0x9
	v_cvt_f32_f16_e32 v15, v88
	s_delay_alu instid0(VALU_DEP_2)
	v_pk_mul_f32 v[8:9], v[8:9], v[10:11]
	v_cvt_f32_f16_e32 v11, v84
	v_cvt_f32_f16_e32 v10, v85
	s_wait_loadcnt 0x8
	v_cvt_f32_f16_e32 v14, v89
	s_wait_loadcnt 0x7
	v_cvt_f32_f16_e32 v17, v90
	s_wait_dscnt 0x3
	v_pk_mul_f32 v[4:5], v[8:9], v[4:5]
	ds_bpermute_b32 v8, v2, v3 offset:24
	s_wait_loadcnt 0x6
	v_cvt_f32_f16_e32 v16, v91
	v_pk_mul_f32 v[10:11], v[10:11], v[14:15]
	s_wait_loadcnt 0x5
	v_cvt_f32_f16_e32 v15, v92
	s_wait_loadcnt 0x4
	v_cvt_f32_f16_e32 v14, v93
	ds_bpermute_b32 v9, v2, v3 offset:28
	s_wait_dscnt 0x3
	v_pk_mul_f32 v[6:7], v[10:11], v[6:7]
	v_add_f32_e32 v4, v87, v4
	s_wait_loadcnt 0x3
	v_cvt_f32_f16_e32 v11, v94
	s_delay_alu instid0(VALU_DEP_2)
	v_add_f32_e32 v10, v4, v5
	v_pk_mul_f32 v[4:5], v[16:17], v[14:15]
	s_wait_loadcnt 0x1
	v_cvt_f32_f16_e32 v15, v96
	s_wait_loadcnt 0x0
	v_cvt_f32_f16_e32 v14, v97
	v_add_f32_e32 v3, v10, v6
	v_cvt_f32_f16_e32 v10, v95
	s_wait_dscnt 0x2
	v_pk_mul_f32 v[4:5], v[4:5], v[12:13]
	s_delay_alu instid0(VALU_DEP_3) | instskip(NEXT) | instid1(VALU_DEP_3)
	v_add_f32_e32 v3, v3, v7
	v_pk_mul_f32 v[6:7], v[10:11], v[14:15]
	s_delay_alu instid0(VALU_DEP_2) | instskip(NEXT) | instid1(VALU_DEP_1)
	v_add_f32_e32 v3, v3, v4
	v_add_f32_e32 v3, v3, v5
	s_wait_dscnt 0x0
	s_delay_alu instid0(VALU_DEP_3) | instskip(NEXT) | instid1(VALU_DEP_1)
	v_pk_mul_f32 v[4:5], v[6:7], v[8:9]
	v_add_f32_e32 v3, v3, v4
	s_delay_alu instid0(VALU_DEP_1)
	v_add_f32_e32 v3, v3, v5
.LBB182_81:                             ;   in Loop: Header=BB182_53 Depth=1
	s_add_nc_u64 s[16:17], s[16:17], s[18:19]
	v_add_nc_u64_e32 v[52:53], s[36:37], v[52:53]
	v_cmp_ge_i64_e64 s2, s[16:17], s[4:5]
	v_add_nc_u64_e32 v[54:55], s[36:37], v[54:55]
	v_add_nc_u64_e32 v[22:23], s[36:37], v[22:23]
	;; [unrolled: 1-line block ×29, first 2 shown]
	s_and_b32 vcc_lo, exec_lo, s2
	s_add_nc_u64 s[38:39], s[38:39], s[18:19]
	s_cbranch_vccnz .LBB182_83
; %bb.82:                               ;   in Loop: Header=BB182_53 Depth=1
	v_mov_b32_e32 v87, v3
	s_branch .LBB182_53
.LBB182_83:
	v_and_b32_e32 v1, 0x3ff, v0
	v_bfe_u32 v2, v0, 10, 10
	v_bfe_u32 v0, v0, 5, 5
	s_mov_b32 s2, exec_lo
	s_delay_alu instid0(VALU_DEP_2) | instskip(NEXT) | instid1(VALU_DEP_2)
	v_mad_u32_u24 v4, v2, 33, v1
	v_add_nc_u32_e32 v0, v0, v2
	s_delay_alu instid0(VALU_DEP_2)
	v_lshl_add_u32 v2, v4, 2, 0
	v_mov_b32_e32 v4, 0
	ds_store_b32 v2, v3
	ds_store_b32 v2, v4 offset:2112
	s_wait_dscnt 0x0
	s_barrier_signal -1
	s_barrier_wait -1
	v_cmpx_gt_u32_e32 32, v0
	s_cbranch_execz .LBB182_93
; %bb.84:
	s_load_b64 s[2:3], s[0:1], 0x30
	v_and_b32_e32 v2, 31, v1
	s_delay_alu instid0(VALU_DEP_1)
	v_cmp_gt_u32_e32 vcc_lo, 16, v2
	v_mul_u32_u24_e32 v4, 33, v2
                                        ; implicit-def: $vgpr2
	s_wait_xcnt 0x0
	s_and_saveexec_b32 s0, vcc_lo
	s_cbranch_execz .LBB182_86
; %bb.85:
	v_lshlrev_b32_e32 v2, 2, v0
	v_lshlrev_b32_e32 v3, 2, v4
	s_delay_alu instid0(VALU_DEP_1)
	v_add3_u32 v2, 0, v2, v3
	ds_load_b32 v2, v2
.LBB182_86:
	s_or_b32 exec_lo, exec_lo, s0
	v_mbcnt_lo_u32_b32 v3, -1, 0
	s_mov_b32 s13, 0
	s_delay_alu instid0(SALU_CYCLE_1)
	s_lshl_b64 s[4:5], s[12:13], 5
	s_wait_kmcnt 0x0
	s_cmp_eq_u64 s[2:3], 0
	v_xor_b32_e32 v6, 4, v3
	v_xor_b32_e32 v5, 8, v3
	;; [unrolled: 1-line block ×3, first 2 shown]
	s_cselect_b32 s8, -1, 0
	s_delay_alu instid0(VALU_DEP_2) | instskip(NEXT) | instid1(VALU_DEP_1)
	v_cmp_gt_i32_e64 s0, 32, v5
	v_cndmask_b32_e64 v5, v3, v5, s0
	v_cmp_gt_i32_e64 s0, 32, v6
	s_delay_alu instid0(VALU_DEP_1) | instskip(NEXT) | instid1(VALU_DEP_1)
	v_cndmask_b32_e64 v6, v3, v6, s0
	v_dual_lshlrev_b32 v6, 2, v6 :: v_dual_lshlrev_b32 v5, 2, v5
	s_wait_dscnt 0x0
	ds_bpermute_b32 v7, v5, v2
	s_wait_dscnt 0x0
	v_add_f32_e32 v2, v2, v7
	v_xor_b32_e32 v7, 2, v3
	ds_bpermute_b32 v8, v6, v2
	v_cmp_gt_i32_e64 s0, 32, v7
	s_wait_dscnt 0x0
	s_delay_alu instid0(VALU_DEP_1) | instskip(SKIP_1) | instid1(VALU_DEP_1)
	v_dual_add_f32 v2, v2, v8 :: v_dual_cndmask_b32 v7, v3, v7, s0
	v_cmp_gt_i32_e64 s0, 32, v9
	v_dual_lshlrev_b32 v7, 2, v7 :: v_dual_cndmask_b32 v3, v3, v9, s0
	v_cmp_ne_u32_e64 s0, 0, v1
	ds_bpermute_b32 v8, v7, v2
	s_wait_dscnt 0x0
	v_dual_add_f32 v9, v2, v8 :: v_dual_lshlrev_b32 v8, 2, v3
	v_or_b32_e32 v2, s4, v0
	ds_bpermute_b32 v10, v8, v9
	s_wait_dscnt 0x0
	v_dual_mov_b32 v3, s5 :: v_dual_add_f32 v1, v9, v10
	s_delay_alu instid0(VALU_DEP_1) | instskip(SKIP_1) | instid1(SALU_CYCLE_1)
	v_cmp_le_i64_e64 s1, s[6:7], v[2:3]
	s_or_b32 s1, s0, s1
	s_nor_b32 s9, s8, s1
	s_delay_alu instid0(SALU_CYCLE_1)
	s_and_saveexec_b32 s1, s9
	s_cbranch_execz .LBB182_88
; %bb.87:
	v_lshl_add_u64 v[2:3], v[2:3], 1, s[2:3]
	v_cvt_f16_f32_e32 v9, v1
	global_store_b16 v[2:3], v9, off
.LBB182_88:
	s_wait_xcnt 0x0
	s_or_b32 exec_lo, exec_lo, s1
	v_cmp_gt_u32_e64 s1, 16, v0
	s_and_b32 exec_lo, exec_lo, s1
	s_cbranch_execz .LBB182_93
; %bb.89:
	s_and_saveexec_b32 s1, vcc_lo
	s_cbranch_execz .LBB182_91
; %bb.90:
	v_lshlrev_b32_e32 v1, 2, v0
	v_lshlrev_b32_e32 v2, 2, v4
	s_delay_alu instid0(VALU_DEP_1)
	v_add3_u32 v1, 0, v1, v2
	ds_load_b32 v1, v1 offset:64
.LBB182_91:
	s_or_b32 exec_lo, exec_lo, s1
	s_wait_dscnt 0x0
	ds_bpermute_b32 v2, v5, v1
	s_wait_dscnt 0x0
	v_dual_mov_b32 v5, s5 :: v_dual_add_f32 v1, v1, v2
	ds_bpermute_b32 v2, v6, v1
	s_wait_dscnt 0x0
	v_add_f32_e32 v1, v1, v2
	ds_bpermute_b32 v2, v7, v1
	s_wait_dscnt 0x0
	v_dual_add_f32 v2, v1, v2 :: v_dual_add_nc_u32 v1, 16, v0
	ds_bpermute_b32 v3, v8, v2
	v_or_b32_e32 v4, s4, v1
	s_delay_alu instid0(VALU_DEP_1) | instskip(SKIP_1) | instid1(SALU_CYCLE_1)
	v_cmp_le_i64_e32 vcc_lo, s[6:7], v[4:5]
	s_or_b32 s0, s0, vcc_lo
	s_nor_b32 s0, s8, s0
	s_delay_alu instid0(SALU_CYCLE_1) | instskip(NEXT) | instid1(SALU_CYCLE_1)
	s_and_saveexec_b32 s1, s0
	s_xor_b32 s1, exec_lo, s1
	s_cbranch_execz .LBB182_93
; %bb.92:
	s_wait_dscnt 0x0
	v_dual_mov_b32 v1, 0 :: v_dual_add_f32 v2, v2, v3
	s_delay_alu instid0(VALU_DEP_1) | instskip(NEXT) | instid1(VALU_DEP_2)
	v_add_nc_u64_e32 v[0:1], s[4:5], v[0:1]
	v_cvt_f16_f32_e32 v2, v2
	s_delay_alu instid0(VALU_DEP_2)
	v_lshl_add_u64 v[0:1], v[0:1], 1, s[2:3]
	global_store_b16 v[0:1], v2, off offset:32
.LBB182_93:
	s_sendmsg sendmsg(MSG_DEALLOC_VGPRS)
	s_endpgm
	.section	.rodata,"a",@progbits
	.p2align	6, 0x0
	.amdhsa_kernel _ZN2at6native12_GLOBAL__N_135GammaBetaBackwardCUDAKernelTemplateIN3c104HalfEfLj32ELj16ELj128ELb0ELb0ELb1EEEvllPKT_S7_PKT0_SA_PS5_SB_
		.amdhsa_group_segment_fixed_size 0
		.amdhsa_private_segment_fixed_size 0
		.amdhsa_kernarg_size 320
		.amdhsa_user_sgpr_count 2
		.amdhsa_user_sgpr_dispatch_ptr 0
		.amdhsa_user_sgpr_queue_ptr 0
		.amdhsa_user_sgpr_kernarg_segment_ptr 1
		.amdhsa_user_sgpr_dispatch_id 0
		.amdhsa_user_sgpr_kernarg_preload_length 0
		.amdhsa_user_sgpr_kernarg_preload_offset 0
		.amdhsa_user_sgpr_private_segment_size 0
		.amdhsa_wavefront_size32 1
		.amdhsa_uses_dynamic_stack 0
		.amdhsa_enable_private_segment 0
		.amdhsa_system_sgpr_workgroup_id_x 1
		.amdhsa_system_sgpr_workgroup_id_y 1
		.amdhsa_system_sgpr_workgroup_id_z 0
		.amdhsa_system_sgpr_workgroup_info 0
		.amdhsa_system_vgpr_workitem_id 1
		.amdhsa_next_free_vgpr 98
		.amdhsa_next_free_sgpr 50
		.amdhsa_named_barrier_count 0
		.amdhsa_reserve_vcc 1
		.amdhsa_float_round_mode_32 0
		.amdhsa_float_round_mode_16_64 0
		.amdhsa_float_denorm_mode_32 3
		.amdhsa_float_denorm_mode_16_64 3
		.amdhsa_fp16_overflow 0
		.amdhsa_memory_ordered 1
		.amdhsa_forward_progress 1
		.amdhsa_inst_pref_size 49
		.amdhsa_round_robin_scheduling 0
		.amdhsa_exception_fp_ieee_invalid_op 0
		.amdhsa_exception_fp_denorm_src 0
		.amdhsa_exception_fp_ieee_div_zero 0
		.amdhsa_exception_fp_ieee_overflow 0
		.amdhsa_exception_fp_ieee_underflow 0
		.amdhsa_exception_fp_ieee_inexact 0
		.amdhsa_exception_int_div_zero 0
	.end_amdhsa_kernel
	.section	.text._ZN2at6native12_GLOBAL__N_135GammaBetaBackwardCUDAKernelTemplateIN3c104HalfEfLj32ELj16ELj128ELb0ELb0ELb1EEEvllPKT_S7_PKT0_SA_PS5_SB_,"axG",@progbits,_ZN2at6native12_GLOBAL__N_135GammaBetaBackwardCUDAKernelTemplateIN3c104HalfEfLj32ELj16ELj128ELb0ELb0ELb1EEEvllPKT_S7_PKT0_SA_PS5_SB_,comdat
.Lfunc_end182:
	.size	_ZN2at6native12_GLOBAL__N_135GammaBetaBackwardCUDAKernelTemplateIN3c104HalfEfLj32ELj16ELj128ELb0ELb0ELb1EEEvllPKT_S7_PKT0_SA_PS5_SB_, .Lfunc_end182-_ZN2at6native12_GLOBAL__N_135GammaBetaBackwardCUDAKernelTemplateIN3c104HalfEfLj32ELj16ELj128ELb0ELb0ELb1EEEvllPKT_S7_PKT0_SA_PS5_SB_
                                        ; -- End function
	.set _ZN2at6native12_GLOBAL__N_135GammaBetaBackwardCUDAKernelTemplateIN3c104HalfEfLj32ELj16ELj128ELb0ELb0ELb1EEEvllPKT_S7_PKT0_SA_PS5_SB_.num_vgpr, 98
	.set _ZN2at6native12_GLOBAL__N_135GammaBetaBackwardCUDAKernelTemplateIN3c104HalfEfLj32ELj16ELj128ELb0ELb0ELb1EEEvllPKT_S7_PKT0_SA_PS5_SB_.num_agpr, 0
	.set _ZN2at6native12_GLOBAL__N_135GammaBetaBackwardCUDAKernelTemplateIN3c104HalfEfLj32ELj16ELj128ELb0ELb0ELb1EEEvllPKT_S7_PKT0_SA_PS5_SB_.numbered_sgpr, 50
	.set _ZN2at6native12_GLOBAL__N_135GammaBetaBackwardCUDAKernelTemplateIN3c104HalfEfLj32ELj16ELj128ELb0ELb0ELb1EEEvllPKT_S7_PKT0_SA_PS5_SB_.num_named_barrier, 0
	.set _ZN2at6native12_GLOBAL__N_135GammaBetaBackwardCUDAKernelTemplateIN3c104HalfEfLj32ELj16ELj128ELb0ELb0ELb1EEEvllPKT_S7_PKT0_SA_PS5_SB_.private_seg_size, 0
	.set _ZN2at6native12_GLOBAL__N_135GammaBetaBackwardCUDAKernelTemplateIN3c104HalfEfLj32ELj16ELj128ELb0ELb0ELb1EEEvllPKT_S7_PKT0_SA_PS5_SB_.uses_vcc, 1
	.set _ZN2at6native12_GLOBAL__N_135GammaBetaBackwardCUDAKernelTemplateIN3c104HalfEfLj32ELj16ELj128ELb0ELb0ELb1EEEvllPKT_S7_PKT0_SA_PS5_SB_.uses_flat_scratch, 0
	.set _ZN2at6native12_GLOBAL__N_135GammaBetaBackwardCUDAKernelTemplateIN3c104HalfEfLj32ELj16ELj128ELb0ELb0ELb1EEEvllPKT_S7_PKT0_SA_PS5_SB_.has_dyn_sized_stack, 0
	.set _ZN2at6native12_GLOBAL__N_135GammaBetaBackwardCUDAKernelTemplateIN3c104HalfEfLj32ELj16ELj128ELb0ELb0ELb1EEEvllPKT_S7_PKT0_SA_PS5_SB_.has_recursion, 0
	.set _ZN2at6native12_GLOBAL__N_135GammaBetaBackwardCUDAKernelTemplateIN3c104HalfEfLj32ELj16ELj128ELb0ELb0ELb1EEEvllPKT_S7_PKT0_SA_PS5_SB_.has_indirect_call, 0
	.section	.AMDGPU.csdata,"",@progbits
; Kernel info:
; codeLenInByte = 6192
; TotalNumSgprs: 52
; NumVgprs: 98
; ScratchSize: 0
; MemoryBound: 0
; FloatMode: 240
; IeeeMode: 1
; LDSByteSize: 0 bytes/workgroup (compile time only)
; SGPRBlocks: 0
; VGPRBlocks: 6
; NumSGPRsForWavesPerEU: 52
; NumVGPRsForWavesPerEU: 98
; NamedBarCnt: 0
; Occupancy: 9
; WaveLimiterHint : 0
; COMPUTE_PGM_RSRC2:SCRATCH_EN: 0
; COMPUTE_PGM_RSRC2:USER_SGPR: 2
; COMPUTE_PGM_RSRC2:TRAP_HANDLER: 0
; COMPUTE_PGM_RSRC2:TGID_X_EN: 1
; COMPUTE_PGM_RSRC2:TGID_Y_EN: 1
; COMPUTE_PGM_RSRC2:TGID_Z_EN: 0
; COMPUTE_PGM_RSRC2:TIDIG_COMP_CNT: 1
	.section	.text._ZN2at6native12_GLOBAL__N_135GammaBetaBackwardCUDAKernelTemplateIN3c104HalfEfLj32ELj32ELj256ELb0ELb1ELb1EEEvllPKT_S7_PKT0_SA_PS5_SB_,"axG",@progbits,_ZN2at6native12_GLOBAL__N_135GammaBetaBackwardCUDAKernelTemplateIN3c104HalfEfLj32ELj32ELj256ELb0ELb1ELb1EEEvllPKT_S7_PKT0_SA_PS5_SB_,comdat
	.globl	_ZN2at6native12_GLOBAL__N_135GammaBetaBackwardCUDAKernelTemplateIN3c104HalfEfLj32ELj32ELj256ELb0ELb1ELb1EEEvllPKT_S7_PKT0_SA_PS5_SB_ ; -- Begin function _ZN2at6native12_GLOBAL__N_135GammaBetaBackwardCUDAKernelTemplateIN3c104HalfEfLj32ELj32ELj256ELb0ELb1ELb1EEEvllPKT_S7_PKT0_SA_PS5_SB_
	.p2align	8
	.type	_ZN2at6native12_GLOBAL__N_135GammaBetaBackwardCUDAKernelTemplateIN3c104HalfEfLj32ELj32ELj256ELb0ELb1ELb1EEEvllPKT_S7_PKT0_SA_PS5_SB_,@function
_ZN2at6native12_GLOBAL__N_135GammaBetaBackwardCUDAKernelTemplateIN3c104HalfEfLj32ELj32ELj256ELb0ELb1ELb1EEEvllPKT_S7_PKT0_SA_PS5_SB_: ; @_ZN2at6native12_GLOBAL__N_135GammaBetaBackwardCUDAKernelTemplateIN3c104HalfEfLj32ELj32ELj256ELb0ELb1ELb1EEEvllPKT_S7_PKT0_SA_PS5_SB_
; %bb.0:
	s_load_b128 s[4:7], s[0:1], 0x0
	s_bfe_u32 s2, ttmp6, 0x40010
	s_bfe_u32 s8, ttmp6, 0x40004
	s_add_co_i32 s2, s2, 1
	s_getreg_b32 s3, hwreg(HW_REG_IB_STS2, 6, 4)
	s_mul_i32 s2, ttmp7, s2
	s_mov_b32 s13, 0
	s_add_co_i32 s8, s8, s2
	s_cmp_eq_u32 s3, 0
	v_bfe_u32 v9, v0, 10, 10
	s_cselect_b32 s2, ttmp7, s8
	s_delay_alu instid0(SALU_CYCLE_1)
	s_lshl_b32 s12, s2, 8
	s_wait_kmcnt 0x0
	v_cmp_gt_i64_e64 s2, s[4:5], s[12:13]
	s_and_b32 vcc_lo, exec_lo, s2
	s_cbranch_vccnz .LBB183_2
; %bb.1:
	v_bfe_u32 v1, v0, 10, 10
	s_mov_b32 s2, s13
	v_and_b32_e32 v8, 0x3ff, v0
	v_mov_b32_e32 v16, 0
	s_and_not1_b32 vcc_lo, exec_lo, s2
	s_cbranch_vccz .LBB183_3
	s_branch .LBB183_10
.LBB183_2:
                                        ; implicit-def: $vgpr1
	v_and_b32_e32 v8, 0x3ff, v0
	v_mov_b32_e32 v16, 0
.LBB183_3:
	v_dual_mov_b32 v1, 0 :: v_dual_lshlrev_b32 v0, 3, v9
	s_load_b32 s2, s[0:1], 0x4c
	s_bfe_u32 s19, ttmp6, 0x4000c
	s_clause 0x2
	s_load_b32 s14, s[0:1], 0x44
	s_load_b128 s[8:11], s[0:1], 0x10
	s_load_b64 s[16:17], s[0:1], 0x28
	s_add_co_i32 s19, s19, 1
	v_add_nc_u64_e32 v[2:3], s[12:13], v[0:1]
	s_and_b32 s18, ttmp6, 15
	s_mul_i32 s19, ttmp9, s19
	v_dual_mov_b32 v5, v1 :: v_dual_mov_b32 v15, v1
	s_add_co_i32 s18, s18, s19
	s_mov_b32 s15, 0
	s_delay_alu instid0(VALU_DEP_2)
	v_mul_u64_e32 v[6:7], s[6:7], v[2:3]
	v_dual_mov_b32 v0, 4 :: v_dual_mov_b32 v10, 8
	v_dual_mov_b32 v12, 16 :: v_dual_mov_b32 v13, 20
	v_mov_b32_e32 v11, 12
	s_wait_kmcnt 0x0
	s_and_b32 s2, s2, 0xffff
	s_cmp_eq_u32 s3, 0
	v_mad_u32_u24 v4, v9, s2, v8
	s_cselect_b32 s2, ttmp9, s18
	s_lshl_b32 s14, s14, 8
	v_lshl_add_u32 v14, s2, 5, v8
	s_mul_u64 s[18:19], s[6:7], s[14:15]
	v_and_b32_e32 v4, 31, v4
	s_lshl_b64 s[18:19], s[18:19], 1
	s_lshl_b64 s[6:7], s[6:7], 1
	v_lshlrev_b64_e32 v[16:17], 1, v[14:15]
	v_dual_mov_b32 v14, 24 :: v_dual_mov_b32 v15, 28
	v_add_nc_u64_e32 v[2:3], v[2:3], v[4:5]
	v_cmp_gt_u32_e64 s2, 8, v4
	s_delay_alu instid0(VALU_DEP_2)
	v_lshl_add_u64 v[4:5], v[2:3], 2, s[16:17]
	s_lshl_b64 s[16:17], s[14:15], 2
	v_lshl_add_u64 v[6:7], v[6:7], 1, v[16:17]
	v_mov_b32_e32 v16, 0
	s_branch .LBB183_6
.LBB183_4:                              ;   in Loop: Header=BB183_6 Depth=1
	s_wait_xcnt 0x0
	s_or_b32 exec_lo, exec_lo, s21
.LBB183_5:                              ;   in Loop: Header=BB183_6 Depth=1
	s_delay_alu instid0(SALU_CYCLE_1)
	s_or_b32 exec_lo, exec_lo, s20
	v_add_nc_u64_e32 v[18:19], s[8:9], v[6:7]
	v_add_nc_u64_e32 v[20:21], s[10:11], v[6:7]
	s_add_nc_u64 s[12:13], s[12:13], s[14:15]
	v_add_nc_u64_e32 v[4:5], s[16:17], v[4:5]
	v_cmp_lt_i64_e64 s20, s[12:13], s[4:5]
	v_add_nc_u64_e32 v[2:3], s[14:15], v[2:3]
	v_add_nc_u64_e32 v[6:7], s[18:19], v[6:7]
	;; [unrolled: 1-line block ×4, first 2 shown]
	global_load_u16 v30, v[18:19], off
	global_load_u16 v31, v[20:21], off
	;; [unrolled: 1-line block ×4, first 2 shown]
	s_and_b32 vcc_lo, exec_lo, s20
	v_add_nc_u64_e32 v[26:27], s[6:7], v[22:23]
	v_add_nc_u64_e32 v[28:29], s[6:7], v[24:25]
	global_load_u16 v34, v[26:27], off
	global_load_u16 v35, v[28:29], off
	s_wait_xcnt 0x5
	v_add_nc_u64_e32 v[18:19], s[6:7], v[26:27]
	s_wait_xcnt 0x4
	v_add_nc_u64_e32 v[20:21], s[6:7], v[28:29]
	global_load_u16 v27, v[18:19], off
	global_load_u16 v28, v[20:21], off
	v_add_nc_u64_e32 v[22:23], s[6:7], v[18:19]
	v_add_nc_u64_e32 v[24:25], s[6:7], v[20:21]
	global_load_u16 v29, v[22:23], off
	global_load_u16 v36, v[24:25], off
	s_wait_xcnt 0x3
	v_add_nc_u64_e32 v[18:19], s[6:7], v[22:23]
	s_wait_xcnt 0x2
	v_add_nc_u64_e32 v[20:21], s[6:7], v[24:25]
	global_load_u16 v37, v[18:19], off
	global_load_u16 v38, v[20:21], off
	s_wait_xcnt 0x3
	v_add_nc_u64_e32 v[22:23], s[6:7], v[18:19]
	s_wait_xcnt 0x2
	v_add_nc_u64_e32 v[24:25], s[6:7], v[20:21]
	s_wait_xcnt 0x1
	s_delay_alu instid0(VALU_DEP_2) | instskip(SKIP_1) | instid1(VALU_DEP_2)
	v_add_nc_u64_e32 v[18:19], s[6:7], v[22:23]
	s_wait_xcnt 0x0
	v_add_nc_u64_e32 v[20:21], s[6:7], v[24:25]
	global_load_u16 v39, v[22:23], off
	global_load_u16 v40, v[24:25], off
	;; [unrolled: 1-line block ×4, first 2 shown]
	s_wait_loadcnt 0x10
	s_wait_xcnt 0x1
	ds_bpermute_b32 v18, v1, v17
	ds_bpermute_b32 v19, v0, v17
	;; [unrolled: 1-line block ×4, first 2 shown]
	s_wait_loadcnt 0xf
	s_wait_xcnt 0x0
	v_cvt_f32_f16_e32 v20, v30
	s_wait_loadcnt 0xe
	v_cvt_f32_f16_e32 v22, v31
	s_wait_loadcnt 0xd
	;; [unrolled: 2-line block ×3, first 2 shown]
	v_cvt_f32_f16_e32 v23, v33
	s_delay_alu instid0(VALU_DEP_1)
	v_pk_mul_f32 v[20:21], v[20:21], v[22:23]
	s_wait_loadcnt 0xb
	v_cvt_f32_f16_e32 v22, v34
	s_wait_loadcnt 0xa
	v_cvt_f32_f16_e32 v26, v35
	s_wait_dscnt 0x2
	v_pk_mul_f32 v[18:19], v[20:21], v[18:19]
	ds_bpermute_b32 v20, v12, v17
	ds_bpermute_b32 v21, v13, v17
	s_wait_loadcnt 0x9
	v_cvt_f32_f16_e32 v23, v27
	s_wait_loadcnt 0x8
	v_cvt_f32_f16_e32 v27, v28
	s_delay_alu instid0(VALU_DEP_1) | instskip(SKIP_1) | instid1(VALU_DEP_1)
	v_pk_mul_f32 v[22:23], v[22:23], v[26:27]
	s_wait_dscnt 0x2
	v_pk_mul_f32 v[22:23], v[22:23], v[24:25]
	v_add_f32_e32 v18, v16, v18
	ds_bpermute_b32 v16, v14, v17
	s_wait_loadcnt 0x6
	v_cvt_f32_f16_e32 v24, v36
	ds_bpermute_b32 v17, v15, v17
	v_add_f32_e32 v26, v18, v19
	v_cvt_f32_f16_e32 v18, v29
	s_wait_loadcnt 0x5
	v_cvt_f32_f16_e32 v19, v37
	s_wait_loadcnt 0x4
	v_cvt_f32_f16_e32 v25, v38
	v_add_f32_e32 v22, v26, v22
	s_delay_alu instid0(VALU_DEP_2) | instskip(NEXT) | instid1(VALU_DEP_2)
	v_pk_mul_f32 v[18:19], v[18:19], v[24:25]
	v_add_f32_e32 v26, v22, v23
	s_wait_loadcnt 0x3
	v_cvt_f32_f16_e32 v22, v39
	s_wait_loadcnt 0x2
	v_cvt_f32_f16_e32 v24, v40
	s_wait_dscnt 0x2
	v_pk_mul_f32 v[18:19], v[18:19], v[20:21]
	s_wait_loadcnt 0x1
	v_cvt_f32_f16_e32 v23, v41
	s_wait_loadcnt 0x0
	v_cvt_f32_f16_e32 v25, v42
	v_add_f32_e32 v18, v26, v18
	s_delay_alu instid0(VALU_DEP_2) | instskip(NEXT) | instid1(VALU_DEP_2)
	v_pk_mul_f32 v[20:21], v[22:23], v[24:25]
	v_add_f32_e32 v18, v18, v19
	s_wait_dscnt 0x0
	s_delay_alu instid0(VALU_DEP_2) | instskip(NEXT) | instid1(VALU_DEP_1)
	v_pk_mul_f32 v[16:17], v[20:21], v[16:17]
	v_add_f32_e32 v16, v18, v16
	s_delay_alu instid0(VALU_DEP_1)
	v_add_f32_e32 v16, v16, v17
	s_cbranch_vccz .LBB183_9
.LBB183_6:                              ; =>This Inner Loop Header: Depth=1
	v_mov_b32_e32 v17, 0
	s_and_saveexec_b32 s20, s2
	s_cbranch_execz .LBB183_5
; %bb.7:                                ;   in Loop: Header=BB183_6 Depth=1
	v_mov_b32_e32 v17, 0
	s_mov_b32 s21, exec_lo
	v_cmpx_gt_i64_e64 s[4:5], v[2:3]
	s_cbranch_execz .LBB183_4
; %bb.8:                                ;   in Loop: Header=BB183_6 Depth=1
	global_load_b32 v17, v[4:5], off
	s_branch .LBB183_4
.LBB183_9:
	v_mov_b32_e32 v1, v9
.LBB183_10:
	s_load_b64 s[0:1], s[0:1], 0x30
	s_delay_alu instid0(VALU_DEP_1) | instskip(SKIP_2) | instid1(VALU_DEP_2)
	v_mad_u32_u24 v0, v1, 33, v8
	v_dual_lshrrev_b32 v2, 5, v8 :: v_dual_mov_b32 v4, 0
	s_mov_b32 s2, exec_lo
	v_lshl_add_u32 v3, v0, 2, 0
	s_delay_alu instid0(VALU_DEP_2)
	v_add_nc_u32_e32 v0, v2, v1
	ds_store_b32 v3, v16
	ds_store_b32 v3, v4 offset:4224
	s_wait_dscnt 0x0
	s_barrier_signal -1
	s_barrier_wait -1
	v_cmpx_gt_u32_e32 32, v0
	s_cbranch_execz .LBB183_13
; %bb.11:
	v_and_b32_e32 v1, 31, v8
	v_lshlrev_b32_e32 v2, 2, v0
	s_wait_kmcnt 0x0
	s_cmp_lg_u64 s[0:1], 0
	s_cselect_b32 s2, -1, 0
	v_mul_u32_u24_e32 v1, 0x84, v1
	s_delay_alu instid0(VALU_DEP_1) | instskip(SKIP_4) | instid1(VALU_DEP_1)
	v_add3_u32 v1, 0, v2, v1
	v_mbcnt_lo_u32_b32 v2, -1, 0
	ds_load_b32 v1, v1
	v_xor_b32_e32 v4, 8, v2
	v_xor_b32_e32 v3, 16, v2
	v_cmp_gt_i32_e32 vcc_lo, 32, v3
	v_cndmask_b32_e32 v3, v2, v3, vcc_lo
	s_delay_alu instid0(VALU_DEP_1)
	v_lshlrev_b32_e32 v3, 2, v3
	s_wait_dscnt 0x0
	ds_bpermute_b32 v3, v3, v1
	s_wait_dscnt 0x0
	v_add_f32_e32 v1, v1, v3
	v_cmp_gt_i32_e32 vcc_lo, 32, v4
	v_cndmask_b32_e32 v4, v2, v4, vcc_lo
	s_delay_alu instid0(VALU_DEP_1) | instskip(SKIP_3) | instid1(VALU_DEP_1)
	v_lshlrev_b32_e32 v4, 2, v4
	ds_bpermute_b32 v3, v4, v1
	s_wait_dscnt 0x0
	v_dual_add_f32 v1, v1, v3 :: v_dual_bitop2_b32 v4, 4, v2 bitop3:0x14
	v_cmp_gt_i32_e32 vcc_lo, 32, v4
	v_cndmask_b32_e32 v4, v2, v4, vcc_lo
	s_delay_alu instid0(VALU_DEP_1) | instskip(SKIP_2) | instid1(VALU_DEP_1)
	v_lshlrev_b32_e32 v4, 2, v4
	ds_bpermute_b32 v3, v4, v1
	v_xor_b32_e32 v4, 2, v2
	v_cmp_gt_i32_e32 vcc_lo, 32, v4
	v_cndmask_b32_e32 v4, v2, v4, vcc_lo
	s_wait_dscnt 0x0
	s_delay_alu instid0(VALU_DEP_1) | instskip(SKIP_2) | instid1(VALU_DEP_1)
	v_dual_add_f32 v1, v1, v3 :: v_dual_lshlrev_b32 v4, 2, v4
	ds_bpermute_b32 v3, v4, v1
	v_xor_b32_e32 v4, 1, v2
	v_cmp_gt_i32_e32 vcc_lo, 32, v4
	v_cndmask_b32_e32 v2, v2, v4, vcc_lo
	v_cmp_eq_u32_e32 vcc_lo, 0, v8
	s_delay_alu instid0(VALU_DEP_2)
	v_lshlrev_b32_e32 v2, 2, v2
	s_and_b32 s2, vcc_lo, s2
	s_wait_dscnt 0x0
	v_add_f32_e32 v1, v1, v3
	ds_bpermute_b32 v2, v2, v1
	s_and_b32 exec_lo, exec_lo, s2
	s_cbranch_execz .LBB183_13
; %bb.12:
	s_bfe_u32 s2, ttmp6, 0x4000c
	s_and_b32 s4, ttmp6, 15
	s_add_co_i32 s2, s2, 1
	s_wait_dscnt 0x0
	v_add_f32_e32 v1, v1, v2
	s_mul_i32 s2, ttmp9, s2
	s_delay_alu instid0(SALU_CYCLE_1)
	s_add_co_i32 s4, s4, s2
	s_cmp_eq_u32 s3, 0
	s_mov_b32 s3, 0
	s_cselect_b32 s2, ttmp9, s4
	v_cvt_f16_f32_e32 v1, v1
	s_lshl_b64 s[2:3], s[2:3], 6
	s_delay_alu instid0(SALU_CYCLE_1)
	s_add_nc_u64 s[0:1], s[0:1], s[2:3]
	global_store_b16 v0, v1, s[0:1] scale_offset
.LBB183_13:
	s_endpgm
	.section	.rodata,"a",@progbits
	.p2align	6, 0x0
	.amdhsa_kernel _ZN2at6native12_GLOBAL__N_135GammaBetaBackwardCUDAKernelTemplateIN3c104HalfEfLj32ELj32ELj256ELb0ELb1ELb1EEEvllPKT_S7_PKT0_SA_PS5_SB_
		.amdhsa_group_segment_fixed_size 0
		.amdhsa_private_segment_fixed_size 0
		.amdhsa_kernarg_size 320
		.amdhsa_user_sgpr_count 2
		.amdhsa_user_sgpr_dispatch_ptr 0
		.amdhsa_user_sgpr_queue_ptr 0
		.amdhsa_user_sgpr_kernarg_segment_ptr 1
		.amdhsa_user_sgpr_dispatch_id 0
		.amdhsa_user_sgpr_kernarg_preload_length 0
		.amdhsa_user_sgpr_kernarg_preload_offset 0
		.amdhsa_user_sgpr_private_segment_size 0
		.amdhsa_wavefront_size32 1
		.amdhsa_uses_dynamic_stack 0
		.amdhsa_enable_private_segment 0
		.amdhsa_system_sgpr_workgroup_id_x 1
		.amdhsa_system_sgpr_workgroup_id_y 1
		.amdhsa_system_sgpr_workgroup_id_z 0
		.amdhsa_system_sgpr_workgroup_info 0
		.amdhsa_system_vgpr_workitem_id 1
		.amdhsa_next_free_vgpr 43
		.amdhsa_next_free_sgpr 22
		.amdhsa_named_barrier_count 0
		.amdhsa_reserve_vcc 1
		.amdhsa_float_round_mode_32 0
		.amdhsa_float_round_mode_16_64 0
		.amdhsa_float_denorm_mode_32 3
		.amdhsa_float_denorm_mode_16_64 3
		.amdhsa_fp16_overflow 0
		.amdhsa_memory_ordered 1
		.amdhsa_forward_progress 1
		.amdhsa_inst_pref_size 12
		.amdhsa_round_robin_scheduling 0
		.amdhsa_exception_fp_ieee_invalid_op 0
		.amdhsa_exception_fp_denorm_src 0
		.amdhsa_exception_fp_ieee_div_zero 0
		.amdhsa_exception_fp_ieee_overflow 0
		.amdhsa_exception_fp_ieee_underflow 0
		.amdhsa_exception_fp_ieee_inexact 0
		.amdhsa_exception_int_div_zero 0
	.end_amdhsa_kernel
	.section	.text._ZN2at6native12_GLOBAL__N_135GammaBetaBackwardCUDAKernelTemplateIN3c104HalfEfLj32ELj32ELj256ELb0ELb1ELb1EEEvllPKT_S7_PKT0_SA_PS5_SB_,"axG",@progbits,_ZN2at6native12_GLOBAL__N_135GammaBetaBackwardCUDAKernelTemplateIN3c104HalfEfLj32ELj32ELj256ELb0ELb1ELb1EEEvllPKT_S7_PKT0_SA_PS5_SB_,comdat
.Lfunc_end183:
	.size	_ZN2at6native12_GLOBAL__N_135GammaBetaBackwardCUDAKernelTemplateIN3c104HalfEfLj32ELj32ELj256ELb0ELb1ELb1EEEvllPKT_S7_PKT0_SA_PS5_SB_, .Lfunc_end183-_ZN2at6native12_GLOBAL__N_135GammaBetaBackwardCUDAKernelTemplateIN3c104HalfEfLj32ELj32ELj256ELb0ELb1ELb1EEEvllPKT_S7_PKT0_SA_PS5_SB_
                                        ; -- End function
	.set _ZN2at6native12_GLOBAL__N_135GammaBetaBackwardCUDAKernelTemplateIN3c104HalfEfLj32ELj32ELj256ELb0ELb1ELb1EEEvllPKT_S7_PKT0_SA_PS5_SB_.num_vgpr, 43
	.set _ZN2at6native12_GLOBAL__N_135GammaBetaBackwardCUDAKernelTemplateIN3c104HalfEfLj32ELj32ELj256ELb0ELb1ELb1EEEvllPKT_S7_PKT0_SA_PS5_SB_.num_agpr, 0
	.set _ZN2at6native12_GLOBAL__N_135GammaBetaBackwardCUDAKernelTemplateIN3c104HalfEfLj32ELj32ELj256ELb0ELb1ELb1EEEvllPKT_S7_PKT0_SA_PS5_SB_.numbered_sgpr, 22
	.set _ZN2at6native12_GLOBAL__N_135GammaBetaBackwardCUDAKernelTemplateIN3c104HalfEfLj32ELj32ELj256ELb0ELb1ELb1EEEvllPKT_S7_PKT0_SA_PS5_SB_.num_named_barrier, 0
	.set _ZN2at6native12_GLOBAL__N_135GammaBetaBackwardCUDAKernelTemplateIN3c104HalfEfLj32ELj32ELj256ELb0ELb1ELb1EEEvllPKT_S7_PKT0_SA_PS5_SB_.private_seg_size, 0
	.set _ZN2at6native12_GLOBAL__N_135GammaBetaBackwardCUDAKernelTemplateIN3c104HalfEfLj32ELj32ELj256ELb0ELb1ELb1EEEvllPKT_S7_PKT0_SA_PS5_SB_.uses_vcc, 1
	.set _ZN2at6native12_GLOBAL__N_135GammaBetaBackwardCUDAKernelTemplateIN3c104HalfEfLj32ELj32ELj256ELb0ELb1ELb1EEEvllPKT_S7_PKT0_SA_PS5_SB_.uses_flat_scratch, 0
	.set _ZN2at6native12_GLOBAL__N_135GammaBetaBackwardCUDAKernelTemplateIN3c104HalfEfLj32ELj32ELj256ELb0ELb1ELb1EEEvllPKT_S7_PKT0_SA_PS5_SB_.has_dyn_sized_stack, 0
	.set _ZN2at6native12_GLOBAL__N_135GammaBetaBackwardCUDAKernelTemplateIN3c104HalfEfLj32ELj32ELj256ELb0ELb1ELb1EEEvllPKT_S7_PKT0_SA_PS5_SB_.has_recursion, 0
	.set _ZN2at6native12_GLOBAL__N_135GammaBetaBackwardCUDAKernelTemplateIN3c104HalfEfLj32ELj32ELj256ELb0ELb1ELb1EEEvllPKT_S7_PKT0_SA_PS5_SB_.has_indirect_call, 0
	.section	.AMDGPU.csdata,"",@progbits
; Kernel info:
; codeLenInByte = 1516
; TotalNumSgprs: 24
; NumVgprs: 43
; ScratchSize: 0
; MemoryBound: 0
; FloatMode: 240
; IeeeMode: 1
; LDSByteSize: 0 bytes/workgroup (compile time only)
; SGPRBlocks: 0
; VGPRBlocks: 2
; NumSGPRsForWavesPerEU: 24
; NumVGPRsForWavesPerEU: 43
; NamedBarCnt: 0
; Occupancy: 16
; WaveLimiterHint : 0
; COMPUTE_PGM_RSRC2:SCRATCH_EN: 0
; COMPUTE_PGM_RSRC2:USER_SGPR: 2
; COMPUTE_PGM_RSRC2:TRAP_HANDLER: 0
; COMPUTE_PGM_RSRC2:TGID_X_EN: 1
; COMPUTE_PGM_RSRC2:TGID_Y_EN: 1
; COMPUTE_PGM_RSRC2:TGID_Z_EN: 0
; COMPUTE_PGM_RSRC2:TIDIG_COMP_CNT: 1
	.section	.text._ZN2at6native12_GLOBAL__N_135GammaBetaBackwardCUDAKernelTemplateIN3c104HalfEfLj32ELj32ELj256ELb0ELb0ELb1EEEvllPKT_S7_PKT0_SA_PS5_SB_,"axG",@progbits,_ZN2at6native12_GLOBAL__N_135GammaBetaBackwardCUDAKernelTemplateIN3c104HalfEfLj32ELj32ELj256ELb0ELb0ELb1EEEvllPKT_S7_PKT0_SA_PS5_SB_,comdat
	.globl	_ZN2at6native12_GLOBAL__N_135GammaBetaBackwardCUDAKernelTemplateIN3c104HalfEfLj32ELj32ELj256ELb0ELb0ELb1EEEvllPKT_S7_PKT0_SA_PS5_SB_ ; -- Begin function _ZN2at6native12_GLOBAL__N_135GammaBetaBackwardCUDAKernelTemplateIN3c104HalfEfLj32ELj32ELj256ELb0ELb0ELb1EEEvllPKT_S7_PKT0_SA_PS5_SB_
	.p2align	8
	.type	_ZN2at6native12_GLOBAL__N_135GammaBetaBackwardCUDAKernelTemplateIN3c104HalfEfLj32ELj32ELj256ELb0ELb0ELb1EEEvllPKT_S7_PKT0_SA_PS5_SB_,@function
_ZN2at6native12_GLOBAL__N_135GammaBetaBackwardCUDAKernelTemplateIN3c104HalfEfLj32ELj32ELj256ELb0ELb0ELb1EEEvllPKT_S7_PKT0_SA_PS5_SB_: ; @_ZN2at6native12_GLOBAL__N_135GammaBetaBackwardCUDAKernelTemplateIN3c104HalfEfLj32ELj32ELj256ELb0ELb0ELb1EEEvllPKT_S7_PKT0_SA_PS5_SB_
; %bb.0:
	s_load_b256 s[4:11], s[0:1], 0x0
	s_bfe_u32 s3, ttmp6, 0x4000c
	s_bfe_u32 s12, ttmp6, 0x40010
	s_add_co_i32 s3, s3, 1
	s_add_co_i32 s12, s12, 1
	s_and_b32 s2, ttmp6, 15
	s_bfe_u32 s13, ttmp6, 0x40004
	s_mul_i32 s3, ttmp9, s3
	s_mul_i32 s12, ttmp7, s12
	s_getreg_b32 s14, hwreg(HW_REG_IB_STS2, 6, 4)
	s_add_co_i32 s2, s2, s3
	s_add_co_i32 s13, s13, s12
	s_cmp_eq_u32 s14, 0
	s_mov_b32 s17, 0
	s_cselect_b32 s12, ttmp9, s2
	s_cselect_b32 s2, ttmp7, s13
	s_lshl_b32 s3, s12, 5
	s_load_b64 s[14:15], s[0:1], 0x28
	s_or_b32 s16, s3, 31
	s_wait_kmcnt 0x0
	v_cmp_le_i64_e64 s18, s[6:7], s[16:17]
	s_lshl_b32 s16, s2, 8
	s_delay_alu instid0(SALU_CYCLE_1) | instskip(SKIP_2) | instid1(VALU_DEP_1)
	v_cmp_gt_i64_e64 s13, s[4:5], s[16:17]
	s_and_b32 vcc_lo, exec_lo, s18
	v_cndmask_b32_e64 v1, 0, 1, s13
	v_cmp_ne_u32_e64 s2, 1, v1
	s_cbranch_vccz .LBB184_49
; %bb.1:
	v_mov_b32_e32 v3, 0
	s_and_b32 vcc_lo, exec_lo, s2
	s_cbranch_vccnz .LBB184_50
; %bb.2:
	v_bfe_u32 v1, v0, 10, 10
	v_mov_b32_e32 v2, 0
	v_and_b32_e32 v58, 0x3ff, v0
	s_load_b32 s18, s[0:1], 0x44
	s_mov_b32 s19, 0
	s_delay_alu instid0(VALU_DEP_2) | instskip(NEXT) | instid1(VALU_DEP_2)
	v_dual_mov_b32 v21, v2 :: v_dual_lshlrev_b32 v20, 3, v1
	v_dual_mov_b32 v19, v2 :: v_dual_add_nc_u32 v18, s3, v58
	v_mov_b32_e32 v59, 0
	s_mov_b32 s35, s19
	s_delay_alu instid0(VALU_DEP_3)
	v_add_nc_u64_e32 v[4:5], s[16:17], v[20:21]
	s_add_nc_u64 s[20:21], s[0:1], 64
	v_cmp_gt_i64_e64 s2, s[6:7], v[18:19]
	v_lshlrev_b64_e32 v[22:23], 1, v[18:19]
	s_mov_b64 s[22:23], 0xffffffffffffff01
	s_mov_b64 s[24:25], 0xffffffffffffff02
	;; [unrolled: 1-line block ×3, first 2 shown]
	v_mul_u64_e32 v[6:7], s[6:7], v[4:5]
	v_add_nc_u64_e32 v[8:9], 7, v[4:5]
	v_add_nc_u64_e32 v[10:11], 6, v[4:5]
	v_add_nc_u64_e32 v[12:13], 5, v[4:5]
	v_add_nc_u64_e32 v[14:15], 4, v[4:5]
	v_add_nc_u64_e32 v[16:17], 3, v[4:5]
	v_add_nc_u64_e32 v[4:5], 2, v[4:5]
	s_wait_kmcnt 0x0
	s_lshl_b32 s34, s18, 8
	v_mul_u64_e32 v[8:9], s[6:7], v[8:9]
	v_mul_u64_e32 v[10:11], s[6:7], v[10:11]
	;; [unrolled: 1-line block ×6, first 2 shown]
	s_mul_u64 s[42:43], s[6:7], s[34:35]
	s_mov_b64 s[28:29], 0xffffffffffffff04
	s_mov_b64 s[30:31], 0xffffffffffffff05
	s_mov_b64 s[36:37], 0xffffffffffffff06
	s_mov_b64 s[38:39], 0xffffffffffffff07
	s_mov_b64 s[40:41], 0xffffffffffffff08
	s_lshl_b64 s[42:43], s[42:43], 1
	s_add_nc_u64 s[44:45], s[16:17], 0xff
	s_mov_b64 s[46:47], s[16:17]
	v_lshlrev_b64_e32 v[26:27], 1, v[6:7]
	v_add_nc_u64_e32 v[6:7], s[6:7], v[6:7]
	s_delay_alu instid0(VALU_DEP_2)
	v_add_nc_u64_e32 v[24:25], s[8:9], v[26:27]
	v_lshlrev_b64_e32 v[8:9], 1, v[8:9]
	v_lshlrev_b64_e32 v[10:11], 1, v[10:11]
	;; [unrolled: 1-line block ×7, first 2 shown]
	v_add_nc_u64_e32 v[26:27], s[10:11], v[26:27]
	v_add_nc_u64_e32 v[28:29], s[8:9], v[8:9]
	;; [unrolled: 1-line block ×15, first 2 shown]
.LBB184_3:                              ; =>This Inner Loop Header: Depth=1
	v_cmp_ge_i64_e64 s18, s[44:45], s[4:5]
	v_add_nc_u64_e32 v[56:57], s[44:45], v[20:21]
                                        ; implicit-def: $vgpr4_vgpr5_vgpr6_vgpr7_vgpr8_vgpr9_vgpr10_vgpr11
                                        ; implicit-def: $vgpr3
                                        ; implicit-def: $vgpr12_vgpr13_vgpr14_vgpr15_vgpr16_vgpr17_vgpr18_vgpr19
                                        ; implicit-def: $vgpr4
	s_and_b32 vcc_lo, exec_lo, s18
	s_mov_b32 s18, -1
	s_cbranch_vccz .LBB184_25
; %bb.4:                                ;   in Loop: Header=BB184_3 Depth=1
	s_load_b32 s18, s[20:21], 0xc
	v_mov_b32_e32 v60, 0
	s_wait_kmcnt 0x0
	s_and_b32 s18, s18, 0xffff
	s_delay_alu instid0(SALU_CYCLE_1) | instskip(SKIP_1) | instid1(VALU_DEP_1)
	v_mad_u32_u24 v3, v1, s18, v58
	s_mov_b32 s18, exec_lo
	v_and_b32_e32 v4, 31, v3
	s_delay_alu instid0(VALU_DEP_1)
	v_cmpx_gt_u32_e32 8, v4
	s_cbranch_execz .LBB184_8
; %bb.5:                                ;   in Loop: Header=BB184_3 Depth=1
	v_dual_mov_b32 v5, v2 :: v_dual_mov_b32 v60, 0
	s_mov_b32 s33, exec_lo
	s_delay_alu instid0(VALU_DEP_1) | instskip(NEXT) | instid1(VALU_DEP_1)
	v_add_nc_u64_e32 v[4:5], v[56:57], v[4:5]
	v_add_nc_u64_e32 v[4:5], s[22:23], v[4:5]
	s_delay_alu instid0(VALU_DEP_1)
	v_cmpx_gt_i64_e64 s[4:5], v[4:5]
	s_cbranch_execz .LBB184_7
; %bb.6:                                ;   in Loop: Header=BB184_3 Depth=1
	v_lshl_add_u64 v[4:5], v[4:5], 2, s[14:15]
	global_load_b32 v60, v[4:5], off
.LBB184_7:                              ;   in Loop: Header=BB184_3 Depth=1
	s_wait_xcnt 0x0
	s_or_b32 exec_lo, exec_lo, s33
.LBB184_8:                              ;   in Loop: Header=BB184_3 Depth=1
	s_delay_alu instid0(SALU_CYCLE_1)
	s_or_b32 exec_lo, exec_lo, s18
	v_add_nc_u64_e32 v[10:11], s[22:23], v[56:57]
	v_dual_mov_b32 v7, v2 :: v_dual_mov_b32 v8, v2
	v_dual_mov_b32 v9, v2 :: v_dual_mov_b32 v3, v2
	;; [unrolled: 1-line block ×3, first 2 shown]
	v_mov_b32_e32 v6, v2
	v_cmp_gt_i64_e32 vcc_lo, s[4:5], v[10:11]
	s_delay_alu instid0(VALU_DEP_4)
	v_mov_b64_e32 v[18:19], v[8:9]
	v_mov_b64_e32 v[12:13], v[2:3]
	;; [unrolled: 1-line block ×8, first 2 shown]
	s_and_b32 s33, s2, vcc_lo
	s_delay_alu instid0(SALU_CYCLE_1)
	s_and_saveexec_b32 s18, s33
	s_cbranch_execz .LBB184_10
; %bb.9:                                ;   in Loop: Header=BB184_3 Depth=1
	v_add_nc_u64_e32 v[4:5], v[24:25], v[22:23]
	v_add_nc_u64_e32 v[6:7], v[26:27], v[22:23]
	v_dual_mov_b32 v9, v2 :: v_dual_mov_b32 v10, v2
	v_dual_mov_b32 v11, v2 :: v_dual_mov_b32 v13, v2
	;; [unrolled: 1-line block ×3, first 2 shown]
	global_load_u16 v3, v[4:5], off
	global_load_u16 v12, v[6:7], off
	s_wait_xcnt 0x0
	v_dual_mov_b32 v5, v2 :: v_dual_mov_b32 v6, v2
	v_dual_mov_b32 v7, v2 :: v_dual_mov_b32 v8, v2
	;; [unrolled: 1-line block ×4, first 2 shown]
	s_wait_loadcnt 0x1
	v_cvt_f32_f16_e32 v4, v3
	s_wait_loadcnt 0x0
	v_cvt_f32_f16_e32 v12, v12
.LBB184_10:                             ;   in Loop: Header=BB184_3 Depth=1
	s_or_b32 exec_lo, exec_lo, s18
	v_add_nc_u64_e32 v[62:63], s[24:25], v[56:57]
	s_delay_alu instid0(VALU_DEP_1) | instskip(SKIP_1) | instid1(SALU_CYCLE_1)
	v_cmp_gt_i64_e32 vcc_lo, s[4:5], v[62:63]
	s_and_b32 s33, s2, vcc_lo
	s_and_saveexec_b32 s18, s33
	s_cbranch_execz .LBB184_12
; %bb.11:                               ;   in Loop: Header=BB184_3 Depth=1
	v_add_nc_u64_e32 v[62:63], v[52:53], v[22:23]
	v_add_nc_u64_e32 v[64:65], v[54:55], v[22:23]
	global_load_u16 v3, v[62:63], off
	global_load_u16 v13, v[64:65], off
	s_wait_loadcnt 0x1
	v_cvt_f32_f16_e32 v5, v3
	s_wait_loadcnt 0x0
	v_cvt_f32_f16_e32 v13, v13
.LBB184_12:                             ;   in Loop: Header=BB184_3 Depth=1
	s_or_b32 exec_lo, exec_lo, s18
	v_add_nc_u64_e32 v[62:63], s[26:27], v[56:57]
	s_delay_alu instid0(VALU_DEP_1) | instskip(SKIP_1) | instid1(SALU_CYCLE_1)
	v_cmp_gt_i64_e32 vcc_lo, s[4:5], v[62:63]
	s_and_b32 s33, s2, vcc_lo
	s_and_saveexec_b32 s18, s33
	s_cbranch_execz .LBB184_14
; %bb.13:                               ;   in Loop: Header=BB184_3 Depth=1
	v_add_nc_u64_e32 v[62:63], v[48:49], v[22:23]
	v_add_nc_u64_e32 v[64:65], v[50:51], v[22:23]
	global_load_u16 v3, v[62:63], off
	global_load_u16 v14, v[64:65], off
	s_wait_loadcnt 0x1
	v_cvt_f32_f16_e32 v6, v3
	s_wait_loadcnt 0x0
	v_cvt_f32_f16_e32 v14, v14
.LBB184_14:                             ;   in Loop: Header=BB184_3 Depth=1
	;; [unrolled: 17-line block ×7, first 2 shown]
	s_or_b32 exec_lo, exec_lo, s18
	s_wait_loadcnt 0x0
	ds_bpermute_b32 v3, v2, v60
	ds_bpermute_b32 v62, v2, v60 offset:4
	ds_bpermute_b32 v63, v2, v60 offset:8
	;; [unrolled: 1-line block ×4, first 2 shown]
	v_pk_mul_f32 v[6:7], v[14:15], v[6:7]
	v_dual_mul_f32 v14, v12, v4 :: v_dual_mul_f32 v4, v13, v5
	v_pk_mul_f32 v[8:9], v[16:17], v[8:9]
	ds_bpermute_b32 v12, v2, v60 offset:20
	v_dual_mov_b32 v5, v6 :: v_dual_mov_b32 v6, v7
	ds_bpermute_b32 v13, v2, v60 offset:24
	s_mov_b32 s18, 0
	v_dual_mov_b32 v7, v8 :: v_dual_mul_f32 v15, v18, v10
	s_wait_dscnt 0x6
	v_dual_fma_f32 v3, v14, v3, v59 :: v_dual_mov_b32 v14, v9
	s_wait_dscnt 0x4
	v_pk_mul_f32 v[4:5], v[4:5], v[62:63]
	s_wait_dscnt 0x2
	v_pk_mul_f32 v[6:7], v[6:7], v[64:65]
	s_delay_alu instid0(VALU_DEP_2) | instskip(SKIP_2) | instid1(VALU_DEP_1)
	v_add_f32_e32 v3, v3, v4
	ds_bpermute_b32 v4, v2, v60 offset:28
	v_add_f32_e32 v3, v3, v5
	v_add_f32_e32 v3, v3, v6
	s_delay_alu instid0(VALU_DEP_1) | instskip(SKIP_2) | instid1(VALU_DEP_1)
	v_add_f32_e32 v3, v3, v7
	s_wait_dscnt 0x1
	v_pk_mul_f32 v[6:7], v[14:15], v[12:13]
	v_add_f32_e32 v3, v3, v6
	s_delay_alu instid0(VALU_DEP_1)
	v_add_f32_e32 v3, v3, v7
.LBB184_25:                             ;   in Loop: Header=BB184_3 Depth=1
	s_and_b32 vcc_lo, exec_lo, s18
	s_cbranch_vccz .LBB184_40
; %bb.26:                               ;   in Loop: Header=BB184_3 Depth=1
	s_load_b32 s18, s[20:21], 0x0
	v_mov_b32_e32 v60, 0
	s_wait_kmcnt 0x0
	s_cmp_lt_u32 s12, s18
	s_cselect_b32 s18, 12, 18
	s_delay_alu instid0(SALU_CYCLE_1)
	s_add_nc_u64 s[48:49], s[20:21], s[18:19]
	s_load_u16 s18, s[48:49], 0x0
	s_wait_kmcnt 0x0
	v_mad_u32_u24 v3, v1, s18, v58
	s_mov_b32 s18, exec_lo
	s_wait_dscnt 0x0
	s_delay_alu instid0(VALU_DEP_1) | instskip(NEXT) | instid1(VALU_DEP_1)
	v_and_b32_e32 v4, 31, v3
	v_cmpx_gt_u32_e32 8, v4
	s_cbranch_execz .LBB184_30
; %bb.27:                               ;   in Loop: Header=BB184_3 Depth=1
	v_dual_mov_b32 v5, v2 :: v_dual_mov_b32 v60, 0
	s_mov_b32 s33, exec_lo
	s_delay_alu instid0(VALU_DEP_1) | instskip(NEXT) | instid1(VALU_DEP_1)
	v_add_nc_u64_e32 v[4:5], v[56:57], v[4:5]
	v_add_nc_u64_e32 v[4:5], s[22:23], v[4:5]
	s_delay_alu instid0(VALU_DEP_1)
	v_cmpx_gt_i64_e64 s[4:5], v[4:5]
	s_cbranch_execz .LBB184_29
; %bb.28:                               ;   in Loop: Header=BB184_3 Depth=1
	v_lshl_add_u64 v[4:5], v[4:5], 2, s[14:15]
	global_load_b32 v60, v[4:5], off
.LBB184_29:                             ;   in Loop: Header=BB184_3 Depth=1
	s_wait_xcnt 0x0
	s_or_b32 exec_lo, exec_lo, s33
.LBB184_30:                             ;   in Loop: Header=BB184_3 Depth=1
	s_delay_alu instid0(SALU_CYCLE_1) | instskip(SKIP_4) | instid1(VALU_DEP_3)
	s_or_b32 exec_lo, exec_lo, s18
	v_dual_mov_b32 v7, v2 :: v_dual_mov_b32 v8, v2
	v_dual_mov_b32 v9, v2 :: v_dual_mov_b32 v3, v2
	;; [unrolled: 1-line block ×3, first 2 shown]
	v_mov_b32_e32 v6, v2
	v_mov_b64_e32 v[18:19], v[8:9]
	s_delay_alu instid0(VALU_DEP_4) | instskip(NEXT) | instid1(VALU_DEP_4)
	v_mov_b64_e32 v[12:13], v[2:3]
	v_mov_b64_e32 v[14:15], v[4:5]
	s_delay_alu instid0(VALU_DEP_4)
	v_mov_b64_e32 v[16:17], v[6:7]
	v_mov_b64_e32 v[10:11], v[8:9]
	;; [unrolled: 1-line block ×5, first 2 shown]
	s_and_saveexec_b32 s18, s2
	s_cbranch_execnz .LBB184_42
; %bb.31:                               ;   in Loop: Header=BB184_3 Depth=1
	s_or_b32 exec_lo, exec_lo, s18
	s_and_saveexec_b32 s18, s2
	s_cbranch_execnz .LBB184_43
.LBB184_32:                             ;   in Loop: Header=BB184_3 Depth=1
	s_or_b32 exec_lo, exec_lo, s18
	s_and_saveexec_b32 s18, s2
	s_cbranch_execnz .LBB184_44
.LBB184_33:                             ;   in Loop: Header=BB184_3 Depth=1
	s_or_b32 exec_lo, exec_lo, s18
	s_and_saveexec_b32 s18, s2
	s_cbranch_execnz .LBB184_45
.LBB184_34:                             ;   in Loop: Header=BB184_3 Depth=1
	s_or_b32 exec_lo, exec_lo, s18
	s_and_saveexec_b32 s18, s2
	s_cbranch_execnz .LBB184_46
.LBB184_35:                             ;   in Loop: Header=BB184_3 Depth=1
	s_or_b32 exec_lo, exec_lo, s18
	s_and_saveexec_b32 s18, s2
	s_cbranch_execnz .LBB184_47
.LBB184_36:                             ;   in Loop: Header=BB184_3 Depth=1
	s_or_b32 exec_lo, exec_lo, s18
	s_and_saveexec_b32 s18, s2
	s_cbranch_execnz .LBB184_48
.LBB184_37:                             ;   in Loop: Header=BB184_3 Depth=1
	s_or_b32 exec_lo, exec_lo, s18
	s_and_saveexec_b32 s18, s2
	s_cbranch_execz .LBB184_39
.LBB184_38:                             ;   in Loop: Header=BB184_3 Depth=1
	v_add_nc_u64_e32 v[56:57], v[28:29], v[22:23]
	v_add_nc_u64_e32 v[62:63], v[30:31], v[22:23]
	global_load_u16 v3, v[56:57], off
	global_load_u16 v19, v[62:63], off
	s_wait_loadcnt 0x1
	v_cvt_f32_f16_e32 v11, v3
	s_wait_loadcnt 0x0
	v_cvt_f32_f16_e32 v19, v19
.LBB184_39:                             ;   in Loop: Header=BB184_3 Depth=1
	s_or_b32 exec_lo, exec_lo, s18
	s_wait_loadcnt 0x0
	ds_bpermute_b32 v3, v2, v60
	ds_bpermute_b32 v56, v2, v60 offset:4
	ds_bpermute_b32 v57, v2, v60 offset:8
	;; [unrolled: 1-line block ×4, first 2 shown]
	v_pk_mul_f32 v[6:7], v[14:15], v[6:7]
	v_dual_mul_f32 v14, v12, v4 :: v_dual_mul_f32 v4, v13, v5
	v_pk_mul_f32 v[8:9], v[16:17], v[8:9]
	ds_bpermute_b32 v12, v2, v60 offset:20
	v_dual_mov_b32 v5, v6 :: v_dual_mov_b32 v6, v7
	ds_bpermute_b32 v13, v2, v60 offset:24
	v_dual_mov_b32 v7, v8 :: v_dual_mul_f32 v15, v18, v10
	s_wait_dscnt 0x6
	v_dual_fmac_f32 v59, v14, v3 :: v_dual_mov_b32 v14, v9
	s_wait_dscnt 0x4
	v_pk_mul_f32 v[4:5], v[4:5], v[56:57]
	s_wait_dscnt 0x2
	v_pk_mul_f32 v[6:7], v[6:7], v[62:63]
	s_delay_alu instid0(VALU_DEP_2) | instskip(SKIP_2) | instid1(VALU_DEP_1)
	v_add_f32_e32 v3, v59, v4
	ds_bpermute_b32 v4, v2, v60 offset:28
	v_add_f32_e32 v3, v3, v5
	v_add_f32_e32 v3, v3, v6
	s_delay_alu instid0(VALU_DEP_1) | instskip(SKIP_2) | instid1(VALU_DEP_1)
	v_add_f32_e32 v3, v3, v7
	s_wait_dscnt 0x1
	v_pk_mul_f32 v[6:7], v[14:15], v[12:13]
	v_add_f32_e32 v3, v3, v6
	s_delay_alu instid0(VALU_DEP_1)
	v_add_f32_e32 v3, v3, v7
.LBB184_40:                             ;   in Loop: Header=BB184_3 Depth=1
	s_add_nc_u64 s[46:47], s[46:47], s[34:35]
	v_mul_f32_e32 v5, v11, v19
	v_cmp_lt_i64_e64 s18, s[46:47], s[4:5]
	v_add_nc_u64_e32 v[24:25], s[42:43], v[24:25]
	v_add_nc_u64_e32 v[26:27], s[42:43], v[26:27]
	;; [unrolled: 1-line block ×16, first 2 shown]
	s_wait_dscnt 0x0
	v_fmac_f32_e32 v3, v5, v4
	s_and_b32 vcc_lo, exec_lo, s18
	s_add_nc_u64 s[44:45], s[44:45], s[34:35]
	s_cbranch_vccz .LBB184_50
; %bb.41:                               ;   in Loop: Header=BB184_3 Depth=1
	s_delay_alu instid0(VALU_DEP_1)
	v_mov_b32_e32 v59, v3
	s_branch .LBB184_3
.LBB184_42:                             ;   in Loop: Header=BB184_3 Depth=1
	v_add_nc_u64_e32 v[4:5], v[24:25], v[22:23]
	v_add_nc_u64_e32 v[6:7], v[26:27], v[22:23]
	v_dual_mov_b32 v9, v2 :: v_dual_mov_b32 v10, v2
	v_dual_mov_b32 v11, v2 :: v_dual_mov_b32 v13, v2
	;; [unrolled: 1-line block ×3, first 2 shown]
	global_load_u16 v3, v[4:5], off
	global_load_u16 v12, v[6:7], off
	s_wait_xcnt 0x0
	v_dual_mov_b32 v5, v2 :: v_dual_mov_b32 v6, v2
	v_dual_mov_b32 v7, v2 :: v_dual_mov_b32 v8, v2
	;; [unrolled: 1-line block ×4, first 2 shown]
	s_wait_loadcnt 0x1
	v_cvt_f32_f16_e32 v4, v3
	s_wait_loadcnt 0x0
	v_cvt_f32_f16_e32 v12, v12
	s_or_b32 exec_lo, exec_lo, s18
	s_and_saveexec_b32 s18, s2
	s_cbranch_execz .LBB184_32
.LBB184_43:                             ;   in Loop: Header=BB184_3 Depth=1
	v_add_nc_u64_e32 v[56:57], v[52:53], v[22:23]
	v_add_nc_u64_e32 v[62:63], v[54:55], v[22:23]
	global_load_u16 v3, v[56:57], off
	global_load_u16 v13, v[62:63], off
	s_wait_loadcnt 0x1
	v_cvt_f32_f16_e32 v5, v3
	s_wait_loadcnt 0x0
	v_cvt_f32_f16_e32 v13, v13
	s_or_b32 exec_lo, exec_lo, s18
	s_and_saveexec_b32 s18, s2
	s_cbranch_execz .LBB184_33
.LBB184_44:                             ;   in Loop: Header=BB184_3 Depth=1
	v_add_nc_u64_e32 v[56:57], v[48:49], v[22:23]
	v_add_nc_u64_e32 v[62:63], v[50:51], v[22:23]
	global_load_u16 v3, v[56:57], off
	global_load_u16 v14, v[62:63], off
	s_wait_loadcnt 0x1
	v_cvt_f32_f16_e32 v6, v3
	s_wait_loadcnt 0x0
	v_cvt_f32_f16_e32 v14, v14
	s_or_b32 exec_lo, exec_lo, s18
	s_and_saveexec_b32 s18, s2
	s_cbranch_execz .LBB184_34
.LBB184_45:                             ;   in Loop: Header=BB184_3 Depth=1
	v_add_nc_u64_e32 v[56:57], v[44:45], v[22:23]
	v_add_nc_u64_e32 v[62:63], v[46:47], v[22:23]
	global_load_u16 v3, v[56:57], off
	global_load_u16 v15, v[62:63], off
	s_wait_loadcnt 0x1
	v_cvt_f32_f16_e32 v7, v3
	s_wait_loadcnt 0x0
	v_cvt_f32_f16_e32 v15, v15
	s_or_b32 exec_lo, exec_lo, s18
	s_and_saveexec_b32 s18, s2
	s_cbranch_execz .LBB184_35
.LBB184_46:                             ;   in Loop: Header=BB184_3 Depth=1
	v_add_nc_u64_e32 v[56:57], v[40:41], v[22:23]
	v_add_nc_u64_e32 v[62:63], v[42:43], v[22:23]
	global_load_u16 v3, v[56:57], off
	global_load_u16 v16, v[62:63], off
	s_wait_loadcnt 0x1
	v_cvt_f32_f16_e32 v8, v3
	s_wait_loadcnt 0x0
	v_cvt_f32_f16_e32 v16, v16
	s_or_b32 exec_lo, exec_lo, s18
	s_and_saveexec_b32 s18, s2
	s_cbranch_execz .LBB184_36
.LBB184_47:                             ;   in Loop: Header=BB184_3 Depth=1
	v_add_nc_u64_e32 v[56:57], v[36:37], v[22:23]
	v_add_nc_u64_e32 v[62:63], v[38:39], v[22:23]
	global_load_u16 v3, v[56:57], off
	global_load_u16 v17, v[62:63], off
	s_wait_loadcnt 0x1
	v_cvt_f32_f16_e32 v9, v3
	s_wait_loadcnt 0x0
	v_cvt_f32_f16_e32 v17, v17
	s_or_b32 exec_lo, exec_lo, s18
	s_and_saveexec_b32 s18, s2
	s_cbranch_execz .LBB184_37
.LBB184_48:                             ;   in Loop: Header=BB184_3 Depth=1
	v_add_nc_u64_e32 v[56:57], v[32:33], v[22:23]
	v_add_nc_u64_e32 v[62:63], v[34:35], v[22:23]
	global_load_u16 v3, v[56:57], off
	global_load_u16 v18, v[62:63], off
	s_wait_loadcnt 0x1
	v_cvt_f32_f16_e32 v10, v3
	s_wait_loadcnt 0x0
	v_cvt_f32_f16_e32 v18, v18
	s_or_b32 exec_lo, exec_lo, s18
	s_and_saveexec_b32 s18, s2
	s_cbranch_execnz .LBB184_38
	s_branch .LBB184_39
.LBB184_49:
                                        ; implicit-def: $vgpr3
	s_branch .LBB184_51
.LBB184_50:
	s_cbranch_execnz .LBB184_83
.LBB184_51:
	v_mov_b32_e32 v3, 0
	s_and_not1_b32 vcc_lo, exec_lo, s13
	s_cbranch_vccnz .LBB184_83
; %bb.52:
	v_bfe_u32 v1, v0, 10, 10
	v_mov_b32_e32 v2, 0
	v_and_b32_e32 v86, 0x3ff, v0
	s_load_b32 s2, s[0:1], 0x44
	s_mov_b64 s[20:21], 0xffffffffffffff03
	s_delay_alu instid0(VALU_DEP_2) | instskip(SKIP_3) | instid1(VALU_DEP_2)
	v_dual_mov_b32 v5, v2 :: v_dual_lshlrev_b32 v4, 4, v1
	v_dual_mov_b32 v21, v2 :: v_dual_lshlrev_b32 v20, 3, v1
	s_mov_b64 s[22:23], 0xffffffffffffff04
	s_mov_b64 s[24:25], 0xffffffffffffff05
	v_lshl_add_u64 v[6:7], s[16:17], 1, v[4:5]
	s_mov_b64 s[26:27], 0xffffffffffffff06
	s_mov_b64 s[28:29], 0xffffffffffffff07
	;; [unrolled: 1-line block ×3, first 2 shown]
	s_add_nc_u64 s[34:35], s[0:1], 64
	v_add_nc_u64_e32 v[12:13], 2, v[6:7]
	v_add_nc_u64_e32 v[14:15], 4, v[6:7]
	v_add_nc_u64_e32 v[16:17], 6, v[6:7]
	v_add_nc_u64_e32 v[18:19], 8, v[6:7]
	v_add_nc_u64_e32 v[10:11], 10, v[6:7]
	v_add_nc_u64_e32 v[44:45], 12, v[6:7]
	v_add_nc_u64_e32 v[6:7], 14, v[6:7]
	v_mad_nc_u64_u32 v[22:23], s6, v12, s[8:9]
	v_mul_lo_u32 v3, s6, v13
	v_mul_lo_u32 v46, s7, v12
	v_mad_nc_u64_u32 v[24:25], s6, v14, s[8:9]
	v_mul_lo_u32 v47, s6, v15
	v_mul_lo_u32 v48, s7, v14
	;; [unrolled: 3-line block ×3, first 2 shown]
	v_mad_nc_u64_u32 v[32:33], s6, v12, s[10:11]
	v_mad_nc_u64_u32 v[34:35], s6, v14, s[10:11]
	;; [unrolled: 1-line block ×4, first 2 shown]
	v_add3_u32 v23, v46, v23, v3
	v_mul_lo_u32 v51, s6, v19
	v_mul_lo_u32 v52, s7, v18
	v_add3_u32 v25, v48, v25, v47
	v_mad_nc_u64_u32 v[40:41], s6, v18, s[10:11]
	v_mad_nc_u64_u32 v[30:31], s6, v10, s[8:9]
	v_add3_u32 v27, v50, v27, v49
	v_add3_u32 v33, v46, v33, v3
	;; [unrolled: 1-line block ×4, first 2 shown]
	v_mad_nc_u64_u32 v[46:47], s6, v6, s[8:9]
	v_mul_lo_u32 v50, s7, v6
	v_mad_nc_u64_u32 v[48:49], s6, v6, s[10:11]
	v_add_nc_u32_e32 v6, s3, v86
	v_add_nc_u64_e32 v[4:5], s[16:17], v[20:21]
	v_mul_lo_u32 v53, s6, v11
	v_mul_lo_u32 v54, s7, v10
	;; [unrolled: 1-line block ×3, first 2 shown]
	v_dual_mov_b32 v7, v2 :: v_dual_mov_b32 v87, 0
	v_mad_nc_u64_u32 v[38:39], s6, v44, s[8:9]
	v_add_nc_u64_e32 v[12:13], 7, v[4:5]
	v_add_nc_u64_e32 v[14:15], 6, v[4:5]
	v_mul_u64_e32 v[8:9], s[6:7], v[4:5]
	v_add_nc_u64_e32 v[16:17], 5, v[4:5]
	v_add_nc_u64_e32 v[42:43], 4, v[4:5]
	;; [unrolled: 1-line block ×4, first 2 shown]
	v_mul_u64_e32 v[12:13], s[6:7], v[12:13]
	v_mul_u64_e32 v[14:15], s[6:7], v[14:15]
	v_mul_lo_u32 v55, s6, v45
	v_mul_u64_e32 v[16:17], s[6:7], v[16:17]
	v_mul_u64_e32 v[60:61], s[6:7], v[42:43]
	v_mad_nc_u64_u32 v[42:43], s6, v10, s[10:11]
	v_mul_u64_e32 v[10:11], s[6:7], v[18:19]
	v_mul_u64_e32 v[4:5], s[6:7], v[4:5]
	v_mul_lo_u32 v56, s7, v44
	v_mad_nc_u64_u32 v[44:45], s6, v44, s[10:11]
	v_add3_u32 v29, v52, v29, v51
	v_add3_u32 v41, v52, v41, v51
	;; [unrolled: 1-line block ×4, first 2 shown]
	v_lshlrev_b64_e32 v[50:51], 1, v[6:7]
	s_mov_b32 s3, 0
	v_add3_u32 v31, v54, v31, v53
	v_add3_u32 v43, v54, v43, v53
	s_wait_kmcnt 0x0
	s_lshl_b32 s18, s2, 8
	v_add3_u32 v39, v56, v39, v55
	v_add3_u32 v45, v56, v45, v55
	s_mov_b32 s19, s3
	s_add_nc_u64 s[38:39], s[16:17], 0xff
	s_mul_u64 s[36:37], s[6:7], s[18:19]
	s_delay_alu instid0(SALU_CYCLE_1) | instskip(SKIP_4) | instid1(VALU_DEP_4)
	s_lshl_b64 s[36:37], s[36:37], 1
	v_lshlrev_b64_e32 v[18:19], 1, v[8:9]
	v_add_nc_u64_e32 v[8:9], s[6:7], v[8:9]
	v_lshlrev_b64_e32 v[12:13], 1, v[12:13]
	v_lshlrev_b64_e32 v[6:7], 1, v[14:15]
	v_add_nc_u64_e32 v[52:53], s[8:9], v[18:19]
	s_delay_alu instid0(VALU_DEP_4)
	v_lshlrev_b64_e32 v[8:9], 1, v[8:9]
	v_lshlrev_b64_e32 v[14:15], 1, v[60:61]
	v_add_nc_u64_e32 v[54:55], s[10:11], v[18:19]
	v_add_nc_u64_e32 v[56:57], s[8:9], v[12:13]
	;; [unrolled: 1-line block ×3, first 2 shown]
	v_lshlrev_b64_e32 v[12:13], 1, v[16:17]
	v_add_nc_u64_e32 v[60:61], s[8:9], v[6:7]
	v_add_nc_u64_e32 v[62:63], s[10:11], v[6:7]
	v_lshlrev_b64_e32 v[6:7], 1, v[10:11]
	v_lshlrev_b64_e32 v[4:5], 1, v[4:5]
	v_add_nc_u64_e32 v[68:69], s[8:9], v[14:15]
	v_add_nc_u64_e32 v[70:71], s[10:11], v[14:15]
	;; [unrolled: 1-line block ×10, first 2 shown]
	s_mov_b64 s[8:9], 0xffffffffffffff01
	s_mov_b64 s[10:11], 0xffffffffffffff02
.LBB184_53:                             ; =>This Inner Loop Header: Depth=1
	v_cmp_ge_i64_e64 s2, s[38:39], s[4:5]
	v_add_nc_u64_e32 v[84:85], s[38:39], v[20:21]
                                        ; implicit-def: $vgpr3
	s_and_b32 vcc_lo, exec_lo, s2
	s_mov_b32 s2, -1
	s_cbranch_vccz .LBB184_75
; %bb.54:                               ;   in Loop: Header=BB184_53 Depth=1
	s_load_b32 s2, s[34:35], 0xc
	v_mov_b32_e32 v88, 0
	s_wait_kmcnt 0x0
	s_and_b32 s2, s2, 0xffff
	s_delay_alu instid0(SALU_CYCLE_1) | instskip(SKIP_1) | instid1(VALU_DEP_1)
	v_mad_u32_u24 v3, v1, s2, v86
	s_mov_b32 s2, exec_lo
	v_and_b32_e32 v4, 31, v3
	s_delay_alu instid0(VALU_DEP_1)
	v_cmpx_gt_u32_e32 8, v4
	s_cbranch_execz .LBB184_58
; %bb.55:                               ;   in Loop: Header=BB184_53 Depth=1
	v_dual_mov_b32 v5, v2 :: v_dual_mov_b32 v88, 0
	s_mov_b32 s13, exec_lo
	s_delay_alu instid0(VALU_DEP_1) | instskip(NEXT) | instid1(VALU_DEP_1)
	v_add_nc_u64_e32 v[4:5], v[84:85], v[4:5]
	v_add_nc_u64_e32 v[4:5], s[8:9], v[4:5]
	s_delay_alu instid0(VALU_DEP_1)
	v_cmpx_gt_i64_e64 s[4:5], v[4:5]
	s_cbranch_execz .LBB184_57
; %bb.56:                               ;   in Loop: Header=BB184_53 Depth=1
	v_lshl_add_u64 v[4:5], v[4:5], 2, s[14:15]
	global_load_b32 v88, v[4:5], off
.LBB184_57:                             ;   in Loop: Header=BB184_53 Depth=1
	s_wait_xcnt 0x0
	s_or_b32 exec_lo, exec_lo, s13
.LBB184_58:                             ;   in Loop: Header=BB184_53 Depth=1
	s_delay_alu instid0(SALU_CYCLE_1)
	s_or_b32 exec_lo, exec_lo, s2
	v_add_nc_u64_e32 v[10:11], s[8:9], v[84:85]
	v_dual_mov_b32 v7, v2 :: v_dual_mov_b32 v8, v2
	v_dual_mov_b32 v9, v2 :: v_dual_mov_b32 v3, v2
	;; [unrolled: 1-line block ×3, first 2 shown]
	v_mov_b32_e32 v6, v2
	s_delay_alu instid0(VALU_DEP_3)
	v_mov_b64_e32 v[18:19], v[8:9]
	v_cmp_gt_i64_e32 vcc_lo, s[4:5], v[10:11]
	v_mov_b64_e32 v[12:13], v[2:3]
	v_mov_b64_e32 v[14:15], v[4:5]
	;; [unrolled: 1-line block ×7, first 2 shown]
	s_and_saveexec_b32 s2, vcc_lo
	s_cbranch_execz .LBB184_60
; %bb.59:                               ;   in Loop: Header=BB184_53 Depth=1
	v_add_nc_u64_e32 v[4:5], v[52:53], v[50:51]
	v_add_nc_u64_e32 v[6:7], v[54:55], v[50:51]
	v_dual_mov_b32 v9, v2 :: v_dual_mov_b32 v10, v2
	v_dual_mov_b32 v11, v2 :: v_dual_mov_b32 v13, v2
	;; [unrolled: 1-line block ×3, first 2 shown]
	global_load_u16 v3, v[4:5], off
	global_load_u16 v12, v[6:7], off
	s_wait_xcnt 0x0
	v_dual_mov_b32 v5, v2 :: v_dual_mov_b32 v6, v2
	v_dual_mov_b32 v7, v2 :: v_dual_mov_b32 v8, v2
	;; [unrolled: 1-line block ×4, first 2 shown]
	s_wait_loadcnt 0x1
	v_cvt_f32_f16_e32 v4, v3
	s_wait_loadcnt 0x0
	v_cvt_f32_f16_e32 v12, v12
.LBB184_60:                             ;   in Loop: Header=BB184_53 Depth=1
	s_or_b32 exec_lo, exec_lo, s2
	v_add_nc_u64_e32 v[90:91], s[10:11], v[84:85]
	s_mov_b32 s2, exec_lo
	s_delay_alu instid0(VALU_DEP_1)
	v_cmpx_gt_i64_e64 s[4:5], v[90:91]
	s_cbranch_execz .LBB184_62
; %bb.61:                               ;   in Loop: Header=BB184_53 Depth=1
	v_add_nc_u64_e32 v[90:91], v[80:81], v[50:51]
	v_add_nc_u64_e32 v[92:93], v[82:83], v[50:51]
	global_load_u16 v3, v[90:91], off
	global_load_u16 v13, v[92:93], off
	s_wait_loadcnt 0x1
	v_cvt_f32_f16_e32 v5, v3
	s_wait_loadcnt 0x0
	v_cvt_f32_f16_e32 v13, v13
.LBB184_62:                             ;   in Loop: Header=BB184_53 Depth=1
	s_or_b32 exec_lo, exec_lo, s2
	v_add_nc_u64_e32 v[90:91], s[20:21], v[84:85]
	s_mov_b32 s2, exec_lo
	s_delay_alu instid0(VALU_DEP_1)
	v_cmpx_gt_i64_e64 s[4:5], v[90:91]
	s_cbranch_execz .LBB184_64
; %bb.63:                               ;   in Loop: Header=BB184_53 Depth=1
	v_add_nc_u64_e32 v[90:91], v[76:77], v[50:51]
	v_add_nc_u64_e32 v[92:93], v[78:79], v[50:51]
	global_load_u16 v3, v[90:91], off
	global_load_u16 v14, v[92:93], off
	s_wait_loadcnt 0x1
	v_cvt_f32_f16_e32 v6, v3
	s_wait_loadcnt 0x0
	v_cvt_f32_f16_e32 v14, v14
.LBB184_64:                             ;   in Loop: Header=BB184_53 Depth=1
	;; [unrolled: 16-line block ×7, first 2 shown]
	s_or_b32 exec_lo, exec_lo, s2
	s_wait_loadcnt 0x0
	ds_bpermute_b32 v90, v2, v88
	ds_bpermute_b32 v91, v2, v88 offset:4
	ds_bpermute_b32 v92, v2, v88 offset:8
	;; [unrolled: 1-line block ×3, first 2 shown]
	v_pk_mul_f32 v[4:5], v[12:13], v[4:5]
	ds_bpermute_b32 v12, v2, v88 offset:16
	ds_bpermute_b32 v13, v2, v88 offset:20
	v_pk_mul_f32 v[6:7], v[14:15], v[6:7]
	v_pk_mul_f32 v[8:9], v[16:17], v[8:9]
	s_mov_b32 s2, 0
	s_wait_dscnt 0x4
	v_pk_mul_f32 v[4:5], v[4:5], v[90:91]
	s_wait_dscnt 0x2
	v_pk_mul_f32 v[6:7], v[6:7], v[92:93]
	;; [unrolled: 2-line block ×3, first 2 shown]
	v_add_f32_e32 v3, v87, v4
	ds_bpermute_b32 v4, v2, v88 offset:24
	v_add_f32_e32 v3, v3, v5
	ds_bpermute_b32 v5, v2, v88 offset:28
	v_add_f32_e32 v3, v3, v6
	s_delay_alu instid0(VALU_DEP_1) | instskip(SKIP_1) | instid1(VALU_DEP_2)
	v_add_f32_e32 v3, v3, v7
	v_pk_mul_f32 v[6:7], v[18:19], v[10:11]
	v_add_f32_e32 v3, v3, v8
	s_delay_alu instid0(VALU_DEP_1) | instskip(SKIP_1) | instid1(VALU_DEP_3)
	v_add_f32_e32 v3, v3, v9
	s_wait_dscnt 0x0
	v_pk_mul_f32 v[4:5], v[6:7], v[4:5]
	s_delay_alu instid0(VALU_DEP_1) | instskip(NEXT) | instid1(VALU_DEP_1)
	v_add_f32_e32 v3, v3, v4
	v_add_f32_e32 v3, v3, v5
.LBB184_75:                             ;   in Loop: Header=BB184_53 Depth=1
	s_and_b32 vcc_lo, exec_lo, s2
	s_cbranch_vccz .LBB184_81
; %bb.76:                               ;   in Loop: Header=BB184_53 Depth=1
	s_load_b32 s2, s[34:35], 0x0
	s_wait_kmcnt 0x0
	s_cmp_lt_u32 s12, s2
	s_cselect_b32 s2, 12, 18
	s_delay_alu instid0(SALU_CYCLE_1) | instskip(SKIP_4) | instid1(VALU_DEP_1)
	s_add_nc_u64 s[40:41], s[34:35], s[2:3]
	s_load_u16 s2, s[40:41], 0x0
	s_wait_kmcnt 0x0
	v_mad_u32_u24 v3, v1, s2, v86
	s_mov_b32 s2, exec_lo
	v_dual_mov_b32 v3, 0 :: v_dual_bitop2_b32 v4, 31, v3 bitop3:0x40
	s_delay_alu instid0(VALU_DEP_1)
	v_cmpx_gt_u32_e32 8, v4
	s_cbranch_execz .LBB184_80
; %bb.77:                               ;   in Loop: Header=BB184_53 Depth=1
	v_dual_mov_b32 v5, v2 :: v_dual_mov_b32 v3, 0
	s_mov_b32 s13, exec_lo
	s_delay_alu instid0(VALU_DEP_1) | instskip(NEXT) | instid1(VALU_DEP_1)
	v_add_nc_u64_e32 v[4:5], v[84:85], v[4:5]
	v_add_nc_u64_e32 v[4:5], s[8:9], v[4:5]
	s_delay_alu instid0(VALU_DEP_1)
	v_cmpx_gt_i64_e64 s[4:5], v[4:5]
	s_cbranch_execz .LBB184_79
; %bb.78:                               ;   in Loop: Header=BB184_53 Depth=1
	v_lshl_add_u64 v[4:5], v[4:5], 2, s[14:15]
	global_load_b32 v3, v[4:5], off
.LBB184_79:                             ;   in Loop: Header=BB184_53 Depth=1
	s_wait_xcnt 0x0
	s_or_b32 exec_lo, exec_lo, s13
.LBB184_80:                             ;   in Loop: Header=BB184_53 Depth=1
	s_delay_alu instid0(SALU_CYCLE_1)
	s_or_b32 exec_lo, exec_lo, s2
	v_add_nc_u64_e32 v[4:5], v[22:23], v[50:51]
	v_add_nc_u64_e32 v[6:7], v[52:53], v[50:51]
	;; [unrolled: 1-line block ×6, first 2 shown]
	global_load_u16 v16, v[4:5], off
	global_load_u16 v17, v[6:7], off
	;; [unrolled: 1-line block ×4, first 2 shown]
	s_wait_xcnt 0x3
	v_add_nc_u64_e32 v[4:5], v[36:37], v[50:51]
	s_wait_xcnt 0x2
	v_add_nc_u64_e32 v[6:7], v[34:35], v[50:51]
	;; [unrolled: 2-line block ×3, first 2 shown]
	v_add_nc_u64_e32 v[8:9], v[28:29], v[50:51]
	global_load_u16 v14, v[14:15], off
	global_load_u16 v15, v[12:13], off
	global_load_u16 v84, v[4:5], off
	global_load_u16 v85, v[6:7], off
	s_wait_xcnt 0x1
	v_add_nc_u64_e32 v[4:5], v[42:43], v[50:51]
	s_wait_xcnt 0x0
	v_add_nc_u64_e32 v[6:7], v[40:41], v[50:51]
	s_wait_loadcnt 0x8
	ds_bpermute_b32 v12, v2, v3 offset:16
	global_load_u16 v88, v[10:11], off
	global_load_u16 v89, v[8:9], off
	;; [unrolled: 1-line block ×4, first 2 shown]
	s_wait_xcnt 0x1
	v_add_nc_u64_e32 v[4:5], v[46:47], v[50:51]
	s_wait_xcnt 0x0
	v_add_nc_u64_e32 v[6:7], v[38:39], v[50:51]
	v_add_nc_u64_e32 v[8:9], v[48:49], v[50:51]
	;; [unrolled: 1-line block ×3, first 2 shown]
	global_load_u16 v92, v[4:5], off
	global_load_u16 v93, v[6:7], off
	;; [unrolled: 1-line block ×4, first 2 shown]
	s_wait_xcnt 0x3
	ds_bpermute_b32 v4, v2, v3
	ds_bpermute_b32 v5, v2, v3 offset:4
	s_wait_xcnt 0x2
	ds_bpermute_b32 v6, v2, v3 offset:8
	ds_bpermute_b32 v7, v2, v3 offset:12
	;; [unrolled: 1-line block ×3, first 2 shown]
	s_wait_loadcnt 0xf
	s_wait_xcnt 0x1
	v_cvt_f32_f16_e32 v9, v16
	s_wait_loadcnt 0xe
	v_cvt_f32_f16_e32 v8, v17
	s_wait_loadcnt 0xd
	s_wait_xcnt 0x0
	v_cvt_f32_f16_e32 v11, v18
	s_wait_loadcnt 0xc
	v_cvt_f32_f16_e32 v10, v19
	s_delay_alu instid0(VALU_DEP_1)
	v_pk_mul_f32 v[8:9], v[8:9], v[10:11]
	s_wait_loadcnt 0xb
	v_cvt_f32_f16_e32 v11, v14
	s_wait_loadcnt 0xa
	v_cvt_f32_f16_e32 v10, v15
	;; [unrolled: 2-line block ×4, first 2 shown]
	s_wait_dscnt 0x3
	v_pk_mul_f32 v[4:5], v[8:9], v[4:5]
	ds_bpermute_b32 v8, v2, v3 offset:24
	s_wait_loadcnt 0x7
	v_cvt_f32_f16_e32 v17, v88
	s_wait_loadcnt 0x6
	v_cvt_f32_f16_e32 v16, v89
	v_pk_mul_f32 v[10:11], v[10:11], v[14:15]
	s_wait_loadcnt 0x5
	v_cvt_f32_f16_e32 v15, v90
	s_wait_loadcnt 0x4
	v_cvt_f32_f16_e32 v14, v91
	ds_bpermute_b32 v9, v2, v3 offset:28
	s_wait_dscnt 0x3
	v_pk_mul_f32 v[6:7], v[10:11], v[6:7]
	v_add_f32_e32 v4, v87, v4
	s_wait_loadcnt 0x3
	v_cvt_f32_f16_e32 v11, v92
	s_delay_alu instid0(VALU_DEP_2)
	v_add_f32_e32 v10, v4, v5
	v_pk_mul_f32 v[4:5], v[16:17], v[14:15]
	s_wait_loadcnt 0x1
	v_cvt_f32_f16_e32 v15, v94
	s_wait_loadcnt 0x0
	v_cvt_f32_f16_e32 v14, v95
	v_add_f32_e32 v3, v10, v6
	v_cvt_f32_f16_e32 v10, v93
	s_wait_dscnt 0x2
	v_pk_mul_f32 v[4:5], v[4:5], v[12:13]
	s_delay_alu instid0(VALU_DEP_3) | instskip(NEXT) | instid1(VALU_DEP_3)
	v_add_f32_e32 v3, v3, v7
	v_pk_mul_f32 v[6:7], v[10:11], v[14:15]
	s_delay_alu instid0(VALU_DEP_2) | instskip(NEXT) | instid1(VALU_DEP_1)
	v_add_f32_e32 v3, v3, v4
	v_add_f32_e32 v3, v3, v5
	s_wait_dscnt 0x0
	s_delay_alu instid0(VALU_DEP_3) | instskip(NEXT) | instid1(VALU_DEP_1)
	v_pk_mul_f32 v[4:5], v[6:7], v[8:9]
	v_add_f32_e32 v3, v3, v4
	s_delay_alu instid0(VALU_DEP_1)
	v_add_f32_e32 v3, v3, v5
.LBB184_81:                             ;   in Loop: Header=BB184_53 Depth=1
	s_add_nc_u64 s[16:17], s[16:17], s[18:19]
	v_add_nc_u64_e32 v[52:53], s[36:37], v[52:53]
	v_cmp_ge_i64_e64 s2, s[16:17], s[4:5]
	v_add_nc_u64_e32 v[54:55], s[36:37], v[54:55]
	v_add_nc_u64_e32 v[22:23], s[36:37], v[22:23]
	;; [unrolled: 1-line block ×29, first 2 shown]
	s_and_b32 vcc_lo, exec_lo, s2
	s_add_nc_u64 s[38:39], s[38:39], s[18:19]
	s_cbranch_vccnz .LBB184_83
; %bb.82:                               ;   in Loop: Header=BB184_53 Depth=1
	v_mov_b32_e32 v87, v3
	s_branch .LBB184_53
.LBB184_83:
	v_and_b32_e32 v2, 0x3ff, v0
	v_bfe_u32 v1, v0, 10, 10
	v_bfe_u32 v0, v0, 5, 5
	s_mov_b32 s13, 0
	s_mov_b32 s2, exec_lo
	s_delay_alu instid0(VALU_DEP_2) | instskip(NEXT) | instid1(VALU_DEP_2)
	v_mad_u32_u24 v4, v1, 33, v2
	v_add_nc_u32_e32 v0, v0, v1
	s_delay_alu instid0(VALU_DEP_2)
	v_lshl_add_u32 v1, v4, 2, 0
	v_mov_b32_e32 v4, 0
	ds_store_b32 v1, v3
	ds_store_b32 v1, v4 offset:4224
	s_wait_dscnt 0x0
	s_barrier_signal -1
	s_barrier_wait -1
	v_cmpx_gt_u32_e32 32, v0
	s_cbranch_execz .LBB184_86
; %bb.84:
	v_dual_lshlrev_b32 v3, 2, v0 :: v_dual_bitop2_b32 v1, 31, v2 bitop3:0x40
	s_load_b64 s[2:3], s[0:1], 0x30
	s_wait_xcnt 0x0
	s_lshl_b64 s[0:1], s[12:13], 5
	s_delay_alu instid0(VALU_DEP_1) | instskip(SKIP_2) | instid1(VALU_DEP_3)
	v_mul_u32_u24_e32 v1, 0x84, v1
	v_or_b32_e32 v0, s0, v0
	v_cmp_eq_u32_e64 s0, 0, v2
	v_add3_u32 v1, 0, v3, v1
	v_mbcnt_lo_u32_b32 v3, -1, 0
	ds_load_b32 v1, v1
	v_xor_b32_e32 v5, 8, v3
	v_xor_b32_e32 v4, 16, v3
	s_delay_alu instid0(VALU_DEP_1)
	v_cmp_gt_i32_e32 vcc_lo, 32, v4
	s_wait_kmcnt 0x0
	s_cmp_lg_u64 s[2:3], 0
	v_cndmask_b32_e32 v4, v3, v4, vcc_lo
	v_cmp_gt_i32_e32 vcc_lo, 32, v5
	v_cndmask_b32_e32 v5, v3, v5, vcc_lo
	s_delay_alu instid0(VALU_DEP_1)
	v_dual_lshlrev_b32 v5, 2, v5 :: v_dual_lshlrev_b32 v4, 2, v4
	s_wait_dscnt 0x0
	ds_bpermute_b32 v4, v4, v1
	s_wait_dscnt 0x0
	v_add_f32_e32 v1, v1, v4
	ds_bpermute_b32 v4, v5, v1
	v_xor_b32_e32 v5, 4, v3
	s_delay_alu instid0(VALU_DEP_1) | instskip(SKIP_2) | instid1(VALU_DEP_1)
	v_cmp_gt_i32_e32 vcc_lo, 32, v5
	s_wait_dscnt 0x0
	v_dual_cndmask_b32 v5, v3, v5, vcc_lo :: v_dual_add_f32 v1, v1, v4
	v_lshlrev_b32_e32 v5, 2, v5
	ds_bpermute_b32 v4, v5, v1
	s_wait_dscnt 0x0
	v_dual_add_f32 v1, v1, v4 :: v_dual_bitop2_b32 v5, 2, v3 bitop3:0x14
	s_delay_alu instid0(VALU_DEP_1) | instskip(SKIP_1) | instid1(VALU_DEP_1)
	v_cmp_gt_i32_e32 vcc_lo, 32, v5
	v_cndmask_b32_e32 v5, v3, v5, vcc_lo
	v_lshlrev_b32_e32 v5, 2, v5
	ds_bpermute_b32 v4, v5, v1
	v_xor_b32_e32 v5, 1, v3
	s_delay_alu instid0(VALU_DEP_1) | instskip(SKIP_2) | instid1(VALU_DEP_1)
	v_cmp_gt_i32_e32 vcc_lo, 32, v5
	s_wait_dscnt 0x0
	v_dual_cndmask_b32 v5, v3, v5, vcc_lo :: v_dual_add_f32 v3, v1, v4
	v_lshlrev_b32_e32 v1, 2, v5
	ds_bpermute_b32 v4, v1, v3
	v_mov_b32_e32 v1, s1
	s_cselect_b32 s1, -1, 0
	s_delay_alu instid0(VALU_DEP_1) | instskip(SKIP_1) | instid1(SALU_CYCLE_1)
	v_cmp_gt_i64_e32 vcc_lo, s[6:7], v[0:1]
	s_and_b32 s0, s0, vcc_lo
	s_and_b32 s0, s1, s0
	s_delay_alu instid0(SALU_CYCLE_1)
	s_and_b32 exec_lo, exec_lo, s0
	s_cbranch_execz .LBB184_86
; %bb.85:
	s_wait_dscnt 0x0
	v_add_f32_e32 v2, v3, v4
	v_lshl_add_u64 v[0:1], v[0:1], 1, s[2:3]
	s_delay_alu instid0(VALU_DEP_2)
	v_cvt_f16_f32_e32 v2, v2
	global_store_b16 v[0:1], v2, off
.LBB184_86:
	s_sendmsg sendmsg(MSG_DEALLOC_VGPRS)
	s_endpgm
	.section	.rodata,"a",@progbits
	.p2align	6, 0x0
	.amdhsa_kernel _ZN2at6native12_GLOBAL__N_135GammaBetaBackwardCUDAKernelTemplateIN3c104HalfEfLj32ELj32ELj256ELb0ELb0ELb1EEEvllPKT_S7_PKT0_SA_PS5_SB_
		.amdhsa_group_segment_fixed_size 0
		.amdhsa_private_segment_fixed_size 0
		.amdhsa_kernarg_size 320
		.amdhsa_user_sgpr_count 2
		.amdhsa_user_sgpr_dispatch_ptr 0
		.amdhsa_user_sgpr_queue_ptr 0
		.amdhsa_user_sgpr_kernarg_segment_ptr 1
		.amdhsa_user_sgpr_dispatch_id 0
		.amdhsa_user_sgpr_kernarg_preload_length 0
		.amdhsa_user_sgpr_kernarg_preload_offset 0
		.amdhsa_user_sgpr_private_segment_size 0
		.amdhsa_wavefront_size32 1
		.amdhsa_uses_dynamic_stack 0
		.amdhsa_enable_private_segment 0
		.amdhsa_system_sgpr_workgroup_id_x 1
		.amdhsa_system_sgpr_workgroup_id_y 1
		.amdhsa_system_sgpr_workgroup_id_z 0
		.amdhsa_system_sgpr_workgroup_info 0
		.amdhsa_system_vgpr_workitem_id 1
		.amdhsa_next_free_vgpr 96
		.amdhsa_next_free_sgpr 50
		.amdhsa_named_barrier_count 0
		.amdhsa_reserve_vcc 1
		.amdhsa_float_round_mode_32 0
		.amdhsa_float_round_mode_16_64 0
		.amdhsa_float_denorm_mode_32 3
		.amdhsa_float_denorm_mode_16_64 3
		.amdhsa_fp16_overflow 0
		.amdhsa_memory_ordered 1
		.amdhsa_forward_progress 1
		.amdhsa_inst_pref_size 47
		.amdhsa_round_robin_scheduling 0
		.amdhsa_exception_fp_ieee_invalid_op 0
		.amdhsa_exception_fp_denorm_src 0
		.amdhsa_exception_fp_ieee_div_zero 0
		.amdhsa_exception_fp_ieee_overflow 0
		.amdhsa_exception_fp_ieee_underflow 0
		.amdhsa_exception_fp_ieee_inexact 0
		.amdhsa_exception_int_div_zero 0
	.end_amdhsa_kernel
	.section	.text._ZN2at6native12_GLOBAL__N_135GammaBetaBackwardCUDAKernelTemplateIN3c104HalfEfLj32ELj32ELj256ELb0ELb0ELb1EEEvllPKT_S7_PKT0_SA_PS5_SB_,"axG",@progbits,_ZN2at6native12_GLOBAL__N_135GammaBetaBackwardCUDAKernelTemplateIN3c104HalfEfLj32ELj32ELj256ELb0ELb0ELb1EEEvllPKT_S7_PKT0_SA_PS5_SB_,comdat
.Lfunc_end184:
	.size	_ZN2at6native12_GLOBAL__N_135GammaBetaBackwardCUDAKernelTemplateIN3c104HalfEfLj32ELj32ELj256ELb0ELb0ELb1EEEvllPKT_S7_PKT0_SA_PS5_SB_, .Lfunc_end184-_ZN2at6native12_GLOBAL__N_135GammaBetaBackwardCUDAKernelTemplateIN3c104HalfEfLj32ELj32ELj256ELb0ELb0ELb1EEEvllPKT_S7_PKT0_SA_PS5_SB_
                                        ; -- End function
	.set _ZN2at6native12_GLOBAL__N_135GammaBetaBackwardCUDAKernelTemplateIN3c104HalfEfLj32ELj32ELj256ELb0ELb0ELb1EEEvllPKT_S7_PKT0_SA_PS5_SB_.num_vgpr, 96
	.set _ZN2at6native12_GLOBAL__N_135GammaBetaBackwardCUDAKernelTemplateIN3c104HalfEfLj32ELj32ELj256ELb0ELb0ELb1EEEvllPKT_S7_PKT0_SA_PS5_SB_.num_agpr, 0
	.set _ZN2at6native12_GLOBAL__N_135GammaBetaBackwardCUDAKernelTemplateIN3c104HalfEfLj32ELj32ELj256ELb0ELb0ELb1EEEvllPKT_S7_PKT0_SA_PS5_SB_.numbered_sgpr, 50
	.set _ZN2at6native12_GLOBAL__N_135GammaBetaBackwardCUDAKernelTemplateIN3c104HalfEfLj32ELj32ELj256ELb0ELb0ELb1EEEvllPKT_S7_PKT0_SA_PS5_SB_.num_named_barrier, 0
	.set _ZN2at6native12_GLOBAL__N_135GammaBetaBackwardCUDAKernelTemplateIN3c104HalfEfLj32ELj32ELj256ELb0ELb0ELb1EEEvllPKT_S7_PKT0_SA_PS5_SB_.private_seg_size, 0
	.set _ZN2at6native12_GLOBAL__N_135GammaBetaBackwardCUDAKernelTemplateIN3c104HalfEfLj32ELj32ELj256ELb0ELb0ELb1EEEvllPKT_S7_PKT0_SA_PS5_SB_.uses_vcc, 1
	.set _ZN2at6native12_GLOBAL__N_135GammaBetaBackwardCUDAKernelTemplateIN3c104HalfEfLj32ELj32ELj256ELb0ELb0ELb1EEEvllPKT_S7_PKT0_SA_PS5_SB_.uses_flat_scratch, 0
	.set _ZN2at6native12_GLOBAL__N_135GammaBetaBackwardCUDAKernelTemplateIN3c104HalfEfLj32ELj32ELj256ELb0ELb0ELb1EEEvllPKT_S7_PKT0_SA_PS5_SB_.has_dyn_sized_stack, 0
	.set _ZN2at6native12_GLOBAL__N_135GammaBetaBackwardCUDAKernelTemplateIN3c104HalfEfLj32ELj32ELj256ELb0ELb0ELb1EEEvllPKT_S7_PKT0_SA_PS5_SB_.has_recursion, 0
	.set _ZN2at6native12_GLOBAL__N_135GammaBetaBackwardCUDAKernelTemplateIN3c104HalfEfLj32ELj32ELj256ELb0ELb0ELb1EEEvllPKT_S7_PKT0_SA_PS5_SB_.has_indirect_call, 0
	.section	.AMDGPU.csdata,"",@progbits
; Kernel info:
; codeLenInByte = 5980
; TotalNumSgprs: 52
; NumVgprs: 96
; ScratchSize: 0
; MemoryBound: 0
; FloatMode: 240
; IeeeMode: 1
; LDSByteSize: 0 bytes/workgroup (compile time only)
; SGPRBlocks: 0
; VGPRBlocks: 5
; NumSGPRsForWavesPerEU: 52
; NumVGPRsForWavesPerEU: 96
; NamedBarCnt: 0
; Occupancy: 10
; WaveLimiterHint : 0
; COMPUTE_PGM_RSRC2:SCRATCH_EN: 0
; COMPUTE_PGM_RSRC2:USER_SGPR: 2
; COMPUTE_PGM_RSRC2:TRAP_HANDLER: 0
; COMPUTE_PGM_RSRC2:TGID_X_EN: 1
; COMPUTE_PGM_RSRC2:TGID_Y_EN: 1
; COMPUTE_PGM_RSRC2:TGID_Z_EN: 0
; COMPUTE_PGM_RSRC2:TIDIG_COMP_CNT: 1
	.section	.text._ZN2at6native12_GLOBAL__N_118cuComputeGradInputIN3c108BFloat16EfLb1EEEvPKT_S7_llPKT0_SA_S7_PS5_,"axG",@progbits,_ZN2at6native12_GLOBAL__N_118cuComputeGradInputIN3c108BFloat16EfLb1EEEvPKT_S7_llPKT0_SA_S7_PS5_,comdat
	.globl	_ZN2at6native12_GLOBAL__N_118cuComputeGradInputIN3c108BFloat16EfLb1EEEvPKT_S7_llPKT0_SA_S7_PS5_ ; -- Begin function _ZN2at6native12_GLOBAL__N_118cuComputeGradInputIN3c108BFloat16EfLb1EEEvPKT_S7_llPKT0_SA_S7_PS5_
	.p2align	8
	.type	_ZN2at6native12_GLOBAL__N_118cuComputeGradInputIN3c108BFloat16EfLb1EEEvPKT_S7_llPKT0_SA_S7_PS5_,@function
_ZN2at6native12_GLOBAL__N_118cuComputeGradInputIN3c108BFloat16EfLb1EEEvPKT_S7_llPKT0_SA_S7_PS5_: ; @_ZN2at6native12_GLOBAL__N_118cuComputeGradInputIN3c108BFloat16EfLb1EEEvPKT_S7_llPKT0_SA_S7_PS5_
; %bb.0:
	s_load_b128 s[8:11], s[0:1], 0x10
	s_bfe_u32 s2, ttmp6, 0x40010
	s_bfe_u32 s3, ttmp6, 0x40004
	s_add_co_i32 s2, s2, 1
	s_getreg_b32 s4, hwreg(HW_REG_IB_STS2, 6, 4)
	s_mul_i32 s2, ttmp7, s2
	s_delay_alu instid0(SALU_CYCLE_1) | instskip(SKIP_2) | instid1(SALU_CYCLE_1)
	s_add_co_i32 s3, s3, s2
	s_cmp_eq_u32 s4, 0
	s_cselect_b32 s6, ttmp7, s3
	s_ashr_i32 s7, s6, 31
	s_wait_kmcnt 0x0
	v_cmp_le_i64_e64 s2, s[8:9], s[6:7]
	s_and_b32 vcc_lo, exec_lo, s2
	s_cbranch_vccnz .LBB185_47
; %bb.1:
	s_clause 0x2
	s_load_b32 s2, s[0:1], 0x4c
	s_load_b128 s[12:15], s[0:1], 0x30
	s_load_b32 s30, s[0:1], 0x44
	s_cls_i32 s3, s11
	v_and_b32_e32 v14, 0x3ff, v0
	v_bfe_u32 v15, v0, 10, 10
	s_clause 0x1
	s_load_b128 s[16:19], s[0:1], 0x0
	s_load_b64 s[20:21], s[0:1], 0x28
	v_cmp_gt_i64_e64 s37, s[10:11], 0
	v_mbcnt_lo_u32_b32 v17, -1, 0
	v_lshlrev_b32_e32 v8, 3, v14
	s_wait_xcnt 0x0
	v_cmp_eq_u32_e64 s0, 0, v15
	v_cmp_ne_u32_e64 s1, 0, v15
	v_cndmask_b32_e64 v16, 0, 1, s37
	v_add_nc_u32_e32 v19, 0, v8
	s_wait_kmcnt 0x0
	s_lshr_b32 s31, s2, 16
	s_and_b32 s33, s2, 0xffff
	s_cmp_lg_u64 s[12:13], 0
	v_mad_u32_u24 v0, v15, s33, v14
	s_cselect_b32 s34, -1, 0
	s_cmp_gt_u32 s33, 1
	s_mul_i32 s22, s31, s33
	s_cselect_b32 s35, -1, 0
	s_cmp_gt_u32 s31, 1
	v_lshlrev_b32_e32 v9, 3, v0
	s_cselect_b32 s36, -1, 0
	s_xor_b32 s2, s10, s11
	s_add_co_i32 s3, s3, -1
	s_ashr_i32 s2, s2, 31
	s_ashr_i32 s23, s22, 31
	s_add_co_i32 s2, s2, 32
	v_add_nc_u32_e32 v18, 0, v9
	s_min_u32 s4, s3, s2
	s_delay_alu instid0(SALU_CYCLE_1) | instskip(NEXT) | instid1(SALU_CYCLE_1)
	s_lshl_b64 s[2:3], s[10:11], s4
	s_min_u32 s2, s2, 1
	s_delay_alu instid0(SALU_CYCLE_1) | instskip(SKIP_2) | instid1(SALU_CYCLE_3)
	s_or_b32 s2, s3, s2
	s_sub_co_i32 s3, 32, s4
	s_cvt_f32_i32 s2, s2
	v_ldexp_f32 v2, s2, s3
	s_delay_alu instid0(VALU_DEP_1) | instskip(SKIP_1) | instid1(VALU_DEP_2)
	v_div_scale_f32 v1, null, v2, v2, 1.0
	v_div_scale_f32 v6, vcc_lo, 1.0, v2, 1.0
	v_rcp_f32_e32 v3, v1
	v_xor_b32_e32 v5, 0x80000000, v1
	s_delay_alu instid0(TRANS32_DEP_1) | instid1(VALU_DEP_1)
	v_fma_f32 v1, v5, v3, 1.0
	s_delay_alu instid0(VALU_DEP_1) | instskip(NEXT) | instid1(VALU_DEP_1)
	v_dual_fmac_f32 v3, v1, v3 :: v_dual_mov_b32 v1, 0
	v_mul_f32_e32 v7, v6, v3
	s_delay_alu instid0(VALU_DEP_2) | instskip(NEXT) | instid1(VALU_DEP_2)
	v_cmp_gt_i64_e64 s2, s[10:11], v[0:1]
	v_fma_f32 v4, v5, v7, v6
	s_delay_alu instid0(VALU_DEP_1) | instskip(NEXT) | instid1(VALU_DEP_1)
	v_dual_fmac_f32 v7, v4, v3 :: v_dual_add_nc_u32 v4, s22, v0
	v_dual_fmac_f32 v6, v5, v7 :: v_dual_ashrrev_i32 v5, 31, v4
	s_delay_alu instid0(VALU_DEP_1) | instskip(NEXT) | instid1(VALU_DEP_2)
	v_div_fmas_f32 v3, v6, v3, v7
	v_sub_nc_u64_e64 v[6:7], v[4:5], s[22:23]
	s_delay_alu instid0(VALU_DEP_2)
	v_div_fixup_f32 v5, v3, v2, 1.0
	s_branch .LBB185_4
.LBB185_2:                              ;   in Loop: Header=BB185_4 Depth=1
	s_or_b32 exec_lo, exec_lo, s7
.LBB185_3:                              ;   in Loop: Header=BB185_4 Depth=1
	s_add_co_i32 s6, s30, s6
	s_wait_storecnt_dscnt 0x0
	s_ashr_i32 s7, s6, 31
	s_barrier_signal -1
	v_cmp_le_i64_e64 s3, s[8:9], s[6:7]
	s_barrier_wait -1
	s_and_b32 vcc_lo, exec_lo, s3
	s_cbranch_vccnz .LBB185_47
.LBB185_4:                              ; =>This Loop Header: Depth=1
                                        ;     Child Loop BB185_8 Depth 2
                                        ;     Child Loop BB185_19 Depth 2
	;; [unrolled: 1-line block ×6, first 2 shown]
	s_lshl_b64 s[4:5], s[6:7], 2
	v_cmp_ne_u32_e64 s3, 1, v16
	s_add_nc_u64 s[4:5], s[20:21], s[4:5]
	s_and_not1_b32 vcc_lo, exec_lo, s34
	s_load_b32 s38, s[4:5], 0x0
	s_wait_xcnt 0x0
	s_mul_u64 s[4:5], s[6:7], s[10:11]
                                        ; implicit-def: $vgpr9
	s_delay_alu instid0(SALU_CYCLE_1)
	s_lshl_b64 s[28:29], s[4:5], 1
	s_mov_b32 s4, -1
	s_add_nc_u64 s[24:25], s[18:19], s[28:29]
	s_add_nc_u64 s[26:27], s[16:17], s[28:29]
	s_cbranch_vccnz .LBB185_15
; %bb.5:                                ;   in Loop: Header=BB185_4 Depth=1
	v_mov_b32_e32 v9, 0
	s_and_b32 vcc_lo, exec_lo, s3
	s_cbranch_vccnz .LBB185_14
; %bb.6:                                ;   in Loop: Header=BB185_4 Depth=1
	s_mov_b32 s4, 0
	s_branch .LBB185_8
.LBB185_7:                              ;   in Loop: Header=BB185_8 Depth=2
	s_or_b32 exec_lo, exec_lo, s3
	s_delay_alu instid0(VALU_DEP_1) | instskip(SKIP_1) | instid1(SALU_CYCLE_1)
	v_mul_f32_e32 v3, v3, v12
	s_add_co_i32 s4, s4, s22
	s_ashr_i32 s5, s4, 31
	s_delay_alu instid0(SALU_CYCLE_1) | instskip(NEXT) | instid1(VALU_DEP_2)
	v_cmp_le_i64_e64 s3, s[10:11], s[4:5]
	v_mul_f32_e32 v3, v8, v3
	s_wait_kmcnt 0x0
	s_delay_alu instid0(VALU_DEP_1)
	v_fmac_f32_e32 v9, s38, v3
	s_and_b32 vcc_lo, exec_lo, s3
	s_cbranch_vccnz .LBB185_14
.LBB185_8:                              ;   Parent Loop BB185_4 Depth=1
                                        ; =>  This Inner Loop Header: Depth=2
	v_dual_mov_b32 v3, 0 :: v_dual_add_nc_u32 v10, s4, v0
	s_delay_alu instid0(VALU_DEP_1) | instskip(NEXT) | instid1(VALU_DEP_1)
	v_ashrrev_i32_e32 v11, 31, v10
	v_cmp_gt_i64_e32 vcc_lo, s[10:11], v[10:11]
	s_and_saveexec_b32 s3, vcc_lo
	s_cbranch_execz .LBB185_10
; %bb.9:                                ;   in Loop: Header=BB185_8 Depth=2
	v_lshl_add_u64 v[12:13], v[10:11], 1, s[12:13]
	global_load_u16 v3, v[12:13], off
	s_wait_loadcnt 0x0
	v_lshlrev_b32_e32 v3, 16, v3
.LBB185_10:                             ;   in Loop: Header=BB185_8 Depth=2
	s_or_b32 exec_lo, exec_lo, s3
	v_dual_mov_b32 v12, 0 :: v_dual_mov_b32 v8, 0
	s_and_saveexec_b32 s3, vcc_lo
	s_cbranch_execz .LBB185_12
; %bb.11:                               ;   in Loop: Header=BB185_8 Depth=2
	v_lshl_add_u64 v[20:21], v[10:11], 1, s[24:25]
	global_load_u16 v8, v[20:21], off
	s_wait_loadcnt 0x0
	v_lshlrev_b32_e32 v8, 16, v8
.LBB185_12:                             ;   in Loop: Header=BB185_8 Depth=2
	s_or_b32 exec_lo, exec_lo, s3
	s_and_saveexec_b32 s3, vcc_lo
	s_cbranch_execz .LBB185_7
; %bb.13:                               ;   in Loop: Header=BB185_8 Depth=2
	v_lshl_add_u64 v[10:11], v[10:11], 1, s[26:27]
	global_load_u16 v10, v[10:11], off
	s_wait_loadcnt 0x0
	v_lshlrev_b32_e32 v12, 16, v10
	s_branch .LBB185_7
.LBB185_14:                             ;   in Loop: Header=BB185_4 Depth=1
	s_mov_b32 s4, 0
.LBB185_15:                             ;   in Loop: Header=BB185_4 Depth=1
	s_delay_alu instid0(SALU_CYCLE_1)
	s_and_not1_b32 vcc_lo, exec_lo, s4
	s_cbranch_vccnz .LBB185_23
; %bb.16:                               ;   in Loop: Header=BB185_4 Depth=1
	v_mov_b32_e32 v9, 0
	s_and_not1_b32 vcc_lo, exec_lo, s37
	s_cbranch_vccnz .LBB185_23
; %bb.17:                               ;   in Loop: Header=BB185_4 Depth=1
	s_mov_b32 s4, 0
	s_branch .LBB185_19
.LBB185_18:                             ;   in Loop: Header=BB185_19 Depth=2
	s_or_b32 exec_lo, exec_lo, s3
	s_add_co_i32 s4, s4, s22
	s_delay_alu instid0(VALU_DEP_1) | instskip(SKIP_1) | instid1(SALU_CYCLE_1)
	v_mul_f32_e32 v3, v3, v8
	s_ashr_i32 s5, s4, 31
	v_cmp_le_i64_e64 s3, s[10:11], s[4:5]
	s_wait_kmcnt 0x0
	s_delay_alu instid0(VALU_DEP_2)
	v_fmac_f32_e32 v9, s38, v3
	s_and_b32 vcc_lo, exec_lo, s3
	s_cbranch_vccnz .LBB185_23
.LBB185_19:                             ;   Parent Loop BB185_4 Depth=1
                                        ; =>  This Inner Loop Header: Depth=2
	v_dual_mov_b32 v3, 0 :: v_dual_add_nc_u32 v10, s4, v0
	s_delay_alu instid0(VALU_DEP_1) | instskip(NEXT) | instid1(VALU_DEP_1)
	v_ashrrev_i32_e32 v11, 31, v10
	v_cmp_gt_i64_e32 vcc_lo, s[10:11], v[10:11]
	s_and_saveexec_b32 s3, vcc_lo
	s_cbranch_execz .LBB185_21
; %bb.20:                               ;   in Loop: Header=BB185_19 Depth=2
	v_lshl_add_u64 v[12:13], v[10:11], 1, s[24:25]
	global_load_u16 v3, v[12:13], off
	s_wait_loadcnt 0x0
	v_lshlrev_b32_e32 v3, 16, v3
.LBB185_21:                             ;   in Loop: Header=BB185_19 Depth=2
	s_or_b32 exec_lo, exec_lo, s3
	v_mov_b32_e32 v8, 0
	s_and_saveexec_b32 s3, vcc_lo
	s_cbranch_execz .LBB185_18
; %bb.22:                               ;   in Loop: Header=BB185_19 Depth=2
	v_lshl_add_u64 v[10:11], v[10:11], 1, s[26:27]
	global_load_u16 v8, v[10:11], off
	s_wait_loadcnt 0x0
	v_lshlrev_b32_e32 v8, 16, v8
	s_branch .LBB185_18
.LBB185_23:                             ;   in Loop: Header=BB185_4 Depth=1
	s_and_not1_b32 vcc_lo, exec_lo, s35
	s_cbranch_vccnz .LBB185_26
; %bb.24:                               ;   in Loop: Header=BB185_4 Depth=1
	s_mov_b32 s3, s33
.LBB185_25:                             ;   Parent Loop BB185_4 Depth=1
                                        ; =>  This Inner Loop Header: Depth=2
	s_delay_alu instid0(SALU_CYCLE_1) | instskip(SKIP_3) | instid1(VALU_DEP_1)
	s_lshr_b32 s4, s3, 1
	s_cmp_lt_u32 s3, 4
	v_xor_b32_e32 v3, s4, v17
	s_mov_b32 s3, s4
	v_cmp_gt_i32_e32 vcc_lo, 32, v3
	v_cndmask_b32_e32 v3, v17, v3, vcc_lo
	s_delay_alu instid0(VALU_DEP_1)
	v_lshlrev_b32_e32 v3, 2, v3
	ds_bpermute_b32 v3, v3, v9
	s_wait_dscnt 0x0
	v_add_f32_e32 v9, v9, v3
	s_cbranch_scc0 .LBB185_25
.LBB185_26:                             ;   in Loop: Header=BB185_4 Depth=1
	s_and_not1_b32 vcc_lo, exec_lo, s36
	s_mov_b32 s5, s31
	s_cbranch_vccnz .LBB185_38
.LBB185_27:                             ;   Parent Loop BB185_4 Depth=1
                                        ; =>  This Inner Loop Header: Depth=2
	s_lshr_b32 s7, s5, 1
	s_and_b32 s4, s5, 0xfffe
	v_cmp_le_u32_e64 s3, s7, v15
	v_cmp_gt_u32_e64 s4, s4, v15
	v_cmp_gt_u32_e32 vcc_lo, s7, v15
	s_and_b32 s4, s3, s4
	s_delay_alu instid0(SALU_CYCLE_1)
	s_and_saveexec_b32 s3, s4
	s_cbranch_execz .LBB185_29
; %bb.28:                               ;   in Loop: Header=BB185_27 Depth=2
	v_subrev_nc_u32_e32 v3, s7, v15
	s_delay_alu instid0(VALU_DEP_1) | instskip(NEXT) | instid1(VALU_DEP_1)
	v_mad_u32_u24 v3, v3, s33, v14
	v_lshl_add_u32 v3, v3, 3, 0
	ds_store_b32 v3, v9 offset:4
.LBB185_29:                             ;   in Loop: Header=BB185_27 Depth=2
	s_or_b32 exec_lo, exec_lo, s3
	s_wait_dscnt 0x0
	s_barrier_signal -1
	s_barrier_wait -1
	s_and_saveexec_b32 s3, vcc_lo
	s_cbranch_execz .LBB185_31
; %bb.30:                               ;   in Loop: Header=BB185_27 Depth=2
	ds_load_b32 v3, v18 offset:4
	s_wait_dscnt 0x0
	v_add_f32_e32 v9, v9, v3
.LBB185_31:                             ;   in Loop: Header=BB185_27 Depth=2
	s_or_b32 exec_lo, exec_lo, s3
	s_cmp_lt_u32 s5, 4
	s_barrier_signal -1
	s_barrier_wait -1
	s_cbranch_scc1 .LBB185_33
; %bb.32:                               ;   in Loop: Header=BB185_27 Depth=2
	s_mov_b32 s5, s7
	s_branch .LBB185_27
.LBB185_33:                             ;   in Loop: Header=BB185_4 Depth=1
	s_and_saveexec_b32 s3, s0
; %bb.34:                               ;   in Loop: Header=BB185_4 Depth=1
	ds_store_b32 v19, v9 offset:4
; %bb.35:                               ;   in Loop: Header=BB185_4 Depth=1
	s_or_b32 exec_lo, exec_lo, s3
	s_wait_dscnt 0x0
	s_barrier_signal -1
	s_barrier_wait -1
	s_and_saveexec_b32 s3, s1
; %bb.36:                               ;   in Loop: Header=BB185_4 Depth=1
	ds_load_b32 v9, v19 offset:4
; %bb.37:                               ;   in Loop: Header=BB185_4 Depth=1
	s_or_b32 exec_lo, exec_lo, s3
.LBB185_38:                             ;   in Loop: Header=BB185_4 Depth=1
	s_wait_kmcnt 0x0
	v_mul_f32_e32 v20, s38, v5
	s_and_not1_b32 vcc_lo, exec_lo, s34
	s_add_nc_u64 s[4:5], s[14:15], s[28:29]
	s_cbranch_vccnz .LBB185_43
; %bb.39:                               ;   in Loop: Header=BB185_4 Depth=1
	s_and_saveexec_b32 s7, s2
	s_cbranch_execz .LBB185_42
; %bb.40:                               ;   in Loop: Header=BB185_4 Depth=1
	v_mov_b64_e32 v[12:13], v[0:1]
	v_dual_mov_b32 v3, s38 :: v_dual_mov_b32 v10, v4
	s_mov_b32 s28, 0
.LBB185_41:                             ;   Parent Loop BB185_4 Depth=1
                                        ; =>  This Inner Loop Header: Depth=2
	s_delay_alu instid0(VALU_DEP_2) | instskip(NEXT) | instid1(VALU_DEP_1)
	v_lshlrev_b64_e32 v[22:23], 1, v[12:13]
	v_add_nc_u64_e32 v[12:13], s[24:25], v[22:23]
	v_add_nc_u64_e32 v[24:25], s[26:27], v[22:23]
	;; [unrolled: 1-line block ×4, first 2 shown]
	global_load_u16 v8, v[12:13], off
	global_load_u16 v11, v[24:25], off
	;; [unrolled: 1-line block ×3, first 2 shown]
	s_wait_loadcnt 0x1
	s_wait_xcnt 0x2
	v_dual_lshlrev_b32 v13, 16, v8 :: v_dual_lshlrev_b32 v12, 16, v11
	s_wait_loadcnt 0x0
	v_lshlrev_b32_e32 v8, 16, v21
	s_delay_alu instid0(VALU_DEP_2) | instskip(SKIP_1) | instid1(VALU_DEP_1)
	v_pk_mul_f32 v[12:13], v[2:3], v[12:13]
	s_wait_dscnt 0x0
	v_pk_mul_f32 v[12:13], v[12:13], v[8:9]
	s_delay_alu instid0(VALU_DEP_1) | instskip(NEXT) | instid1(VALU_DEP_1)
	v_sub_f32_e32 v8, v12, v13
	v_mul_f32_e32 v8, v20, v8
	s_delay_alu instid0(VALU_DEP_1) | instskip(NEXT) | instid1(VALU_DEP_1)
	v_bfe_u32 v11, v8, 16, 1
	v_add3_u32 v12, v8, v11, 0x7fff
	s_delay_alu instid0(VALU_DEP_1) | instskip(NEXT) | instid1(VALU_DEP_1)
	v_dual_ashrrev_i32 v11, 31, v10 :: v_dual_lshrrev_b32 v21, 16, v12
	v_cmp_le_i64_e32 vcc_lo, s[10:11], v[10:11]
	v_mov_b64_e32 v[12:13], v[10:11]
	v_add_nc_u32_e32 v10, s22, v10
	v_cmp_o_f32_e64 s3, v8, v8
	s_or_b32 s28, vcc_lo, s28
	v_cndmask_b32_e64 v8, 0x7fc0, v21, s3
	global_store_b16 v[22:23], v8, off
	s_wait_xcnt 0x0
	s_and_not1_b32 exec_lo, exec_lo, s28
	s_cbranch_execnz .LBB185_41
.LBB185_42:                             ;   in Loop: Header=BB185_4 Depth=1
	s_or_b32 exec_lo, exec_lo, s7
	s_cbranch_execnz .LBB185_3
	s_branch .LBB185_44
.LBB185_43:                             ;   in Loop: Header=BB185_4 Depth=1
.LBB185_44:                             ;   in Loop: Header=BB185_4 Depth=1
	s_and_saveexec_b32 s7, s2
	s_cbranch_execz .LBB185_2
; %bb.45:                               ;   in Loop: Header=BB185_4 Depth=1
	v_mov_b64_e32 v[10:11], v[6:7]
	v_mov_b64_e32 v[12:13], v[0:1]
	v_mov_b32_e32 v3, s38
	s_mov_b32 s28, 0
.LBB185_46:                             ;   Parent Loop BB185_4 Depth=1
                                        ; =>  This Inner Loop Header: Depth=2
	s_delay_alu instid0(VALU_DEP_2) | instskip(NEXT) | instid1(VALU_DEP_4)
	v_lshlrev_b64_e32 v[12:13], 1, v[12:13]
	v_add_nc_u64_e32 v[10:11], s[22:23], v[10:11]
	s_delay_alu instid0(VALU_DEP_2) | instskip(SKIP_1) | instid1(VALU_DEP_3)
	v_add_nc_u64_e32 v[22:23], s[24:25], v[12:13]
	v_add_nc_u64_e32 v[24:25], s[26:27], v[12:13]
	v_cmp_le_i64_e32 vcc_lo, s[10:11], v[10:11]
	global_load_u16 v8, v[22:23], off
	global_load_u16 v21, v[24:25], off
	s_or_b32 s28, vcc_lo, s28
	s_wait_loadcnt 0x0
	s_wait_xcnt 0x1
	v_dual_lshlrev_b32 v23, 16, v8 :: v_dual_lshlrev_b32 v22, 16, v21
	s_delay_alu instid0(VALU_DEP_1) | instskip(SKIP_1) | instid1(VALU_DEP_1)
	v_pk_mul_f32 v[22:23], v[2:3], v[22:23]
	s_wait_dscnt 0x0
	v_fma_f32 v8, -v9, v23, v22
	v_add_nc_u64_e32 v[22:23], s[4:5], v[12:13]
	v_dual_mov_b32 v12, v10 :: v_dual_ashrrev_i32 v13, 31, v10
	s_delay_alu instid0(VALU_DEP_3) | instskip(NEXT) | instid1(VALU_DEP_1)
	v_mul_f32_e32 v8, v20, v8
	v_bfe_u32 v21, v8, 16, 1
	v_cmp_o_f32_e64 s3, v8, v8
	s_delay_alu instid0(VALU_DEP_2) | instskip(NEXT) | instid1(VALU_DEP_1)
	v_add3_u32 v21, v8, v21, 0x7fff
	v_lshrrev_b32_e32 v21, 16, v21
	s_delay_alu instid0(VALU_DEP_1)
	v_cndmask_b32_e64 v8, 0x7fc0, v21, s3
	global_store_b16 v[22:23], v8, off
	s_wait_xcnt 0x0
	s_and_not1_b32 exec_lo, exec_lo, s28
	s_cbranch_execnz .LBB185_46
	s_branch .LBB185_2
.LBB185_47:
	s_endpgm
	.section	.rodata,"a",@progbits
	.p2align	6, 0x0
	.amdhsa_kernel _ZN2at6native12_GLOBAL__N_118cuComputeGradInputIN3c108BFloat16EfLb1EEEvPKT_S7_llPKT0_SA_S7_PS5_
		.amdhsa_group_segment_fixed_size 0
		.amdhsa_private_segment_fixed_size 0
		.amdhsa_kernarg_size 320
		.amdhsa_user_sgpr_count 2
		.amdhsa_user_sgpr_dispatch_ptr 0
		.amdhsa_user_sgpr_queue_ptr 0
		.amdhsa_user_sgpr_kernarg_segment_ptr 1
		.amdhsa_user_sgpr_dispatch_id 0
		.amdhsa_user_sgpr_kernarg_preload_length 0
		.amdhsa_user_sgpr_kernarg_preload_offset 0
		.amdhsa_user_sgpr_private_segment_size 0
		.amdhsa_wavefront_size32 1
		.amdhsa_uses_dynamic_stack 0
		.amdhsa_enable_private_segment 0
		.amdhsa_system_sgpr_workgroup_id_x 1
		.amdhsa_system_sgpr_workgroup_id_y 1
		.amdhsa_system_sgpr_workgroup_id_z 0
		.amdhsa_system_sgpr_workgroup_info 0
		.amdhsa_system_vgpr_workitem_id 1
		.amdhsa_next_free_vgpr 28
		.amdhsa_next_free_sgpr 39
		.amdhsa_named_barrier_count 0
		.amdhsa_reserve_vcc 1
		.amdhsa_float_round_mode_32 0
		.amdhsa_float_round_mode_16_64 0
		.amdhsa_float_denorm_mode_32 3
		.amdhsa_float_denorm_mode_16_64 3
		.amdhsa_fp16_overflow 0
		.amdhsa_memory_ordered 1
		.amdhsa_forward_progress 1
		.amdhsa_inst_pref_size 14
		.amdhsa_round_robin_scheduling 0
		.amdhsa_exception_fp_ieee_invalid_op 0
		.amdhsa_exception_fp_denorm_src 0
		.amdhsa_exception_fp_ieee_div_zero 0
		.amdhsa_exception_fp_ieee_overflow 0
		.amdhsa_exception_fp_ieee_underflow 0
		.amdhsa_exception_fp_ieee_inexact 0
		.amdhsa_exception_int_div_zero 0
	.end_amdhsa_kernel
	.section	.text._ZN2at6native12_GLOBAL__N_118cuComputeGradInputIN3c108BFloat16EfLb1EEEvPKT_S7_llPKT0_SA_S7_PS5_,"axG",@progbits,_ZN2at6native12_GLOBAL__N_118cuComputeGradInputIN3c108BFloat16EfLb1EEEvPKT_S7_llPKT0_SA_S7_PS5_,comdat
.Lfunc_end185:
	.size	_ZN2at6native12_GLOBAL__N_118cuComputeGradInputIN3c108BFloat16EfLb1EEEvPKT_S7_llPKT0_SA_S7_PS5_, .Lfunc_end185-_ZN2at6native12_GLOBAL__N_118cuComputeGradInputIN3c108BFloat16EfLb1EEEvPKT_S7_llPKT0_SA_S7_PS5_
                                        ; -- End function
	.set _ZN2at6native12_GLOBAL__N_118cuComputeGradInputIN3c108BFloat16EfLb1EEEvPKT_S7_llPKT0_SA_S7_PS5_.num_vgpr, 28
	.set _ZN2at6native12_GLOBAL__N_118cuComputeGradInputIN3c108BFloat16EfLb1EEEvPKT_S7_llPKT0_SA_S7_PS5_.num_agpr, 0
	.set _ZN2at6native12_GLOBAL__N_118cuComputeGradInputIN3c108BFloat16EfLb1EEEvPKT_S7_llPKT0_SA_S7_PS5_.numbered_sgpr, 39
	.set _ZN2at6native12_GLOBAL__N_118cuComputeGradInputIN3c108BFloat16EfLb1EEEvPKT_S7_llPKT0_SA_S7_PS5_.num_named_barrier, 0
	.set _ZN2at6native12_GLOBAL__N_118cuComputeGradInputIN3c108BFloat16EfLb1EEEvPKT_S7_llPKT0_SA_S7_PS5_.private_seg_size, 0
	.set _ZN2at6native12_GLOBAL__N_118cuComputeGradInputIN3c108BFloat16EfLb1EEEvPKT_S7_llPKT0_SA_S7_PS5_.uses_vcc, 1
	.set _ZN2at6native12_GLOBAL__N_118cuComputeGradInputIN3c108BFloat16EfLb1EEEvPKT_S7_llPKT0_SA_S7_PS5_.uses_flat_scratch, 0
	.set _ZN2at6native12_GLOBAL__N_118cuComputeGradInputIN3c108BFloat16EfLb1EEEvPKT_S7_llPKT0_SA_S7_PS5_.has_dyn_sized_stack, 0
	.set _ZN2at6native12_GLOBAL__N_118cuComputeGradInputIN3c108BFloat16EfLb1EEEvPKT_S7_llPKT0_SA_S7_PS5_.has_recursion, 0
	.set _ZN2at6native12_GLOBAL__N_118cuComputeGradInputIN3c108BFloat16EfLb1EEEvPKT_S7_llPKT0_SA_S7_PS5_.has_indirect_call, 0
	.section	.AMDGPU.csdata,"",@progbits
; Kernel info:
; codeLenInByte = 1752
; TotalNumSgprs: 41
; NumVgprs: 28
; ScratchSize: 0
; MemoryBound: 0
; FloatMode: 240
; IeeeMode: 1
; LDSByteSize: 0 bytes/workgroup (compile time only)
; SGPRBlocks: 0
; VGPRBlocks: 1
; NumSGPRsForWavesPerEU: 41
; NumVGPRsForWavesPerEU: 28
; NamedBarCnt: 0
; Occupancy: 16
; WaveLimiterHint : 0
; COMPUTE_PGM_RSRC2:SCRATCH_EN: 0
; COMPUTE_PGM_RSRC2:USER_SGPR: 2
; COMPUTE_PGM_RSRC2:TRAP_HANDLER: 0
; COMPUTE_PGM_RSRC2:TGID_X_EN: 1
; COMPUTE_PGM_RSRC2:TGID_Y_EN: 1
; COMPUTE_PGM_RSRC2:TGID_Z_EN: 0
; COMPUTE_PGM_RSRC2:TIDIG_COMP_CNT: 1
	.section	.text._ZN2at6native12_GLOBAL__N_128layer_norm_grad_input_kernelIN3c108BFloat16EfLb1EEEvPKT_S7_PKT0_SA_S7_PS5_i,"axG",@progbits,_ZN2at6native12_GLOBAL__N_128layer_norm_grad_input_kernelIN3c108BFloat16EfLb1EEEvPKT_S7_PKT0_SA_S7_PS5_i,comdat
	.globl	_ZN2at6native12_GLOBAL__N_128layer_norm_grad_input_kernelIN3c108BFloat16EfLb1EEEvPKT_S7_PKT0_SA_S7_PS5_i ; -- Begin function _ZN2at6native12_GLOBAL__N_128layer_norm_grad_input_kernelIN3c108BFloat16EfLb1EEEvPKT_S7_PKT0_SA_S7_PS5_i
	.p2align	8
	.type	_ZN2at6native12_GLOBAL__N_128layer_norm_grad_input_kernelIN3c108BFloat16EfLb1EEEvPKT_S7_PKT0_SA_S7_PS5_i,@function
_ZN2at6native12_GLOBAL__N_128layer_norm_grad_input_kernelIN3c108BFloat16EfLb1EEEvPKT_S7_PKT0_SA_S7_PS5_i: ; @_ZN2at6native12_GLOBAL__N_128layer_norm_grad_input_kernelIN3c108BFloat16EfLb1EEEvPKT_S7_PKT0_SA_S7_PS5_i
; %bb.0:
	s_clause 0x1
	s_load_b128 s[4:7], s[0:1], 0x18
	s_load_b32 s2, s[0:1], 0x30
	s_bfe_u32 s3, ttmp6, 0x4000c
	s_and_b32 s8, ttmp6, 15
	s_add_co_i32 s3, s3, 1
	s_getreg_b32 s9, hwreg(HW_REG_IB_STS2, 6, 4)
	s_mul_i32 s3, ttmp9, s3
	v_lshlrev_b32_e32 v2, 2, v0
	s_add_co_i32 s3, s8, s3
	s_cmp_eq_u32 s9, 0
	s_load_b128 s[8:11], s[0:1], 0x0
	s_cselect_b32 s18, ttmp9, s3
	v_or_b32_e32 v1, 3, v2
	s_mov_b32 s19, 0
	s_wait_kmcnt 0x0
	s_load_b32 s20, s[4:5], s18 offset:0x0 scale_offset
	s_ashr_i32 s3, s2, 31
	v_cmp_gt_u32_e32 vcc_lo, s2, v1
	s_mul_u64 s[16:17], s[2:3], s[18:19]
	v_mov_b32_e32 v1, 0
	s_lshl_b64 s[14:15], s[16:17], 1
	s_wait_xcnt 0x0
	s_add_nc_u64 s[4:5], s[10:11], s[14:15]
	s_add_nc_u64 s[12:13], s[8:9], s[14:15]
	s_and_saveexec_b32 s3, vcc_lo
	s_cbranch_execz .LBB186_12
; %bb.1:
	s_load_b32 s21, s[0:1], 0x44
	s_cmp_lg_u64 s[6:7], 0
	v_dual_mov_b32 v3, 0 :: v_dual_mov_b32 v1, 0
	s_cselect_b32 s18, -1, 0
	s_wait_kmcnt 0x0
	s_and_b32 s21, s21, 0xffff
	s_delay_alu instid0(SALU_CYCLE_1)
	s_lshl_b32 s21, s21, 2
	s_branch .LBB186_3
.LBB186_2:                              ;   in Loop: Header=BB186_3 Depth=1
	global_load_u16 v8, v[6:7], off offset:6
	global_load_u16 v9, v[4:5], off offset:6
	s_wait_loadcnt 0x6
	s_wait_xcnt 0x0
	v_dual_lshlrev_b32 v4, 16, v14 :: v_dual_lshlrev_b32 v5, 16, v13
	s_wait_loadcnt 0x2
	v_dual_lshlrev_b32 v6, 16, v17 :: v_dual_lshlrev_b32 v7, 16, v19
	s_delay_alu instid0(VALU_DEP_2) | instskip(NEXT) | instid1(VALU_DEP_1)
	v_dual_add_nc_u32 v2, s21, v2 :: v_dual_mul_f32 v4, v11, v4
	v_dual_mul_f32 v6, v10, v6 :: v_dual_mul_f32 v4, v4, v5
	s_delay_alu instid0(VALU_DEP_1) | instskip(NEXT) | instid1(VALU_DEP_1)
	v_dual_lshlrev_b32 v5, 16, v15 :: v_dual_fmac_f32 v1, s20, v4
	v_dual_mul_f32 v4, v6, v5 :: v_dual_lshlrev_b32 v5, 16, v18
	s_delay_alu instid0(VALU_DEP_1) | instskip(NEXT) | instid1(VALU_DEP_1)
	v_dual_mul_f32 v6, v16, v7 :: v_dual_fmac_f32 v1, s20, v4
	v_mul_f32_e32 v4, v6, v5
	s_delay_alu instid0(VALU_DEP_1) | instskip(SKIP_2) | instid1(VALU_DEP_1)
	v_fmac_f32_e32 v1, s20, v4
	s_wait_loadcnt 0x0
	v_dual_lshlrev_b32 v7, 16, v8 :: v_dual_lshlrev_b32 v5, 16, v9
	v_dual_mul_f32 v6, v12, v7 :: v_dual_add_nc_u32 v7, 3, v2
	s_delay_alu instid0(VALU_DEP_1) | instskip(NEXT) | instid1(VALU_DEP_2)
	v_mul_f32_e32 v4, v6, v5
	v_cmp_le_u32_e32 vcc_lo, s2, v7
	s_delay_alu instid0(VALU_DEP_2) | instskip(SKIP_1) | instid1(SALU_CYCLE_1)
	v_fmac_f32_e32 v1, s20, v4
	s_or_b32 s19, vcc_lo, s19
	s_and_not1_b32 exec_lo, exec_lo, s19
	s_cbranch_execz .LBB186_11
.LBB186_3:                              ; =>This Inner Loop Header: Depth=1
	v_dual_mov_b32 v10, 1.0 :: v_dual_mov_b32 v11, 1.0
	v_lshl_add_u64 v[8:9], v[2:3], 1, s[6:7]
	s_and_b32 vcc_lo, exec_lo, s18
	s_cbranch_vccz .LBB186_5
; %bb.4:                                ;   in Loop: Header=BB186_3 Depth=1
	global_load_u16 v4, v[8:9], off
	s_wait_loadcnt 0x0
	v_lshlrev_b32_e32 v11, 16, v4
.LBB186_5:                              ;   in Loop: Header=BB186_3 Depth=1
	v_lshlrev_b64_e32 v[6:7], 1, v[2:3]
	s_and_not1_b32 vcc_lo, exec_lo, s18
	s_delay_alu instid0(VALU_DEP_1)
	v_add_nc_u64_e32 v[4:5], s[4:5], v[6:7]
	v_add_nc_u64_e32 v[6:7], s[12:13], v[6:7]
	global_load_u16 v13, v[4:5], off
	global_load_u16 v14, v[6:7], off
	s_cbranch_vccnz .LBB186_7
; %bb.6:                                ;   in Loop: Header=BB186_3 Depth=1
	global_load_u16 v10, v[8:9], off offset:2
	s_wait_loadcnt 0x0
	v_lshlrev_b32_e32 v10, 16, v10
.LBB186_7:                              ;   in Loop: Header=BB186_3 Depth=1
	global_load_u16 v15, v[4:5], off offset:2
	global_load_u16 v17, v[6:7], off offset:2
	v_dual_mov_b32 v12, 1.0 :: v_dual_mov_b32 v16, 1.0
	s_and_not1_b32 vcc_lo, exec_lo, s18
	s_cbranch_vccnz .LBB186_9
; %bb.8:                                ;   in Loop: Header=BB186_3 Depth=1
	global_load_u16 v16, v[8:9], off offset:4
	s_wait_loadcnt 0x0
	v_lshlrev_b32_e32 v16, 16, v16
.LBB186_9:                              ;   in Loop: Header=BB186_3 Depth=1
	global_load_u16 v18, v[4:5], off offset:4
	global_load_u16 v19, v[6:7], off offset:4
	s_and_not1_b32 vcc_lo, exec_lo, s18
	s_cbranch_vccnz .LBB186_2
; %bb.10:                               ;   in Loop: Header=BB186_3 Depth=1
	global_load_u16 v8, v[8:9], off offset:6
	s_wait_loadcnt 0x0
	v_lshlrev_b32_e32 v12, 16, v8
	s_branch .LBB186_2
.LBB186_11:
	s_or_b32 exec_lo, exec_lo, s19
.LBB186_12:
	s_delay_alu instid0(SALU_CYCLE_1) | instskip(NEXT) | instid1(SALU_CYCLE_1)
	s_or_b32 exec_lo, exec_lo, s3
	s_mov_b32 s3, exec_lo
	v_cmpx_gt_u32_e64 s2, v2
	s_cbranch_execz .LBB186_19
; %bb.13:
	v_mov_b32_e32 v3, 0
	s_cmp_lg_u64 s[6:7], 0
	s_delay_alu instid0(VALU_DEP_1) | instskip(NEXT) | instid1(VALU_DEP_1)
	v_lshlrev_b64_e32 v[4:5], 1, v[2:3]
	v_lshl_add_u64 v[8:9], s[16:17], 1, v[4:5]
	v_add_nc_u64_e32 v[4:5], s[6:7], v[4:5]
	s_delay_alu instid0(VALU_DEP_2)
	v_add_nc_u64_e32 v[6:7], s[10:11], v[8:9]
	v_add_nc_u64_e32 v[8:9], s[8:9], v[8:9]
	s_cselect_b32 s8, -1, 0
	s_mov_b32 s9, 0
	s_branch .LBB186_16
.LBB186_14:                             ;   in Loop: Header=BB186_16 Depth=1
	global_load_u16 v3, v[4:5], off
	s_wait_loadcnt 0x0
	v_lshlrev_b32_e32 v3, 16, v3
.LBB186_15:                             ;   in Loop: Header=BB186_16 Depth=1
	global_load_u16 v10, v[8:9], off
	global_load_u16 v11, v[6:7], off
	v_add_nc_u64_e32 v[4:5], 2, v[4:5]
	s_wait_xcnt 0x0
	v_add_nc_u64_e32 v[6:7], 2, v[6:7]
	v_add_nc_u64_e32 v[8:9], 2, v[8:9]
	s_wait_loadcnt 0x0
	v_dual_lshlrev_b32 v10, 16, v10 :: v_dual_lshlrev_b32 v11, 16, v11
	s_delay_alu instid0(VALU_DEP_1) | instskip(NEXT) | instid1(VALU_DEP_1)
	v_mul_f32_e32 v3, v3, v10
	v_dual_mul_f32 v3, v3, v11 :: v_dual_add_nc_u32 v2, 1, v2
	s_delay_alu instid0(VALU_DEP_1) | instskip(SKIP_1) | instid1(VALU_DEP_2)
	v_cmp_le_u32_e32 vcc_lo, s2, v2
	s_wait_kmcnt 0x0
	v_fmac_f32_e32 v1, s20, v3
	s_or_b32 s9, vcc_lo, s9
	s_delay_alu instid0(SALU_CYCLE_1)
	s_and_not1_b32 exec_lo, exec_lo, s9
	s_cbranch_execz .LBB186_18
.LBB186_16:                             ; =>This Inner Loop Header: Depth=1
	s_and_not1_b32 vcc_lo, exec_lo, s8
	s_cbranch_vccz .LBB186_14
; %bb.17:                               ;   in Loop: Header=BB186_16 Depth=1
	v_mov_b32_e32 v3, 1.0
	s_branch .LBB186_15
.LBB186_18:
	s_or_b32 exec_lo, exec_lo, s9
.LBB186_19:
	s_delay_alu instid0(SALU_CYCLE_1) | instskip(SKIP_4) | instid1(VALU_DEP_1)
	s_or_b32 exec_lo, exec_lo, s3
	v_mbcnt_lo_u32_b32 v5, -1, 0
	s_mov_b32 s3, exec_lo
	s_barrier_signal -1
	s_barrier_wait -1
	v_lshl_or_b32 v2, v5, 2, 64
	v_cmp_gt_u32_e32 vcc_lo, 24, v5
	ds_bpermute_b32 v4, v2, v1
	v_cndmask_b32_e64 v3, 0, 8, vcc_lo
	v_cmp_gt_u32_e32 vcc_lo, 28, v5
	s_delay_alu instid0(VALU_DEP_2)
	v_add_lshl_u32 v3, v3, v5, 2
	s_wait_dscnt 0x0
	v_add_f32_e32 v4, v1, v4
	v_cndmask_b32_e64 v1, 0, 4, vcc_lo
	v_cmp_gt_u32_e32 vcc_lo, 30, v5
	ds_bpermute_b32 v6, v3, v4
	v_add_lshl_u32 v1, v1, v5, 2
	s_wait_dscnt 0x0
	v_add_f32_e32 v6, v4, v6
	v_cndmask_b32_e64 v4, 0, 2, vcc_lo
	v_cmp_ne_u32_e32 vcc_lo, 31, v5
	s_delay_alu instid0(VALU_DEP_2) | instskip(SKIP_1) | instid1(VALU_DEP_1)
	v_add_lshl_u32 v4, v4, v5, 2
	v_add_co_ci_u32_e64 v5, null, 0, v5, vcc_lo
	v_lshlrev_b32_e32 v5, 2, v5
	ds_bpermute_b32 v7, v1, v6
	s_wait_dscnt 0x0
	v_add_f32_e32 v6, v6, v7
	ds_bpermute_b32 v7, v4, v6
	s_wait_dscnt 0x0
	v_dual_add_f32 v7, v6, v7 :: v_dual_bitop2_b32 v6, 31, v0 bitop3:0x40
	ds_bpermute_b32 v8, v5, v7
	v_cmpx_eq_u32_e32 0, v6
	s_cbranch_execz .LBB186_21
; %bb.20:
	v_lshrrev_b32_e32 v9, 3, v0
	s_wait_dscnt 0x0
	s_delay_alu instid0(VALU_DEP_1)
	v_dual_add_f32 v7, v7, v8 :: v_dual_add_nc_u32 v9, 0, v9
	ds_store_b32 v9, v7
.LBB186_21:
	s_or_b32 exec_lo, exec_lo, s3
	s_wait_dscnt 0x0
	s_barrier_signal -1
	s_barrier_wait -1
	s_load_b32 s8, s[0:1], 0x44
	v_mov_b32_e32 v7, 0
	s_wait_kmcnt 0x0
	s_bfe_u32 s3, s8, 0xb0005
	s_delay_alu instid0(SALU_CYCLE_1)
	v_cmp_gt_u32_e32 vcc_lo, s3, v0
	s_and_saveexec_b32 s3, vcc_lo
; %bb.22:
	v_lshl_add_u32 v6, v6, 2, 0
	ds_load_b32 v7, v6
; %bb.23:
	s_or_b32 exec_lo, exec_lo, s3
	s_delay_alu instid0(SALU_CYCLE_1)
	s_mov_b32 s3, exec_lo
	v_cmpx_gt_u32_e32 32, v0
	s_cbranch_execz .LBB186_25
; %bb.24:
	s_wait_dscnt 0x0
	ds_bpermute_b32 v2, v2, v7
	s_wait_dscnt 0x0
	v_add_f32_e32 v2, v7, v2
	ds_bpermute_b32 v3, v3, v2
	s_wait_dscnt 0x0
	v_add_f32_e32 v2, v2, v3
	;; [unrolled: 3-line block ×5, first 2 shown]
.LBB186_25:
	s_or_b32 exec_lo, exec_lo, s3
	s_delay_alu instid0(SALU_CYCLE_1)
	s_mov_b32 s3, exec_lo
	v_cmpx_eq_u32_e32 0, v0
	s_cbranch_execz .LBB186_27
; %bb.26:
	v_mov_b32_e32 v1, 0
	s_wait_dscnt 0x0
	ds_store_b32 v1, v7 offset:4
.LBB186_27:
	s_or_b32 exec_lo, exec_lo, s3
	s_wait_dscnt 0x0
	s_barrier_signal -1
	s_barrier_wait -1
	s_mov_b32 s3, exec_lo
	v_cmpx_gt_i32_e64 s2, v0
	s_cbranch_execz .LBB186_33
; %bb.28:
	s_cvt_f32_i32 s3, s2
	s_load_b64 s[16:17], s[0:1], 0x28
	s_wait_xcnt 0x0
	s_and_b32 s1, 0xffff, s8
	s_cmp_lg_u64 s[6:7], 0
	v_div_scale_f32 v1, null, s3, s3, 1.0
	v_div_scale_f32 v4, vcc_lo, 1.0, s3, 1.0
	s_cselect_b32 s10, -1, 0
	v_rcp_f32_e32 v2, v1
	v_nop
	v_xor_b32_e32 v1, 0x80000000, v1
	s_mov_b32 s11, 0
	s_delay_alu instid0(TRANS32_DEP_1) | instid1(VALU_DEP_1)
	v_fma_f32 v3, v1, v2, 1.0
	s_wait_kmcnt 0x0
	s_add_nc_u64 s[8:9], s[16:17], s[14:15]
	s_delay_alu instid0(VALU_DEP_1) | instskip(NEXT) | instid1(VALU_DEP_1)
	v_fmac_f32_e32 v2, v3, v2
	v_mul_f32_e32 v5, v4, v2
	s_delay_alu instid0(VALU_DEP_1) | instskip(NEXT) | instid1(VALU_DEP_1)
	v_fma_f32 v3, v1, v5, v4
	v_dual_fmac_f32 v5, v3, v2 :: v_dual_mov_b32 v3, 0
	s_delay_alu instid0(VALU_DEP_1) | instskip(SKIP_2) | instid1(VALU_DEP_1)
	v_fmac_f32_e32 v4, v1, v5
	ds_load_b32 v3, v3 offset:4
	v_div_fmas_f32 v1, v4, v2, v5
	v_div_fixup_f32 v1, v1, s3, 1.0
	s_delay_alu instid0(VALU_DEP_1)
	v_mul_f32_e32 v6, s20, v1
	s_branch .LBB186_31
.LBB186_29:                             ;   in Loop: Header=BB186_31 Depth=1
	s_delay_alu instid0(VALU_DEP_1)
	v_lshl_add_u64 v[8:9], v[0:1], 1, s[6:7]
	global_load_u16 v4, v[8:9], off
	s_wait_loadcnt 0x0
	v_lshlrev_b32_e32 v4, 16, v4
.LBB186_30:                             ;   in Loop: Header=BB186_31 Depth=1
	s_wait_loadcnt 0x1
	s_wait_xcnt 0x0
	v_dual_lshlrev_b32 v9, 16, v5 :: v_dual_mov_b32 v5, s20
	s_wait_loadcnt 0x0
	v_dual_mov_b32 v8, s3 :: v_dual_lshlrev_b32 v2, 16, v2
	s_delay_alu instid0(VALU_DEP_1) | instskip(SKIP_1) | instid1(VALU_DEP_1)
	v_pk_mul_f32 v[4:5], v[4:5], v[8:9]
	s_wait_dscnt 0x0
	v_pk_mul_f32 v[4:5], v[4:5], v[2:3]
	s_delay_alu instid0(VALU_DEP_1) | instskip(NEXT) | instid1(VALU_DEP_1)
	v_sub_f32_e32 v2, v4, v5
	v_mul_f32_e32 v2, v6, v2
	s_delay_alu instid0(VALU_DEP_1) | instskip(NEXT) | instid1(VALU_DEP_1)
	v_bfe_u32 v4, v2, 16, 1
	v_add3_u32 v7, v2, v4, 0x7fff
	v_lshl_add_u64 v[4:5], v[0:1], 1, s[8:9]
	s_delay_alu instid0(VALU_DEP_2) | instskip(SKIP_1) | instid1(VALU_DEP_2)
	v_dual_add_nc_u32 v0, s1, v0 :: v_dual_lshrrev_b32 v1, 16, v7
	v_cmp_o_f32_e64 s0, v2, v2
	v_cmp_le_i32_e32 vcc_lo, s2, v0
	s_delay_alu instid0(VALU_DEP_2)
	v_cndmask_b32_e64 v1, 0x7fc0, v1, s0
	s_or_b32 s11, vcc_lo, s11
	global_store_b16 v[4:5], v1, off
	s_wait_xcnt 0x0
	s_and_not1_b32 exec_lo, exec_lo, s11
	s_cbranch_execz .LBB186_33
.LBB186_31:                             ; =>This Inner Loop Header: Depth=1
	s_clause 0x1
	global_load_u16 v5, v0, s[4:5] scale_offset
	global_load_u16 v2, v0, s[12:13] scale_offset
	v_ashrrev_i32_e32 v1, 31, v0
	s_and_not1_b32 vcc_lo, exec_lo, s10
	s_cbranch_vccz .LBB186_29
; %bb.32:                               ;   in Loop: Header=BB186_31 Depth=1
	v_mov_b32_e32 v4, 1.0
	s_branch .LBB186_30
.LBB186_33:
	s_endpgm
	.section	.rodata,"a",@progbits
	.p2align	6, 0x0
	.amdhsa_kernel _ZN2at6native12_GLOBAL__N_128layer_norm_grad_input_kernelIN3c108BFloat16EfLb1EEEvPKT_S7_PKT0_SA_S7_PS5_i
		.amdhsa_group_segment_fixed_size 0
		.amdhsa_private_segment_fixed_size 0
		.amdhsa_kernarg_size 312
		.amdhsa_user_sgpr_count 2
		.amdhsa_user_sgpr_dispatch_ptr 0
		.amdhsa_user_sgpr_queue_ptr 0
		.amdhsa_user_sgpr_kernarg_segment_ptr 1
		.amdhsa_user_sgpr_dispatch_id 0
		.amdhsa_user_sgpr_kernarg_preload_length 0
		.amdhsa_user_sgpr_kernarg_preload_offset 0
		.amdhsa_user_sgpr_private_segment_size 0
		.amdhsa_wavefront_size32 1
		.amdhsa_uses_dynamic_stack 0
		.amdhsa_enable_private_segment 0
		.amdhsa_system_sgpr_workgroup_id_x 1
		.amdhsa_system_sgpr_workgroup_id_y 0
		.amdhsa_system_sgpr_workgroup_id_z 0
		.amdhsa_system_sgpr_workgroup_info 0
		.amdhsa_system_vgpr_workitem_id 0
		.amdhsa_next_free_vgpr 20
		.amdhsa_next_free_sgpr 22
		.amdhsa_named_barrier_count 0
		.amdhsa_reserve_vcc 1
		.amdhsa_float_round_mode_32 0
		.amdhsa_float_round_mode_16_64 0
		.amdhsa_float_denorm_mode_32 3
		.amdhsa_float_denorm_mode_16_64 3
		.amdhsa_fp16_overflow 0
		.amdhsa_memory_ordered 1
		.amdhsa_forward_progress 1
		.amdhsa_inst_pref_size 14
		.amdhsa_round_robin_scheduling 0
		.amdhsa_exception_fp_ieee_invalid_op 0
		.amdhsa_exception_fp_denorm_src 0
		.amdhsa_exception_fp_ieee_div_zero 0
		.amdhsa_exception_fp_ieee_overflow 0
		.amdhsa_exception_fp_ieee_underflow 0
		.amdhsa_exception_fp_ieee_inexact 0
		.amdhsa_exception_int_div_zero 0
	.end_amdhsa_kernel
	.section	.text._ZN2at6native12_GLOBAL__N_128layer_norm_grad_input_kernelIN3c108BFloat16EfLb1EEEvPKT_S7_PKT0_SA_S7_PS5_i,"axG",@progbits,_ZN2at6native12_GLOBAL__N_128layer_norm_grad_input_kernelIN3c108BFloat16EfLb1EEEvPKT_S7_PKT0_SA_S7_PS5_i,comdat
.Lfunc_end186:
	.size	_ZN2at6native12_GLOBAL__N_128layer_norm_grad_input_kernelIN3c108BFloat16EfLb1EEEvPKT_S7_PKT0_SA_S7_PS5_i, .Lfunc_end186-_ZN2at6native12_GLOBAL__N_128layer_norm_grad_input_kernelIN3c108BFloat16EfLb1EEEvPKT_S7_PKT0_SA_S7_PS5_i
                                        ; -- End function
	.set _ZN2at6native12_GLOBAL__N_128layer_norm_grad_input_kernelIN3c108BFloat16EfLb1EEEvPKT_S7_PKT0_SA_S7_PS5_i.num_vgpr, 20
	.set _ZN2at6native12_GLOBAL__N_128layer_norm_grad_input_kernelIN3c108BFloat16EfLb1EEEvPKT_S7_PKT0_SA_S7_PS5_i.num_agpr, 0
	.set _ZN2at6native12_GLOBAL__N_128layer_norm_grad_input_kernelIN3c108BFloat16EfLb1EEEvPKT_S7_PKT0_SA_S7_PS5_i.numbered_sgpr, 22
	.set _ZN2at6native12_GLOBAL__N_128layer_norm_grad_input_kernelIN3c108BFloat16EfLb1EEEvPKT_S7_PKT0_SA_S7_PS5_i.num_named_barrier, 0
	.set _ZN2at6native12_GLOBAL__N_128layer_norm_grad_input_kernelIN3c108BFloat16EfLb1EEEvPKT_S7_PKT0_SA_S7_PS5_i.private_seg_size, 0
	.set _ZN2at6native12_GLOBAL__N_128layer_norm_grad_input_kernelIN3c108BFloat16EfLb1EEEvPKT_S7_PKT0_SA_S7_PS5_i.uses_vcc, 1
	.set _ZN2at6native12_GLOBAL__N_128layer_norm_grad_input_kernelIN3c108BFloat16EfLb1EEEvPKT_S7_PKT0_SA_S7_PS5_i.uses_flat_scratch, 0
	.set _ZN2at6native12_GLOBAL__N_128layer_norm_grad_input_kernelIN3c108BFloat16EfLb1EEEvPKT_S7_PKT0_SA_S7_PS5_i.has_dyn_sized_stack, 0
	.set _ZN2at6native12_GLOBAL__N_128layer_norm_grad_input_kernelIN3c108BFloat16EfLb1EEEvPKT_S7_PKT0_SA_S7_PS5_i.has_recursion, 0
	.set _ZN2at6native12_GLOBAL__N_128layer_norm_grad_input_kernelIN3c108BFloat16EfLb1EEEvPKT_S7_PKT0_SA_S7_PS5_i.has_indirect_call, 0
	.section	.AMDGPU.csdata,"",@progbits
; Kernel info:
; codeLenInByte = 1736
; TotalNumSgprs: 24
; NumVgprs: 20
; ScratchSize: 0
; MemoryBound: 0
; FloatMode: 240
; IeeeMode: 1
; LDSByteSize: 0 bytes/workgroup (compile time only)
; SGPRBlocks: 0
; VGPRBlocks: 1
; NumSGPRsForWavesPerEU: 24
; NumVGPRsForWavesPerEU: 20
; NamedBarCnt: 0
; Occupancy: 16
; WaveLimiterHint : 0
; COMPUTE_PGM_RSRC2:SCRATCH_EN: 0
; COMPUTE_PGM_RSRC2:USER_SGPR: 2
; COMPUTE_PGM_RSRC2:TRAP_HANDLER: 0
; COMPUTE_PGM_RSRC2:TGID_X_EN: 1
; COMPUTE_PGM_RSRC2:TGID_Y_EN: 0
; COMPUTE_PGM_RSRC2:TGID_Z_EN: 0
; COMPUTE_PGM_RSRC2:TIDIG_COMP_CNT: 0
	.section	.text._ZN2at6native12_GLOBAL__N_133GammaBetaBackwardSimpleCUDAKernelIN3c108BFloat16EfLb1EEEvllPKT_S7_PKT0_SA_PS5_SB_,"axG",@progbits,_ZN2at6native12_GLOBAL__N_133GammaBetaBackwardSimpleCUDAKernelIN3c108BFloat16EfLb1EEEvllPKT_S7_PKT0_SA_PS5_SB_,comdat
	.globl	_ZN2at6native12_GLOBAL__N_133GammaBetaBackwardSimpleCUDAKernelIN3c108BFloat16EfLb1EEEvllPKT_S7_PKT0_SA_PS5_SB_ ; -- Begin function _ZN2at6native12_GLOBAL__N_133GammaBetaBackwardSimpleCUDAKernelIN3c108BFloat16EfLb1EEEvllPKT_S7_PKT0_SA_PS5_SB_
	.p2align	8
	.type	_ZN2at6native12_GLOBAL__N_133GammaBetaBackwardSimpleCUDAKernelIN3c108BFloat16EfLb1EEEvllPKT_S7_PKT0_SA_PS5_SB_,@function
_ZN2at6native12_GLOBAL__N_133GammaBetaBackwardSimpleCUDAKernelIN3c108BFloat16EfLb1EEEvllPKT_S7_PKT0_SA_PS5_SB_: ; @_ZN2at6native12_GLOBAL__N_133GammaBetaBackwardSimpleCUDAKernelIN3c108BFloat16EfLb1EEEvllPKT_S7_PKT0_SA_PS5_SB_
; %bb.0:
	s_load_b32 s2, s[0:1], 0x4c
	s_bfe_u32 s12, ttmp6, 0x4000c
	s_load_b256 s[4:11], s[0:1], 0x0
	s_add_co_i32 s12, s12, 1
	s_and_b32 s3, ttmp6, 15
	s_mul_i32 s12, ttmp9, s12
	s_getreg_b32 s13, hwreg(HW_REG_IB_STS2, 6, 4)
	v_mov_b32_e32 v1, 0
	s_add_co_i32 s3, s3, s12
	s_wait_kmcnt 0x0
	s_and_b32 s2, s2, 0xffff
	s_cmp_eq_u32 s13, 0
	s_cselect_b32 s3, ttmp9, s3
	s_delay_alu instid0(SALU_CYCLE_1) | instskip(SKIP_1) | instid1(VALU_DEP_1)
	v_mad_nc_u64_u32 v[2:3], s2, s3, v[0:1]
	s_mov_b32 s2, exec_lo
	v_cmpx_gt_i64_e64 s[6:7], v[2:3]
	s_cbranch_execz .LBB187_8
; %bb.1:
	s_load_b128 s[12:15], s[0:1], 0x28
	s_wait_xcnt 0x0
	v_cmp_lt_i64_e64 s0, s[4:5], 1
	s_and_b32 vcc_lo, exec_lo, s0
	s_cbranch_vccnz .LBB187_6
; %bb.2:
	v_lshlrev_b64_e32 v[4:5], 1, v[2:3]
	v_mov_b32_e32 v1, 0
	s_wait_kmcnt 0x0
	s_cmp_lg_u64 s[14:15], 0
	s_cselect_b32 s2, -1, 0
	s_lshl_b64 s[0:1], s[6:7], 1
	s_branch .LBB187_4
.LBB187_3:                              ;   in Loop: Header=BB187_4 Depth=1
	v_add_nc_u64_e32 v[4:5], s[0:1], v[4:5]
	s_delay_alu instid0(VALU_DEP_2)
	v_add_f32_e32 v1, v1, v0
	s_add_nc_u64 s[4:5], s[4:5], -1
	s_add_nc_u64 s[12:13], s[12:13], 4
	s_cmp_eq_u64 s[4:5], 0
	s_cbranch_scc1 .LBB187_6
.LBB187_4:                              ; =>This Inner Loop Header: Depth=1
	v_mov_b32_e32 v0, 0
	s_and_not1_b32 vcc_lo, exec_lo, s2
	s_cbranch_vccnz .LBB187_3
; %bb.5:                                ;   in Loop: Header=BB187_4 Depth=1
	v_add_nc_u64_e32 v[6:7], s[8:9], v[4:5]
	v_add_nc_u64_e32 v[8:9], s[10:11], v[4:5]
	global_load_u16 v0, v[6:7], off
	global_load_u16 v10, v[8:9], off
	s_load_b32 s3, s[12:13], 0x0
	s_wait_loadcnt 0x0
	v_dual_lshlrev_b32 v0, 16, v0 :: v_dual_lshlrev_b32 v6, 16, v10
	s_delay_alu instid0(VALU_DEP_1) | instskip(SKIP_1) | instid1(VALU_DEP_1)
	v_mul_f32_e32 v0, v6, v0
	s_wait_kmcnt 0x0
	v_mul_f32_e32 v0, s3, v0
	s_branch .LBB187_3
.LBB187_6:
	s_wait_kmcnt 0x0
	s_cmp_lg_u64 s[14:15], 0
	s_cbranch_scc0 .LBB187_8
; %bb.7:
	v_bfe_u32 v0, v1, 16, 1
	v_cmp_o_f32_e32 vcc_lo, v1, v1
	s_delay_alu instid0(VALU_DEP_2) | instskip(NEXT) | instid1(VALU_DEP_1)
	v_add3_u32 v0, v1, v0, 0x7fff
	v_lshrrev_b32_e32 v0, 16, v0
	s_delay_alu instid0(VALU_DEP_1)
	v_cndmask_b32_e32 v4, 0x7fc0, v0, vcc_lo
	v_lshl_add_u64 v[0:1], v[2:3], 1, s[14:15]
	global_store_b16 v[0:1], v4, off
.LBB187_8:
	s_endpgm
	.section	.rodata,"a",@progbits
	.p2align	6, 0x0
	.amdhsa_kernel _ZN2at6native12_GLOBAL__N_133GammaBetaBackwardSimpleCUDAKernelIN3c108BFloat16EfLb1EEEvllPKT_S7_PKT0_SA_PS5_SB_
		.amdhsa_group_segment_fixed_size 0
		.amdhsa_private_segment_fixed_size 0
		.amdhsa_kernarg_size 320
		.amdhsa_user_sgpr_count 2
		.amdhsa_user_sgpr_dispatch_ptr 0
		.amdhsa_user_sgpr_queue_ptr 0
		.amdhsa_user_sgpr_kernarg_segment_ptr 1
		.amdhsa_user_sgpr_dispatch_id 0
		.amdhsa_user_sgpr_kernarg_preload_length 0
		.amdhsa_user_sgpr_kernarg_preload_offset 0
		.amdhsa_user_sgpr_private_segment_size 0
		.amdhsa_wavefront_size32 1
		.amdhsa_uses_dynamic_stack 0
		.amdhsa_enable_private_segment 0
		.amdhsa_system_sgpr_workgroup_id_x 1
		.amdhsa_system_sgpr_workgroup_id_y 0
		.amdhsa_system_sgpr_workgroup_id_z 0
		.amdhsa_system_sgpr_workgroup_info 0
		.amdhsa_system_vgpr_workitem_id 0
		.amdhsa_next_free_vgpr 11
		.amdhsa_next_free_sgpr 16
		.amdhsa_named_barrier_count 0
		.amdhsa_reserve_vcc 1
		.amdhsa_float_round_mode_32 0
		.amdhsa_float_round_mode_16_64 0
		.amdhsa_float_denorm_mode_32 3
		.amdhsa_float_denorm_mode_16_64 3
		.amdhsa_fp16_overflow 0
		.amdhsa_memory_ordered 1
		.amdhsa_forward_progress 1
		.amdhsa_inst_pref_size 3
		.amdhsa_round_robin_scheduling 0
		.amdhsa_exception_fp_ieee_invalid_op 0
		.amdhsa_exception_fp_denorm_src 0
		.amdhsa_exception_fp_ieee_div_zero 0
		.amdhsa_exception_fp_ieee_overflow 0
		.amdhsa_exception_fp_ieee_underflow 0
		.amdhsa_exception_fp_ieee_inexact 0
		.amdhsa_exception_int_div_zero 0
	.end_amdhsa_kernel
	.section	.text._ZN2at6native12_GLOBAL__N_133GammaBetaBackwardSimpleCUDAKernelIN3c108BFloat16EfLb1EEEvllPKT_S7_PKT0_SA_PS5_SB_,"axG",@progbits,_ZN2at6native12_GLOBAL__N_133GammaBetaBackwardSimpleCUDAKernelIN3c108BFloat16EfLb1EEEvllPKT_S7_PKT0_SA_PS5_SB_,comdat
.Lfunc_end187:
	.size	_ZN2at6native12_GLOBAL__N_133GammaBetaBackwardSimpleCUDAKernelIN3c108BFloat16EfLb1EEEvllPKT_S7_PKT0_SA_PS5_SB_, .Lfunc_end187-_ZN2at6native12_GLOBAL__N_133GammaBetaBackwardSimpleCUDAKernelIN3c108BFloat16EfLb1EEEvllPKT_S7_PKT0_SA_PS5_SB_
                                        ; -- End function
	.set _ZN2at6native12_GLOBAL__N_133GammaBetaBackwardSimpleCUDAKernelIN3c108BFloat16EfLb1EEEvllPKT_S7_PKT0_SA_PS5_SB_.num_vgpr, 11
	.set _ZN2at6native12_GLOBAL__N_133GammaBetaBackwardSimpleCUDAKernelIN3c108BFloat16EfLb1EEEvllPKT_S7_PKT0_SA_PS5_SB_.num_agpr, 0
	.set _ZN2at6native12_GLOBAL__N_133GammaBetaBackwardSimpleCUDAKernelIN3c108BFloat16EfLb1EEEvllPKT_S7_PKT0_SA_PS5_SB_.numbered_sgpr, 16
	.set _ZN2at6native12_GLOBAL__N_133GammaBetaBackwardSimpleCUDAKernelIN3c108BFloat16EfLb1EEEvllPKT_S7_PKT0_SA_PS5_SB_.num_named_barrier, 0
	.set _ZN2at6native12_GLOBAL__N_133GammaBetaBackwardSimpleCUDAKernelIN3c108BFloat16EfLb1EEEvllPKT_S7_PKT0_SA_PS5_SB_.private_seg_size, 0
	.set _ZN2at6native12_GLOBAL__N_133GammaBetaBackwardSimpleCUDAKernelIN3c108BFloat16EfLb1EEEvllPKT_S7_PKT0_SA_PS5_SB_.uses_vcc, 1
	.set _ZN2at6native12_GLOBAL__N_133GammaBetaBackwardSimpleCUDAKernelIN3c108BFloat16EfLb1EEEvllPKT_S7_PKT0_SA_PS5_SB_.uses_flat_scratch, 0
	.set _ZN2at6native12_GLOBAL__N_133GammaBetaBackwardSimpleCUDAKernelIN3c108BFloat16EfLb1EEEvllPKT_S7_PKT0_SA_PS5_SB_.has_dyn_sized_stack, 0
	.set _ZN2at6native12_GLOBAL__N_133GammaBetaBackwardSimpleCUDAKernelIN3c108BFloat16EfLb1EEEvllPKT_S7_PKT0_SA_PS5_SB_.has_recursion, 0
	.set _ZN2at6native12_GLOBAL__N_133GammaBetaBackwardSimpleCUDAKernelIN3c108BFloat16EfLb1EEEvllPKT_S7_PKT0_SA_PS5_SB_.has_indirect_call, 0
	.section	.AMDGPU.csdata,"",@progbits
; Kernel info:
; codeLenInByte = 348
; TotalNumSgprs: 18
; NumVgprs: 11
; ScratchSize: 0
; MemoryBound: 0
; FloatMode: 240
; IeeeMode: 1
; LDSByteSize: 0 bytes/workgroup (compile time only)
; SGPRBlocks: 0
; VGPRBlocks: 0
; NumSGPRsForWavesPerEU: 18
; NumVGPRsForWavesPerEU: 11
; NamedBarCnt: 0
; Occupancy: 16
; WaveLimiterHint : 0
; COMPUTE_PGM_RSRC2:SCRATCH_EN: 0
; COMPUTE_PGM_RSRC2:USER_SGPR: 2
; COMPUTE_PGM_RSRC2:TRAP_HANDLER: 0
; COMPUTE_PGM_RSRC2:TGID_X_EN: 1
; COMPUTE_PGM_RSRC2:TGID_Y_EN: 0
; COMPUTE_PGM_RSRC2:TGID_Z_EN: 0
; COMPUTE_PGM_RSRC2:TIDIG_COMP_CNT: 0
	.section	.text._ZN2at6native12_GLOBAL__N_135GammaBetaBackwardCUDAKernelTemplateIN3c108BFloat16EfLj64ELj1ELj32ELb1ELb1ELb1EEEvllPKT_S7_PKT0_SA_PS5_SB_,"axG",@progbits,_ZN2at6native12_GLOBAL__N_135GammaBetaBackwardCUDAKernelTemplateIN3c108BFloat16EfLj64ELj1ELj32ELb1ELb1ELb1EEEvllPKT_S7_PKT0_SA_PS5_SB_,comdat
	.globl	_ZN2at6native12_GLOBAL__N_135GammaBetaBackwardCUDAKernelTemplateIN3c108BFloat16EfLj64ELj1ELj32ELb1ELb1ELb1EEEvllPKT_S7_PKT0_SA_PS5_SB_ ; -- Begin function _ZN2at6native12_GLOBAL__N_135GammaBetaBackwardCUDAKernelTemplateIN3c108BFloat16EfLj64ELj1ELj32ELb1ELb1ELb1EEEvllPKT_S7_PKT0_SA_PS5_SB_
	.p2align	8
	.type	_ZN2at6native12_GLOBAL__N_135GammaBetaBackwardCUDAKernelTemplateIN3c108BFloat16EfLj64ELj1ELj32ELb1ELb1ELb1EEEvllPKT_S7_PKT0_SA_PS5_SB_,@function
_ZN2at6native12_GLOBAL__N_135GammaBetaBackwardCUDAKernelTemplateIN3c108BFloat16EfLj64ELj1ELj32ELb1ELb1ELb1EEEvllPKT_S7_PKT0_SA_PS5_SB_: ; @_ZN2at6native12_GLOBAL__N_135GammaBetaBackwardCUDAKernelTemplateIN3c108BFloat16EfLj64ELj1ELj32ELb1ELb1ELb1EEEvllPKT_S7_PKT0_SA_PS5_SB_
; %bb.0:
	s_load_b128 s[4:7], s[0:1], 0x0
	s_bfe_u32 s2, ttmp6, 0x40010
	s_bfe_u32 s3, ttmp6, 0x40004
	s_add_co_i32 s2, s2, 1
	s_getreg_b32 s20, hwreg(HW_REG_IB_STS2, 6, 4)
	s_mul_i32 s2, ttmp7, s2
	v_mov_b32_e32 v40, 0
	s_add_co_i32 s3, s3, s2
	s_cmp_eq_u32 s20, 0
	v_bfe_u32 v2, v0, 10, 10
	s_cselect_b32 s21, ttmp7, s3
	s_mov_b32 s3, 0
	s_lshl_b32 s2, s21, 5
	v_and_b32_e32 v10, 0x3ff, v0
	s_wait_kmcnt 0x0
	v_cmp_le_i64_e64 s8, s[4:5], s[2:3]
	s_and_b32 vcc_lo, exec_lo, s8
	s_cbranch_vccnz .LBB188_5
; %bb.1:
	v_dual_mov_b32 v1, 0 :: v_dual_lshlrev_b32 v0, 5, v2
	s_clause 0x3
	s_load_b32 s12, s[0:1], 0x4c
	s_load_b32 s13, s[0:1], 0x44
	s_load_b128 s[8:11], s[0:1], 0x10
	s_load_b64 s[14:15], s[0:1], 0x28
	s_bfe_u32 s17, ttmp6, 0x4000c
	s_and_b32 s16, ttmp6, 15
	s_add_co_i32 s17, s17, 1
	v_add_nc_u64_e32 v[4:5], s[2:3], v[0:1]
	s_mul_i32 s17, ttmp9, s17
	v_dual_mov_b32 v16, 28 :: v_dual_mov_b32 v7, v1
	s_add_co_i32 s16, s16, s17
	v_dual_mov_b32 v3, 4 :: v_dual_mov_b32 v11, 8
	s_delay_alu instid0(VALU_DEP_3)
	v_mul_u64_e32 v[8:9], s[6:7], v[4:5]
	v_dual_mov_b32 v12, 12 :: v_dual_mov_b32 v13, 16
	v_dual_mov_b32 v14, 20 :: v_dual_mov_b32 v15, 24
	;; [unrolled: 1-line block ×3, first 2 shown]
	s_wait_kmcnt 0x0
	s_and_b32 s12, s12, 0xffff
	s_cmp_eq_u32 s20, 0
	v_mad_u32_u24 v0, v2, s12, v10
	s_cselect_b32 s12, ttmp9, s16
	v_mov_b32_e32 v39, v1
	v_lshl_or_b32 v38, s12, 6, v10
	s_lshl_b32 s12, s13, 5
	v_and_b32_e32 v6, 31, v0
	s_mov_b32 s13, s3
	v_dual_mov_b32 v0, 32 :: v_dual_mov_b32 v17, 36
	v_lshlrev_b64_e32 v[40:41], 1, v[38:39]
	s_delay_alu instid0(VALU_DEP_3)
	v_add_nc_u64_e32 v[4:5], v[4:5], v[6:7]
	v_dual_mov_b32 v20, 48 :: v_dual_mov_b32 v21, 52
	v_dual_mov_b32 v22, 56 :: v_dual_mov_b32 v23, 60
	;; [unrolled: 1-line block ×3, first 2 shown]
	v_mov_b32_e32 v26, 0x48
	v_mov_b32_e32 v27, 0x4c
	v_mov_b32_e32 v28, 0x50
	v_mov_b32_e32 v29, 0x54
	v_mov_b32_e32 v30, 0x58
	v_mov_b32_e32 v31, 0x5c
	v_mov_b32_e32 v32, 0x60
	v_mov_b32_e32 v33, 0x64
	v_mov_b32_e32 v34, 0x68
	v_mov_b32_e32 v35, 0x6c
	v_mov_b32_e32 v36, 0x70
	v_mov_b32_e32 v37, 0x74
	v_mov_b32_e32 v38, 0x78
	v_mov_b32_e32 v39, 0x7c
	v_lshl_add_u64 v[6:7], v[8:9], 1, v[40:41]
	v_lshl_add_u64 v[8:9], v[4:5], 2, s[14:15]
	v_mov_b32_e32 v40, 0
	s_mul_u64 s[16:17], s[6:7], s[12:13]
	s_lshl_b64 s[18:19], s[6:7], 1
	s_lshl_b64 s[14:15], s[16:17], 1
	;; [unrolled: 1-line block ×3, first 2 shown]
	s_branch .LBB188_3
.LBB188_2:                              ;   in Loop: Header=BB188_3 Depth=1
	s_wait_xcnt 0x0
	s_or_b32 exec_lo, exec_lo, s22
	v_add_nc_u64_e32 v[42:43], s[8:9], v[6:7]
	v_add_nc_u64_e32 v[44:45], s[10:11], v[6:7]
	s_wait_loadcnt 0x0
	ds_bpermute_b32 v56, v1, v41
	ds_bpermute_b32 v59, v3, v41
	s_add_nc_u64 s[2:3], s[2:3], s[12:13]
	v_add_nc_u64_e32 v[6:7], s[14:15], v[6:7]
	v_cmp_lt_i64_e64 s22, s[2:3], s[4:5]
	global_load_u16 v46, v[42:43], off
	global_load_u16 v47, v[44:45], off
	s_wait_xcnt 0x1
	v_add_nc_u64_e32 v[42:43], s[18:19], v[42:43]
	s_wait_xcnt 0x0
	v_add_nc_u64_e32 v[44:45], s[18:19], v[44:45]
	v_add_nc_u64_e32 v[8:9], s[16:17], v[8:9]
	v_add_nc_u64_e32 v[4:5], s[12:13], v[4:5]
	global_load_u16 v48, v[42:43], off
	global_load_u16 v49, v[44:45], off
	s_wait_xcnt 0x1
	v_add_nc_u64_e32 v[42:43], s[18:19], v[42:43]
	s_wait_xcnt 0x0
	v_add_nc_u64_e32 v[44:45], s[18:19], v[44:45]
	s_and_b32 vcc_lo, exec_lo, s22
	global_load_u16 v50, v[42:43], off
	global_load_u16 v51, v[44:45], off
	s_wait_xcnt 0x1
	v_add_nc_u64_e32 v[42:43], s[18:19], v[42:43]
	s_wait_xcnt 0x0
	v_add_nc_u64_e32 v[44:45], s[18:19], v[44:45]
	global_load_u16 v52, v[42:43], off
	global_load_u16 v53, v[44:45], off
	s_wait_xcnt 0x1
	v_add_nc_u64_e32 v[42:43], s[18:19], v[42:43]
	s_wait_xcnt 0x0
	v_add_nc_u64_e32 v[44:45], s[18:19], v[44:45]
	;; [unrolled: 6-line block ×4, first 2 shown]
	global_load_u16 v60, v[42:43], off
	s_wait_xcnt 0x0
	v_add_nc_u64_e32 v[42:43], s[18:19], v[42:43]
	s_wait_loadcnt 0xb
	v_dual_lshlrev_b32 v46, 16, v46 :: v_dual_lshlrev_b32 v47, 16, v47
	s_delay_alu instid0(VALU_DEP_1)
	v_mul_f32_e32 v46, v46, v47
	global_load_u16 v47, v[44:45], off
	s_wait_xcnt 0x0
	v_add_nc_u64_e32 v[44:45], s[18:19], v[44:45]
	s_wait_loadcnt 0xa
	v_dual_lshlrev_b32 v48, 16, v48 :: v_dual_lshlrev_b32 v49, 16, v49
	s_wait_dscnt 0x1
	v_fmac_f32_e32 v40, v46, v56
	global_load_u16 v46, v[42:43], off
	global_load_u16 v56, v[44:45], off
	s_wait_xcnt 0x1
	v_add_nc_u64_e32 v[42:43], s[18:19], v[42:43]
	s_wait_xcnt 0x0
	v_add_nc_u64_e32 v[44:45], s[18:19], v[44:45]
	s_wait_loadcnt 0xb
	v_dual_mul_f32 v48, v48, v49 :: v_dual_lshlrev_b32 v50, 16, v50
	ds_bpermute_b32 v49, v11, v41
	s_wait_dscnt 0x1
	v_fmac_f32_e32 v40, v48, v59
	global_load_u16 v48, v[42:43], off
	global_load_u16 v59, v[44:45], off
	s_wait_xcnt 0x1
	v_add_nc_u64_e32 v[42:43], s[18:19], v[42:43]
	s_wait_loadcnt 0xb
	v_dual_lshlrev_b32 v52, 16, v52 :: v_dual_lshlrev_b32 v51, 16, v51
	s_wait_xcnt 0x0
	v_add_nc_u64_e32 v[44:45], s[18:19], v[44:45]
	s_wait_loadcnt 0xa
	s_delay_alu instid0(VALU_DEP_2)
	v_dual_mul_f32 v50, v50, v51 :: v_dual_lshlrev_b32 v53, 16, v53
	global_load_u16 v51, v[42:43], off
	s_wait_loadcnt 0xa
	v_dual_mul_f32 v52, v52, v53 :: v_dual_lshlrev_b32 v54, 16, v54
	ds_bpermute_b32 v53, v13, v41
	s_wait_xcnt 0x0
	v_add_nc_u64_e32 v[42:43], s[18:19], v[42:43]
	s_wait_dscnt 0x1
	v_fmac_f32_e32 v40, v50, v49
	ds_bpermute_b32 v50, v12, v41
	global_load_u16 v49, v[44:45], off
	s_wait_xcnt 0x0
	v_add_nc_u64_e32 v[44:45], s[18:19], v[44:45]
	s_wait_loadcnt 0x9
	v_dual_lshlrev_b32 v55, 16, v55 :: v_dual_lshlrev_b32 v57, 16, v57
	s_wait_loadcnt_dscnt 0x700
	v_dual_lshlrev_b32 v60, 16, v60 :: v_dual_fmac_f32 v40, v52, v50
	global_load_u16 v52, v[42:43], off
	v_mul_f32_e32 v54, v54, v55
	global_load_u16 v55, v[44:45], off
	ds_bpermute_b32 v50, v14, v41
	s_wait_xcnt 0x1
	v_add_nc_u64_e32 v[42:43], s[18:19], v[42:43]
	s_wait_xcnt 0x0
	v_add_nc_u64_e32 v[44:45], s[18:19], v[44:45]
	v_dual_lshlrev_b32 v58, 16, v58 :: v_dual_fmac_f32 v40, v54, v53
	ds_bpermute_b32 v53, v15, v41
	global_load_u16 v54, v[42:43], off
	v_mul_f32_e32 v57, v57, v58
	global_load_u16 v58, v[44:45], off
	s_wait_xcnt 0x1
	v_add_nc_u64_e32 v[42:43], s[18:19], v[42:43]
	s_wait_xcnt 0x0
	v_add_nc_u64_e32 v[44:45], s[18:19], v[44:45]
	s_wait_dscnt 0x1
	v_fmac_f32_e32 v40, v57, v50
	ds_bpermute_b32 v50, v16, v41
	global_load_u16 v57, v[42:43], off
	s_wait_xcnt 0x0
	v_add_nc_u64_e32 v[42:43], s[18:19], v[42:43]
	s_wait_loadcnt 0xb
	v_lshlrev_b32_e32 v47, 16, v47
	s_wait_loadcnt 0xa
	s_delay_alu instid0(VALU_DEP_1)
	v_dual_mul_f32 v47, v60, v47 :: v_dual_lshlrev_b32 v46, 16, v46
	global_load_u16 v60, v[44:45], off
	s_wait_xcnt 0x0
	v_add_nc_u64_e32 v[44:45], s[18:19], v[44:45]
	s_wait_loadcnt_dscnt 0xa01
	v_dual_lshlrev_b32 v56, 16, v56 :: v_dual_fmac_f32 v40, v47, v53
	global_load_u16 v53, v[42:43], off
	ds_bpermute_b32 v47, v0, v41
	s_wait_xcnt 0x0
	v_add_nc_u64_e32 v[42:43], s[18:19], v[42:43]
	v_mul_f32_e32 v46, v46, v56
	global_load_u16 v56, v[44:45], off
	s_wait_xcnt 0x0
	v_add_nc_u64_e32 v[44:45], s[18:19], v[44:45]
	s_wait_loadcnt 0xa
	v_dual_lshlrev_b32 v59, 16, v59 :: v_dual_lshlrev_b32 v48, 16, v48
	s_wait_dscnt 0x1
	v_fmac_f32_e32 v40, v46, v50
	global_load_u16 v50, v[42:43], off
	global_load_u16 v61, v[44:45], off
	s_wait_xcnt 0x1
	v_add_nc_u64_e32 v[42:43], s[18:19], v[42:43]
	s_wait_xcnt 0x0
	v_add_nc_u64_e32 v[44:45], s[18:19], v[44:45]
	v_mul_f32_e32 v46, v48, v59
	ds_bpermute_b32 v48, v17, v41
	global_load_u16 v59, v[42:43], off
	s_wait_xcnt 0x0
	v_add_nc_u64_e32 v[42:43], s[18:19], v[42:43]
	s_wait_dscnt 0x1
	v_fmac_f32_e32 v40, v46, v47
	s_wait_loadcnt 0xc
	v_lshlrev_b32_e32 v46, 16, v51
	global_load_u16 v51, v[44:45], off
	s_wait_xcnt 0x0
	v_add_nc_u64_e32 v[44:45], s[18:19], v[44:45]
	s_wait_loadcnt 0xc
	v_lshlrev_b32_e32 v47, 16, v49
	global_load_u16 v62, v[42:43], off
	s_wait_xcnt 0x0
	v_add_nc_u64_e32 v[42:43], s[18:19], v[42:43]
	v_mul_f32_e32 v46, v46, v47
	global_load_u16 v63, v[44:45], off
	s_wait_xcnt 0x0
	v_add_nc_u64_e32 v[44:45], s[18:19], v[44:45]
	s_wait_dscnt 0x0
	v_fmac_f32_e32 v40, v46, v48
	ds_bpermute_b32 v46, v18, v41
	s_wait_loadcnt 0xc
	v_dual_lshlrev_b32 v47, 16, v52 :: v_dual_lshlrev_b32 v48, 16, v55
	ds_bpermute_b32 v55, v22, v41
	v_mul_f32_e32 v47, v47, v48
	ds_bpermute_b32 v48, v19, v41
	s_wait_loadcnt 0xb
	v_lshlrev_b32_e32 v49, 16, v54
	global_load_u16 v54, v[44:45], off
	s_wait_dscnt 0x2
	v_fmac_f32_e32 v40, v47, v46
	s_wait_loadcnt 0xb
	v_lshlrev_b32_e32 v52, 16, v58
	ds_bpermute_b32 v46, v20, v41
	s_wait_xcnt 0x0
	v_add_nc_u64_e32 v[44:45], s[18:19], v[44:45]
	v_mul_f32_e32 v47, v49, v52
	ds_bpermute_b32 v49, v21, v41
	global_load_u16 v52, v[42:43], off
	s_wait_xcnt 0x0
	v_add_nc_u64_e32 v[42:43], s[18:19], v[42:43]
	s_wait_loadcnt_dscnt 0xb02
	v_dual_fmac_f32 v40, v47, v48 :: v_dual_lshlrev_b32 v47, 16, v57
	global_load_u16 v57, v[44:45], off
	s_wait_loadcnt 0xb
	v_lshlrev_b32_e32 v48, 16, v60
	s_wait_loadcnt 0xa
	s_delay_alu instid0(VALU_DEP_1)
	v_dual_mul_f32 v47, v47, v48 :: v_dual_lshlrev_b32 v48, 16, v53
	s_wait_loadcnt 0x9
	v_lshlrev_b32_e32 v53, 16, v56
	global_load_u16 v56, v[42:43], off
	s_wait_xcnt 0x0
	v_add_nc_u64_e32 v[42:43], s[18:19], v[42:43]
	s_wait_dscnt 0x1
	v_fmac_f32_e32 v40, v47, v46
	v_add_nc_u64_e32 v[46:47], s[18:19], v[44:45]
	s_wait_loadcnt 0x9
	v_dual_mul_f32 v48, v48, v53 :: v_dual_lshlrev_b32 v50, 16, v50
	global_load_u16 v58, v[42:43], off
	global_load_u16 v60, v[46:47], off
	s_wait_dscnt 0x0
	v_fmac_f32_e32 v40, v48, v49
	s_wait_loadcnt 0xa
	v_lshlrev_b32_e32 v53, 16, v61
	v_add_nc_u64_e32 v[44:45], s[18:19], v[42:43]
	v_add_nc_u64_e32 v[48:49], s[18:19], v[46:47]
	s_delay_alu instid0(VALU_DEP_3)
	v_mul_f32_e32 v50, v50, v53
	ds_bpermute_b32 v53, v23, v41
	s_wait_xcnt 0x1
	v_add_nc_u64_e32 v[42:43], s[18:19], v[44:45]
	s_wait_xcnt 0x0
	v_add_nc_u64_e32 v[46:47], s[18:19], v[48:49]
	v_fmac_f32_e32 v40, v50, v55
	global_load_u16 v50, v[44:45], off
	s_wait_loadcnt 0xa
	s_wait_xcnt 0x0
	v_lshlrev_b32_e32 v44, 16, v59
	s_wait_loadcnt 0x9
	v_lshlrev_b32_e32 v45, 16, v51
	global_load_u16 v55, v[48:49], off
	global_load_u16 v59, v[42:43], off
	s_wait_xcnt 0x0
	v_add_nc_u64_e32 v[42:43], s[18:19], v[42:43]
	global_load_u16 v61, v[46:47], off
	s_wait_loadcnt 0xb
	v_dual_mul_f32 v48, v44, v45 :: v_dual_lshlrev_b32 v49, 16, v62
	v_add_nc_u64_e32 v[44:45], s[18:19], v[46:47]
	s_wait_loadcnt 0xa
	v_lshlrev_b32_e32 v62, 16, v63
	ds_bpermute_b32 v51, v24, v41
	s_wait_xcnt 0x0
	v_add_nc_u64_e32 v[46:47], s[18:19], v[42:43]
	s_wait_dscnt 0x1
	v_fmac_f32_e32 v40, v48, v53
	global_load_u16 v53, v[42:43], off
	s_wait_xcnt 0x0
	v_add_nc_u64_e32 v[42:43], s[18:19], v[44:45]
	v_mul_f32_e32 v48, v49, v62
	global_load_u16 v62, v[44:45], off
	global_load_u16 v63, v[46:47], off
	s_wait_xcnt 0x1
	ds_bpermute_b32 v44, v25, v41
	global_load_u16 v64, v[42:43], off
	s_wait_xcnt 0x0
	v_add_nc_u64_e32 v[42:43], s[18:19], v[42:43]
	s_wait_loadcnt_dscnt 0xc01
	v_dual_fmac_f32 v40, v48, v51 :: v_dual_lshlrev_b32 v45, 16, v52
	v_lshlrev_b32_e32 v48, 16, v54
	ds_bpermute_b32 v51, v27, v41
	v_mul_f32_e32 v45, v45, v48
	ds_bpermute_b32 v48, v26, v41
	s_wait_loadcnt_dscnt 0xb02
	v_dual_lshlrev_b32 v52, 16, v57 :: v_dual_fmac_f32 v40, v45, v44
	v_add_nc_u64_e32 v[44:45], s[18:19], v[46:47]
	s_delay_alu instid0(VALU_DEP_1)
	v_add_nc_u64_e32 v[46:47], s[18:19], v[44:45]
	s_wait_loadcnt 0x8
	v_lshlrev_b32_e32 v54, 16, v60
	v_lshlrev_b32_e32 v49, 16, v56
	global_load_u16 v56, v[44:45], off
	s_wait_xcnt 0x0
	ds_bpermute_b32 v44, v28, v41
	ds_bpermute_b32 v45, v29, v41
	v_dual_mul_f32 v49, v49, v52 :: v_dual_lshlrev_b32 v52, 16, v58
	s_wait_dscnt 0x2
	s_delay_alu instid0(VALU_DEP_1) | instskip(SKIP_1) | instid1(VALU_DEP_3)
	v_fmac_f32_e32 v40, v49, v48
	v_add_nc_u64_e32 v[48:49], s[18:19], v[42:43]
	v_mul_f32_e32 v52, v52, v54
	global_load_u16 v54, v[42:43], off
	global_load_u16 v57, v[46:47], off
	s_wait_xcnt 0x1
	v_add_nc_u64_e32 v[42:43], s[18:19], v[46:47]
	global_load_u16 v58, v[48:49], off
	s_wait_xcnt 0x1
	v_add_nc_u64_e32 v[46:47], s[18:19], v[48:49]
	s_wait_loadcnt 0xa
	s_wait_xcnt 0x0
	v_dual_lshlrev_b32 v48, 16, v50 :: v_dual_lshlrev_b32 v50, 16, v55
	global_load_u16 v55, v[42:43], off
	s_wait_xcnt 0x0
	v_add_nc_u64_e32 v[42:43], s[18:19], v[42:43]
	s_wait_loadcnt 0xa
	v_lshlrev_b32_e32 v49, 16, v59
	s_wait_loadcnt 0x9
	v_dual_fmac_f32 v40, v52, v51 :: v_dual_lshlrev_b32 v51, 16, v61
	global_load_u16 v59, v[46:47], off
	global_load_u16 v60, v[42:43], off
	v_pk_mul_f32 v[48:49], v[48:49], v[50:51]
	v_add_nc_u64_e32 v[50:51], s[18:19], v[46:47]
	s_wait_xcnt 0x0
	v_add_nc_u64_e32 v[42:43], s[18:19], v[42:43]
	s_wait_loadcnt 0x8
	v_dual_lshlrev_b32 v46, 16, v53 :: v_dual_lshlrev_b32 v47, 16, v63
	s_wait_loadcnt 0x7
	v_dual_lshlrev_b32 v52, 16, v62 :: v_dual_lshlrev_b32 v53, 16, v64
	s_wait_dscnt 0x0
	v_pk_mul_f32 v[44:45], v[48:49], v[44:45]
	global_load_u16 v61, v[50:51], off
	global_load_u16 v62, v[42:43], off
	s_wait_xcnt 0x0
	v_add_nc_u64_e32 v[42:43], s[18:19], v[42:43]
	ds_bpermute_b32 v48, v30, v41
	v_pk_mul_f32 v[46:47], v[46:47], v[52:53]
	v_add_nc_u64_e32 v[52:53], s[18:19], v[50:51]
	v_add_f32_e32 v40, v40, v44
	global_load_u16 v63, v[52:53], off
	global_load_u16 v64, v[42:43], off
	v_add_f32_e32 v40, v40, v45
	v_add_nc_u64_e32 v[44:45], s[18:19], v[52:53]
	s_wait_xcnt 0x0
	v_add_nc_u64_e32 v[42:43], s[18:19], v[42:43]
	global_load_u16 v52, v[44:45], off
	global_load_u16 v53, v[42:43], off
	s_wait_xcnt 0x0
	v_add_nc_u64_e32 v[42:43], s[18:19], v[42:43]
	v_add_nc_u64_e32 v[44:45], s[18:19], v[44:45]
	global_load_u16 v65, v[42:43], off
	global_load_u16 v66, v[44:45], off
	s_wait_xcnt 0x1
	v_add_nc_u64_e32 v[42:43], s[18:19], v[44:45]
	ds_bpermute_b32 v49, v31, v41
	ds_bpermute_b32 v50, v36, v41
	;; [unrolled: 1-line block ×3, first 2 shown]
	global_load_u16 v67, v[42:43], off
	s_wait_dscnt 0x2
	v_pk_mul_f32 v[46:47], v[46:47], v[48:49]
	s_wait_loadcnt 0xf
	s_wait_xcnt 0x0
	s_delay_alu instid0(VALU_DEP_1)
	v_dual_lshlrev_b32 v42, 16, v56 :: v_dual_add_f32 v40, v40, v46
	ds_bpermute_b32 v46, v34, v41
	v_add_f32_e32 v40, v40, v47
	ds_bpermute_b32 v47, v35, v41
	s_wait_loadcnt 0xd
	v_dual_lshlrev_b32 v44, 16, v54 :: v_dual_lshlrev_b32 v43, 16, v57
	s_wait_loadcnt 0xb
	v_dual_lshlrev_b32 v45, 16, v58 :: v_dual_lshlrev_b32 v48, 16, v55
	s_delay_alu instid0(VALU_DEP_1)
	v_pk_mul_f32 v[42:43], v[42:43], v[44:45]
	ds_bpermute_b32 v44, v32, v41
	ds_bpermute_b32 v45, v33, v41
	s_wait_loadcnt 0x9
	v_lshlrev_b32_e32 v49, 16, v60
	s_wait_dscnt 0x0
	v_pk_mul_f32 v[42:43], v[42:43], v[44:45]
	s_wait_loadcnt 0x8
	v_dual_lshlrev_b32 v44, 16, v59 :: v_dual_lshlrev_b32 v45, 16, v61
	s_delay_alu instid0(VALU_DEP_2)
	v_add_f32_e32 v42, v40, v42
	ds_bpermute_b32 v40, v38, v41
	v_pk_mul_f32 v[44:45], v[48:49], v[44:45]
	ds_bpermute_b32 v41, v39, v41
	v_pk_mul_f32 v[44:45], v[44:45], v[46:47]
	s_wait_loadcnt 0x6
	v_lshlrev_b32_e32 v46, 16, v63
	v_dual_add_f32 v48, v42, v43 :: v_dual_lshlrev_b32 v42, 16, v62
	s_wait_loadcnt 0x4
	v_lshlrev_b32_e32 v47, 16, v52
	s_delay_alu instid0(VALU_DEP_2) | instskip(NEXT) | instid1(VALU_DEP_1)
	v_add_f32_e32 v44, v48, v44
	v_dual_add_f32 v48, v44, v45 :: v_dual_lshlrev_b32 v43, 16, v64
	s_wait_loadcnt 0x3
	v_lshlrev_b32_e32 v44, 16, v53
	s_delay_alu instid0(VALU_DEP_2)
	v_pk_mul_f32 v[42:43], v[42:43], v[46:47]
	s_wait_loadcnt 0x1
	v_dual_lshlrev_b32 v46, 16, v66 :: v_dual_lshlrev_b32 v45, 16, v65
	s_wait_loadcnt 0x0
	v_lshlrev_b32_e32 v47, 16, v67
	v_pk_mul_f32 v[42:43], v[42:43], v[50:51]
	s_delay_alu instid0(VALU_DEP_2) | instskip(NEXT) | instid1(VALU_DEP_2)
	v_pk_mul_f32 v[44:45], v[44:45], v[46:47]
	v_add_f32_e32 v42, v48, v42
	s_wait_dscnt 0x0
	s_delay_alu instid0(VALU_DEP_2) | instskip(NEXT) | instid1(VALU_DEP_2)
	v_pk_mul_f32 v[40:41], v[44:45], v[40:41]
	v_add_f32_e32 v42, v42, v43
	s_delay_alu instid0(VALU_DEP_1) | instskip(NEXT) | instid1(VALU_DEP_1)
	v_add_f32_e32 v40, v42, v40
	v_add_f32_e32 v40, v40, v41
	s_cbranch_vccz .LBB188_5
.LBB188_3:                              ; =>This Inner Loop Header: Depth=1
	v_mov_b32_e32 v41, 0
	s_mov_b32 s22, exec_lo
	v_cmpx_gt_i64_e64 s[4:5], v[4:5]
	s_cbranch_execz .LBB188_2
; %bb.4:                                ;   in Loop: Header=BB188_3 Depth=1
	global_load_b32 v41, v[8:9], off
	s_branch .LBB188_2
.LBB188_5:
	s_load_b64 s[2:3], s[0:1], 0x30
	s_wait_kmcnt 0x0
	s_cmp_eq_u64 s[2:3], 0
	s_cbranch_scc1 .LBB188_7
; %bb.6:
	s_load_u16 s0, s[0:1], 0x4e
	v_mov_b32_e32 v3, 0
	s_and_b32 s4, ttmp6, 15
	s_wait_xcnt 0x0
	s_mov_b32 s1, 0
	v_cmp_o_f32_e32 vcc_lo, v40, v40
	s_wait_kmcnt 0x0
	v_mad_nc_u64_u32 v[0:1], s0, s21, v[2:3]
	s_bfe_u32 s0, ttmp6, 0x4000c
	v_bfe_u32 v2, v40, 16, 1
	s_add_co_i32 s0, s0, 1
	s_delay_alu instid0(SALU_CYCLE_1) | instskip(NEXT) | instid1(SALU_CYCLE_1)
	s_mul_i32 s0, ttmp9, s0
	s_add_co_i32 s4, s4, s0
	s_cmp_eq_u32 s20, 0
	v_add3_u32 v4, v40, v2, 0x7fff
	s_cselect_b32 s0, ttmp9, s4
	s_delay_alu instid0(VALU_DEP_3) | instskip(SKIP_1) | instid1(VALU_DEP_2)
	v_mul_u64_e32 v[0:1], s[6:7], v[0:1]
	s_lshl_b64 s[0:1], s[0:1], 7
	v_dual_lshlrev_b32 v2, 1, v10 :: v_dual_lshrrev_b32 v4, 16, v4
	s_delay_alu instid0(VALU_DEP_2) | instskip(NEXT) | instid1(VALU_DEP_1)
	v_lshl_add_u64 v[0:1], v[0:1], 1, s[2:3]
	v_add_nc_u64_e32 v[0:1], s[0:1], v[0:1]
	s_delay_alu instid0(VALU_DEP_1) | instskip(NEXT) | instid1(VALU_DEP_4)
	v_add_nc_u64_e32 v[0:1], v[0:1], v[2:3]
	v_cndmask_b32_e32 v2, 0x7fc0, v4, vcc_lo
	global_store_b16 v[0:1], v2, off
.LBB188_7:
	s_sendmsg sendmsg(MSG_DEALLOC_VGPRS)
	s_endpgm
	.section	.rodata,"a",@progbits
	.p2align	6, 0x0
	.amdhsa_kernel _ZN2at6native12_GLOBAL__N_135GammaBetaBackwardCUDAKernelTemplateIN3c108BFloat16EfLj64ELj1ELj32ELb1ELb1ELb1EEEvllPKT_S7_PKT0_SA_PS5_SB_
		.amdhsa_group_segment_fixed_size 0
		.amdhsa_private_segment_fixed_size 0
		.amdhsa_kernarg_size 320
		.amdhsa_user_sgpr_count 2
		.amdhsa_user_sgpr_dispatch_ptr 0
		.amdhsa_user_sgpr_queue_ptr 0
		.amdhsa_user_sgpr_kernarg_segment_ptr 1
		.amdhsa_user_sgpr_dispatch_id 0
		.amdhsa_user_sgpr_kernarg_preload_length 0
		.amdhsa_user_sgpr_kernarg_preload_offset 0
		.amdhsa_user_sgpr_private_segment_size 0
		.amdhsa_wavefront_size32 1
		.amdhsa_uses_dynamic_stack 0
		.amdhsa_enable_private_segment 0
		.amdhsa_system_sgpr_workgroup_id_x 1
		.amdhsa_system_sgpr_workgroup_id_y 1
		.amdhsa_system_sgpr_workgroup_id_z 0
		.amdhsa_system_sgpr_workgroup_info 0
		.amdhsa_system_vgpr_workitem_id 1
		.amdhsa_next_free_vgpr 68
		.amdhsa_next_free_sgpr 23
		.amdhsa_named_barrier_count 0
		.amdhsa_reserve_vcc 1
		.amdhsa_float_round_mode_32 0
		.amdhsa_float_round_mode_16_64 0
		.amdhsa_float_denorm_mode_32 3
		.amdhsa_float_denorm_mode_16_64 3
		.amdhsa_fp16_overflow 0
		.amdhsa_memory_ordered 1
		.amdhsa_forward_progress 1
		.amdhsa_inst_pref_size 25
		.amdhsa_round_robin_scheduling 0
		.amdhsa_exception_fp_ieee_invalid_op 0
		.amdhsa_exception_fp_denorm_src 0
		.amdhsa_exception_fp_ieee_div_zero 0
		.amdhsa_exception_fp_ieee_overflow 0
		.amdhsa_exception_fp_ieee_underflow 0
		.amdhsa_exception_fp_ieee_inexact 0
		.amdhsa_exception_int_div_zero 0
	.end_amdhsa_kernel
	.section	.text._ZN2at6native12_GLOBAL__N_135GammaBetaBackwardCUDAKernelTemplateIN3c108BFloat16EfLj64ELj1ELj32ELb1ELb1ELb1EEEvllPKT_S7_PKT0_SA_PS5_SB_,"axG",@progbits,_ZN2at6native12_GLOBAL__N_135GammaBetaBackwardCUDAKernelTemplateIN3c108BFloat16EfLj64ELj1ELj32ELb1ELb1ELb1EEEvllPKT_S7_PKT0_SA_PS5_SB_,comdat
.Lfunc_end188:
	.size	_ZN2at6native12_GLOBAL__N_135GammaBetaBackwardCUDAKernelTemplateIN3c108BFloat16EfLj64ELj1ELj32ELb1ELb1ELb1EEEvllPKT_S7_PKT0_SA_PS5_SB_, .Lfunc_end188-_ZN2at6native12_GLOBAL__N_135GammaBetaBackwardCUDAKernelTemplateIN3c108BFloat16EfLj64ELj1ELj32ELb1ELb1ELb1EEEvllPKT_S7_PKT0_SA_PS5_SB_
                                        ; -- End function
	.set _ZN2at6native12_GLOBAL__N_135GammaBetaBackwardCUDAKernelTemplateIN3c108BFloat16EfLj64ELj1ELj32ELb1ELb1ELb1EEEvllPKT_S7_PKT0_SA_PS5_SB_.num_vgpr, 68
	.set _ZN2at6native12_GLOBAL__N_135GammaBetaBackwardCUDAKernelTemplateIN3c108BFloat16EfLj64ELj1ELj32ELb1ELb1ELb1EEEvllPKT_S7_PKT0_SA_PS5_SB_.num_agpr, 0
	.set _ZN2at6native12_GLOBAL__N_135GammaBetaBackwardCUDAKernelTemplateIN3c108BFloat16EfLj64ELj1ELj32ELb1ELb1ELb1EEEvllPKT_S7_PKT0_SA_PS5_SB_.numbered_sgpr, 23
	.set _ZN2at6native12_GLOBAL__N_135GammaBetaBackwardCUDAKernelTemplateIN3c108BFloat16EfLj64ELj1ELj32ELb1ELb1ELb1EEEvllPKT_S7_PKT0_SA_PS5_SB_.num_named_barrier, 0
	.set _ZN2at6native12_GLOBAL__N_135GammaBetaBackwardCUDAKernelTemplateIN3c108BFloat16EfLj64ELj1ELj32ELb1ELb1ELb1EEEvllPKT_S7_PKT0_SA_PS5_SB_.private_seg_size, 0
	.set _ZN2at6native12_GLOBAL__N_135GammaBetaBackwardCUDAKernelTemplateIN3c108BFloat16EfLj64ELj1ELj32ELb1ELb1ELb1EEEvllPKT_S7_PKT0_SA_PS5_SB_.uses_vcc, 1
	.set _ZN2at6native12_GLOBAL__N_135GammaBetaBackwardCUDAKernelTemplateIN3c108BFloat16EfLj64ELj1ELj32ELb1ELb1ELb1EEEvllPKT_S7_PKT0_SA_PS5_SB_.uses_flat_scratch, 0
	.set _ZN2at6native12_GLOBAL__N_135GammaBetaBackwardCUDAKernelTemplateIN3c108BFloat16EfLj64ELj1ELj32ELb1ELb1ELb1EEEvllPKT_S7_PKT0_SA_PS5_SB_.has_dyn_sized_stack, 0
	.set _ZN2at6native12_GLOBAL__N_135GammaBetaBackwardCUDAKernelTemplateIN3c108BFloat16EfLj64ELj1ELj32ELb1ELb1ELb1EEEvllPKT_S7_PKT0_SA_PS5_SB_.has_recursion, 0
	.set _ZN2at6native12_GLOBAL__N_135GammaBetaBackwardCUDAKernelTemplateIN3c108BFloat16EfLj64ELj1ELj32ELb1ELb1ELb1EEEvllPKT_S7_PKT0_SA_PS5_SB_.has_indirect_call, 0
	.section	.AMDGPU.csdata,"",@progbits
; Kernel info:
; codeLenInByte = 3196
; TotalNumSgprs: 25
; NumVgprs: 68
; ScratchSize: 0
; MemoryBound: 0
; FloatMode: 240
; IeeeMode: 1
; LDSByteSize: 0 bytes/workgroup (compile time only)
; SGPRBlocks: 0
; VGPRBlocks: 4
; NumSGPRsForWavesPerEU: 25
; NumVGPRsForWavesPerEU: 68
; NamedBarCnt: 0
; Occupancy: 12
; WaveLimiterHint : 0
; COMPUTE_PGM_RSRC2:SCRATCH_EN: 0
; COMPUTE_PGM_RSRC2:USER_SGPR: 2
; COMPUTE_PGM_RSRC2:TRAP_HANDLER: 0
; COMPUTE_PGM_RSRC2:TGID_X_EN: 1
; COMPUTE_PGM_RSRC2:TGID_Y_EN: 1
; COMPUTE_PGM_RSRC2:TGID_Z_EN: 0
; COMPUTE_PGM_RSRC2:TIDIG_COMP_CNT: 1
	.section	.text._ZN2at6native12_GLOBAL__N_135GammaBetaBackwardCUDAKernelTemplateIN3c108BFloat16EfLj64ELj1ELj32ELb1ELb0ELb1EEEvllPKT_S7_PKT0_SA_PS5_SB_,"axG",@progbits,_ZN2at6native12_GLOBAL__N_135GammaBetaBackwardCUDAKernelTemplateIN3c108BFloat16EfLj64ELj1ELj32ELb1ELb0ELb1EEEvllPKT_S7_PKT0_SA_PS5_SB_,comdat
	.globl	_ZN2at6native12_GLOBAL__N_135GammaBetaBackwardCUDAKernelTemplateIN3c108BFloat16EfLj64ELj1ELj32ELb1ELb0ELb1EEEvllPKT_S7_PKT0_SA_PS5_SB_ ; -- Begin function _ZN2at6native12_GLOBAL__N_135GammaBetaBackwardCUDAKernelTemplateIN3c108BFloat16EfLj64ELj1ELj32ELb1ELb0ELb1EEEvllPKT_S7_PKT0_SA_PS5_SB_
	.p2align	8
	.type	_ZN2at6native12_GLOBAL__N_135GammaBetaBackwardCUDAKernelTemplateIN3c108BFloat16EfLj64ELj1ELj32ELb1ELb0ELb1EEEvllPKT_S7_PKT0_SA_PS5_SB_,@function
_ZN2at6native12_GLOBAL__N_135GammaBetaBackwardCUDAKernelTemplateIN3c108BFloat16EfLj64ELj1ELj32ELb1ELb0ELb1EEEvllPKT_S7_PKT0_SA_PS5_SB_: ; @_ZN2at6native12_GLOBAL__N_135GammaBetaBackwardCUDAKernelTemplateIN3c108BFloat16EfLj64ELj1ELj32ELb1ELb0ELb1EEEvllPKT_S7_PKT0_SA_PS5_SB_
; %bb.0:
	s_load_b256 s[4:11], s[0:1], 0x0
	s_bfe_u32 s3, ttmp6, 0x4000c
	s_bfe_u32 s12, ttmp6, 0x40010
	s_add_co_i32 s3, s3, 1
	s_add_co_i32 s12, s12, 1
	s_and_b32 s2, ttmp6, 15
	s_bfe_u32 s13, ttmp6, 0x40004
	s_mul_i32 s3, ttmp9, s3
	s_mul_i32 s12, ttmp7, s12
	s_getreg_b32 s14, hwreg(HW_REG_IB_STS2, 6, 4)
	s_add_co_i32 s2, s2, s3
	s_add_co_i32 s13, s13, s12
	s_cmp_eq_u32 s14, 0
	s_mov_b32 s17, 0
	s_cselect_b32 s12, ttmp9, s2
	s_cselect_b32 s30, ttmp7, s13
	s_lshl_b32 s13, s12, 6
	s_load_b64 s[14:15], s[0:1], 0x28
	s_or_b32 s16, s13, 63
	s_wait_kmcnt 0x0
	v_cmp_le_i64_e64 s2, s[6:7], s[16:17]
	s_lshl_b32 s16, s30, 5
	s_delay_alu instid0(SALU_CYCLE_1) | instskip(SKIP_2) | instid1(VALU_DEP_1)
	v_cmp_gt_i64_e64 s31, s[4:5], s[16:17]
	s_and_b32 vcc_lo, exec_lo, s2
	v_cndmask_b32_e64 v1, 0, 1, s31
	v_cmp_ne_u32_e64 s2, 1, v1
	s_cbranch_vccz .LBB189_141
; %bb.1:
	s_set_vgpr_msb 64                       ;  msbs: dst=1 src0=0 src1=0 src2=0
	v_mov_b32_e32 v38 /*v294*/, 0
	s_and_b32 vcc_lo, exec_lo, s2
	s_set_vgpr_msb 0                        ;  msbs: dst=0 src0=0 src1=0 src2=0
	s_cbranch_vccnz .LBB189_142
; %bb.2:
	v_bfe_u32 v1, v0, 10, 10
	v_mov_b32_e32 v2, 0
	v_and_b32_e32 v182, 0x3ff, v0
	s_load_b32 s3, s[0:1], 0x44
	s_mov_b32 s19, 0
	s_delay_alu instid0(VALU_DEP_2) | instskip(NEXT) | instid1(VALU_DEP_2)
	v_dual_mov_b32 v37, v2 :: v_dual_lshlrev_b32 v36, 5, v1
	v_dual_mov_b32 v9, v2 :: v_dual_add_nc_u32 v8, s13, v182
	v_mov_b32_e32 v183, 0
	s_mov_b32 s23, s19
	s_delay_alu instid0(VALU_DEP_3)
	v_add_nc_u64_e32 v[4:5], s[16:17], v[36:37]
	s_add_nc_u64 s[20:21], s[0:1], 64
	v_cmp_gt_i64_e64 s2, s[6:7], v[8:9]
	v_lshlrev_b64_e32 v[38:39], 1, v[8:9]
	s_mov_b64 s[26:27], 31
	s_mov_b64 s[28:29], s[16:17]
	v_add_nc_u64_e32 v[10:11], 31, v[4:5]
	v_add_nc_u64_e32 v[14:15], 29, v[4:5]
	;; [unrolled: 1-line block ×7, first 2 shown]
	v_mul_u64_e32 v[10:11], s[6:7], v[10:11]
	v_mul_u64_e32 v[14:15], s[6:7], v[14:15]
	;; [unrolled: 1-line block ×6, first 2 shown]
	v_add_nc_u64_e32 v[18:19], 27, v[4:5]
	v_add_nc_u64_e32 v[22:23], 25, v[4:5]
	;; [unrolled: 1-line block ×3, first 2 shown]
	v_mul_u64_e32 v[24:25], s[6:7], v[24:25]
	v_add_nc_u64_e32 v[30:31], 20, v[4:5]
	v_add_nc_u64_e32 v[32:33], 19, v[4:5]
	;; [unrolled: 1-line block ×3, first 2 shown]
	v_mul_u64_e32 v[18:19], s[6:7], v[18:19]
	v_mul_u64_e32 v[22:23], s[6:7], v[22:23]
	;; [unrolled: 1-line block ×3, first 2 shown]
	v_add_nc_u64_e32 v[20:21], 26, v[4:5]
	v_mul_u64_e32 v[30:31], s[6:7], v[30:31]
	v_mul_u64_e32 v[32:33], s[6:7], v[32:33]
	;; [unrolled: 1-line block ×4, first 2 shown]
	s_wait_kmcnt 0x0
	s_lshl_b32 s22, s3, 5
	v_mul_u64_e32 v[20:21], s[6:7], v[20:21]
	s_mul_u64 s[24:25], s[6:7], s[22:23]
	s_delay_alu instid0(SALU_CYCLE_1)
	s_lshl_b64 s[24:25], s[24:25], 1
	v_lshlrev_b64_e32 v[10:11], 1, v[10:11]
	v_lshlrev_b64_e32 v[14:15], 1, v[14:15]
	;; [unrolled: 1-line block ×5, first 2 shown]
	v_add_nc_u64_e32 v[44:45], s[8:9], v[10:11]
	v_add_nc_u64_e32 v[46:47], s[10:11], v[10:11]
	;; [unrolled: 1-line block ×8, first 2 shown]
	v_lshlrev_b64_e32 v[16:17], 1, v[26:27]
	v_mul_u64_e32 v[10:11], s[6:7], v[10:11]
	v_add_nc_u64_e32 v[76:77], s[8:9], v[8:9]
	v_add_nc_u64_e32 v[78:79], s[10:11], v[8:9]
	;; [unrolled: 1-line block ×4, first 2 shown]
	v_mul_u64_e32 v[8:9], s[6:7], v[14:15]
	v_add_nc_u64_e32 v[80:81], s[8:9], v[16:17]
	v_add_nc_u64_e32 v[82:83], s[10:11], v[16:17]
	;; [unrolled: 1-line block ×3, first 2 shown]
	v_lshlrev_b64_e32 v[12:13], 1, v[24:25]
	v_lshlrev_b64_e32 v[18:19], 1, v[18:19]
	;; [unrolled: 1-line block ×3, first 2 shown]
	v_add_nc_u64_e32 v[14:15], 15, v[4:5]
	v_add_nc_u64_e32 v[24:25], 11, v[4:5]
	v_add_nc_u64_e32 v[26:27], 9, v[4:5]
	v_mul_u64_e32 v[16:17], s[6:7], v[16:17]
	v_add_nc_u64_e32 v[72:73], s[8:9], v[12:13]
	v_add_nc_u64_e32 v[74:75], s[10:11], v[12:13]
	v_lshlrev_b64_e32 v[12:13], 1, v[28:29]
	v_add_nc_u64_e32 v[60:61], s[8:9], v[18:19]
	v_add_nc_u64_e32 v[62:63], s[10:11], v[18:19]
	;; [unrolled: 1-line block ×4, first 2 shown]
	v_lshlrev_b64_e32 v[18:19], 1, v[30:31]
	v_lshlrev_b64_e32 v[22:23], 1, v[34:35]
	v_add_nc_u64_e32 v[84:85], s[8:9], v[12:13]
	v_add_nc_u64_e32 v[86:87], s[10:11], v[12:13]
	v_lshlrev_b64_e32 v[12:13], 1, v[32:33]
	v_lshlrev_b64_e32 v[20:21], 1, v[20:21]
	v_mul_u64_e32 v[14:15], s[6:7], v[14:15]
	v_add_nc_u64_e32 v[88:89], s[8:9], v[18:19]
	v_add_nc_u64_e32 v[90:91], s[10:11], v[18:19]
	v_add_nc_u64_e32 v[18:19], 12, v[4:5]
	v_add_nc_u64_e32 v[96:97], s[8:9], v[22:23]
	v_add_nc_u64_e32 v[92:93], s[8:9], v[12:13]
	v_add_nc_u64_e32 v[94:95], s[10:11], v[12:13]
	v_add_nc_u64_e32 v[12:13], 10, v[4:5]
	v_mul_u64_e32 v[24:25], s[6:7], v[24:25]
	v_lshlrev_b64_e32 v[10:11], 1, v[10:11]
	v_add_nc_u64_e32 v[28:29], 8, v[4:5]
	v_add_nc_u64_e32 v[98:99], s[10:11], v[22:23]
	v_mul_u64_e32 v[22:23], s[6:7], v[26:27]
	v_add_nc_u64_e32 v[26:27], 6, v[4:5]
	v_add_nc_u64_e32 v[64:65], s[8:9], v[20:21]
	v_add_nc_u64_e32 v[66:67], s[10:11], v[20:21]
	v_add_nc_u64_e32 v[20:21], 13, v[4:5]
	v_mul_u64_e32 v[18:19], s[6:7], v[18:19]
	v_mul_u64_e32 v[12:13], s[6:7], v[12:13]
	v_add_nc_u64_e32 v[30:31], 7, v[4:5]
	v_lshlrev_b64_e32 v[8:9], 1, v[8:9]
	v_mul_u64_e32 v[28:29], s[6:7], v[28:29]
	v_add_nc_u64_e32 v[100:101], s[8:9], v[10:11]
	v_add_nc_u64_e32 v[32:33], 5, v[4:5]
	;; [unrolled: 1-line block ×3, first 2 shown]
	v_mul_u64_e32 v[10:11], s[6:7], v[26:27]
	v_add_nc_u64_e32 v[26:27], 4, v[4:5]
	v_add_nc_u64_e32 v[34:35], 3, v[4:5]
	;; [unrolled: 1-line block ×3, first 2 shown]
	v_mul_u64_e32 v[20:21], s[6:7], v[20:21]
	v_mul_u64_e32 v[30:31], s[6:7], v[30:31]
	v_add_nc_u64_e32 v[104:105], s[8:9], v[8:9]
	v_mul_u64_e32 v[32:33], s[6:7], v[32:33]
	v_add_nc_u64_e32 v[106:107], s[10:11], v[8:9]
	v_lshlrev_b64_e32 v[8:9], 1, v[16:17]
	v_mul_u64_e32 v[16:17], s[6:7], v[26:27]
	v_mul_u64_e32 v[26:27], s[6:7], v[34:35]
	;; [unrolled: 1-line block ×3, first 2 shown]
	v_lshlrev_b64_e32 v[14:15], 1, v[14:15]
	v_lshlrev_b64_e32 v[42:43], 1, v[6:7]
	v_add_nc_u64_e32 v[6:7], s[6:7], v[6:7]
	v_add_nc_u64_e32 v[112:113], s[8:9], v[8:9]
	;; [unrolled: 1-line block ×3, first 2 shown]
	v_lshlrev_b64_e32 v[8:9], 1, v[24:25]
	v_add_nc_u64_e32 v[108:109], s[8:9], v[14:15]
	v_add_nc_u64_e32 v[110:111], s[10:11], v[14:15]
	v_lshlrev_b64_e32 v[6:7], 1, v[6:7]
	v_add_nc_u64_e32 v[40:41], s[8:9], v[42:43]
	v_lshlrev_b64_e32 v[14:15], 1, v[18:19]
	v_lshlrev_b64_e32 v[12:13], 1, v[12:13]
	v_add_nc_u64_e32 v[124:125], s[8:9], v[8:9]
	v_add_nc_u64_e32 v[126:127], s[10:11], v[8:9]
	v_lshlrev_b64_e32 v[8:9], 1, v[28:29]
	v_add_nc_u64_e32 v[42:43], s[10:11], v[42:43]
	v_add_nc_u64_e32 v[164:165], s[8:9], v[6:7]
	;; [unrolled: 1-line block ×3, first 2 shown]
	v_lshlrev_b64_e32 v[10:11], 1, v[10:11]
	v_add_nc_u64_e32 v[122:123], s[10:11], v[14:15]
	v_lshlrev_b64_e32 v[14:15], 1, v[22:23]
	v_add_nc_u64_e32 v[128:129], s[8:9], v[12:13]
	v_lshlrev_b64_e32 v[20:21], 1, v[20:21]
	v_lshlrev_b64_e32 v[18:19], 1, v[30:31]
	v_add_nc_u64_e32 v[130:131], s[10:11], v[12:13]
	v_add_nc_u64_e32 v[136:137], s[8:9], v[8:9]
	;; [unrolled: 1-line block ×3, first 2 shown]
	v_lshlrev_b64_e32 v[8:9], 1, v[32:33]
	v_add_nc_u64_e32 v[144:145], s[8:9], v[10:11]
	v_lshlrev_b64_e32 v[12:13], 1, v[16:17]
	v_add_nc_u64_e32 v[146:147], s[10:11], v[10:11]
	v_lshlrev_b64_e32 v[10:11], 1, v[26:27]
	v_lshlrev_b64_e32 v[4:5], 1, v[4:5]
	v_add_nc_u64_e32 v[116:117], s[8:9], v[20:21]
	v_add_nc_u64_e32 v[118:119], s[10:11], v[20:21]
	;; [unrolled: 1-line block ×15, first 2 shown]
.LBB189_3:                              ; =>This Inner Loop Header: Depth=1
	s_add_nc_u64 s[34:35], s[16:17], s[26:27]
	v_add_nc_u64_e32 v[168:169], s[16:17], v[36:37]
	v_cmp_ge_i64_e64 s3, s[34:35], s[4:5]
                                        ; implicit-def: $vgpr294
                                        ; implicit-def: $vgpr203
                                        ; implicit-def: $vgpr4_vgpr5_vgpr6_vgpr7_vgpr8_vgpr9_vgpr10_vgpr11_vgpr12_vgpr13_vgpr14_vgpr15_vgpr16_vgpr17_vgpr18_vgpr19_vgpr20_vgpr21_vgpr22_vgpr23_vgpr24_vgpr25_vgpr26_vgpr27_vgpr28_vgpr29_vgpr30_vgpr31_vgpr32_vgpr33_vgpr34_vgpr35
                                        ; implicit-def: $vgpr3
	s_and_b32 vcc_lo, exec_lo, s3
	s_mov_b32 s3, -1
	s_cbranch_vccz .LBB189_71
; %bb.4:                                ;   in Loop: Header=BB189_3 Depth=1
	s_load_b32 s3, s[20:21], 0xc
	v_dual_mov_b32 v185, 0 :: v_dual_mov_b32 v184, 0
	v_mov_b32_e32 v5, v2
	s_wait_kmcnt 0x0
	s_and_b32 s3, s3, 0xffff
	s_delay_alu instid0(SALU_CYCLE_1) | instskip(SKIP_1) | instid1(VALU_DEP_1)
	v_mad_u32_u24 v3, v1, s3, v182
	s_mov_b32 s3, exec_lo
	v_and_b32_e32 v4, 31, v3
	s_delay_alu instid0(VALU_DEP_1) | instskip(NEXT) | instid1(VALU_DEP_1)
	v_add_nc_u64_e32 v[4:5], v[168:169], v[4:5]
	v_cmpx_gt_i64_e64 s[4:5], v[4:5]
	s_cbranch_execz .LBB189_6
; %bb.5:                                ;   in Loop: Header=BB189_3 Depth=1
	v_lshl_add_u64 v[4:5], v[4:5], 2, s[14:15]
	global_load_b32 v184, v[4:5], off
.LBB189_6:                              ;   in Loop: Header=BB189_3 Depth=1
	s_wait_xcnt 0x0
	s_or_b32 exec_lo, exec_lo, s3
	v_dual_mov_b32 v31, v2 :: v_dual_mov_b32 v32, v2
	v_dual_mov_b32 v33, v2 :: v_dual_mov_b32 v3, v2
	v_dual_mov_b32 v4, v2 :: v_dual_mov_b32 v5, v2
	v_dual_mov_b32 v6, v2 :: v_dual_mov_b32 v7, v2
	v_dual_mov_b32 v8, v2 :: v_dual_mov_b32 v9, v2
	v_dual_mov_b32 v10, v2 :: v_dual_mov_b32 v11, v2
	v_dual_mov_b32 v12, v2 :: v_dual_mov_b32 v13, v2
	v_dual_mov_b32 v14, v2 :: v_dual_mov_b32 v15, v2
	v_dual_mov_b32 v16, v2 :: v_dual_mov_b32 v17, v2
	v_dual_mov_b32 v18, v2 :: v_dual_mov_b32 v19, v2
	v_dual_mov_b32 v20, v2 :: v_dual_mov_b32 v21, v2
	v_dual_mov_b32 v22, v2 :: v_dual_mov_b32 v23, v2
	v_dual_mov_b32 v24, v2 :: v_dual_mov_b32 v25, v2
	v_dual_mov_b32 v26, v2 :: v_dual_mov_b32 v27, v2
	v_dual_mov_b32 v28, v2 :: v_dual_mov_b32 v29, v2
	v_mov_b32_e32 v30, v2
	v_cmp_gt_i64_e32 vcc_lo, s[4:5], v[168:169]
	v_mov_b64_e32 v[34:35], v[32:33]
	s_delay_alu instid0(VALU_DEP_3)
	v_mov_b64_e32 v[32:33], v[30:31]
	v_mov_b64_e32 v[30:31], v[28:29]
	;; [unrolled: 1-line block ×15, first 2 shown]
	s_and_b32 s18, s2, vcc_lo
	s_delay_alu instid0(SALU_CYCLE_1)
	s_and_saveexec_b32 s3, s18
	s_cbranch_execz .LBB189_8
; %bb.7:                                ;   in Loop: Header=BB189_3 Depth=1
	v_add_nc_u64_e32 v[4:5], v[40:41], v[38:39]
	v_add_nc_u64_e32 v[6:7], v[42:43], v[38:39]
	v_dual_mov_b32 v9, v2 :: v_dual_mov_b32 v10, v2
	v_dual_mov_b32 v11, v2 :: v_dual_mov_b32 v12, v2
	;; [unrolled: 1-line block ×3, first 2 shown]
	global_load_u16 v3, v[4:5], off
	global_load_u16 v170, v[6:7], off
	s_wait_xcnt 0x0
	v_dual_mov_b32 v5, v2 :: v_dual_mov_b32 v6, v2
	v_dual_mov_b32 v7, v2 :: v_dual_mov_b32 v8, v2
	;; [unrolled: 1-line block ×12, first 2 shown]
	s_wait_loadcnt 0x1
	v_dual_mov_b32 v35, v2 :: v_dual_lshlrev_b32 v4, 16, v3
	s_wait_loadcnt 0x0
	v_lshlrev_b32_e32 v185, 16, v170
.LBB189_8:                              ;   in Loop: Header=BB189_3 Depth=1
	s_or_b32 exec_lo, exec_lo, s3
	v_add_nc_u64_e32 v[170:171], 1, v[168:169]
	v_dual_mov_b32 v3, 0 :: v_dual_mov_b32 v186, 0
	s_delay_alu instid0(VALU_DEP_2) | instskip(SKIP_1) | instid1(SALU_CYCLE_1)
	v_cmp_gt_i64_e32 vcc_lo, s[4:5], v[170:171]
	s_and_b32 s18, s2, vcc_lo
	s_and_saveexec_b32 s3, s18
	s_cbranch_execz .LBB189_10
; %bb.9:                                ;   in Loop: Header=BB189_3 Depth=1
	v_add_nc_u64_e32 v[170:171], v[164:165], v[38:39]
	v_add_nc_u64_e32 v[172:173], v[166:167], v[38:39]
	global_load_u16 v5, v[170:171], off
	global_load_u16 v174, v[172:173], off
	s_wait_loadcnt 0x0
	v_dual_lshlrev_b32 v5, 16, v5 :: v_dual_lshlrev_b32 v186, 16, v174
.LBB189_10:                             ;   in Loop: Header=BB189_3 Depth=1
	s_or_b32 exec_lo, exec_lo, s3
	v_add_nc_u64_e32 v[170:171], 2, v[168:169]
	s_delay_alu instid0(VALU_DEP_1) | instskip(SKIP_1) | instid1(SALU_CYCLE_1)
	v_cmp_gt_i64_e32 vcc_lo, s[4:5], v[170:171]
	s_and_b32 s18, s2, vcc_lo
	s_and_saveexec_b32 s3, s18
	s_cbranch_execz .LBB189_12
; %bb.11:                               ;   in Loop: Header=BB189_3 Depth=1
	v_add_nc_u64_e32 v[170:171], v[160:161], v[38:39]
	v_add_nc_u64_e32 v[172:173], v[162:163], v[38:39]
	global_load_u16 v3, v[170:171], off
	global_load_u16 v174, v[172:173], off
	s_wait_loadcnt 0x0
	v_dual_lshlrev_b32 v6, 16, v3 :: v_dual_lshlrev_b32 v3, 16, v174
.LBB189_12:                             ;   in Loop: Header=BB189_3 Depth=1
	s_or_b32 exec_lo, exec_lo, s3
	v_add_nc_u64_e32 v[170:171], 3, v[168:169]
	v_dual_mov_b32 v187, 0 :: v_dual_mov_b32 v188, 0
	s_delay_alu instid0(VALU_DEP_2) | instskip(SKIP_1) | instid1(SALU_CYCLE_1)
	v_cmp_gt_i64_e32 vcc_lo, s[4:5], v[170:171]
	s_and_b32 s18, s2, vcc_lo
	s_and_saveexec_b32 s3, s18
	s_cbranch_execz .LBB189_14
; %bb.13:                               ;   in Loop: Header=BB189_3 Depth=1
	v_add_nc_u64_e32 v[170:171], v[156:157], v[38:39]
	v_add_nc_u64_e32 v[172:173], v[158:159], v[38:39]
	global_load_u16 v7, v[170:171], off
	global_load_u16 v174, v[172:173], off
	s_wait_loadcnt 0x0
	v_dual_lshlrev_b32 v7, 16, v7 :: v_dual_lshlrev_b32 v188, 16, v174
.LBB189_14:                             ;   in Loop: Header=BB189_3 Depth=1
	s_or_b32 exec_lo, exec_lo, s3
	v_add_nc_u64_e32 v[170:171], 4, v[168:169]
	s_delay_alu instid0(VALU_DEP_1) | instskip(SKIP_1) | instid1(SALU_CYCLE_1)
	v_cmp_gt_i64_e32 vcc_lo, s[4:5], v[170:171]
	s_and_b32 s18, s2, vcc_lo
	s_and_saveexec_b32 s3, s18
	s_cbranch_execz .LBB189_16
; %bb.15:                               ;   in Loop: Header=BB189_3 Depth=1
	v_add_nc_u64_e32 v[170:171], v[152:153], v[38:39]
	v_add_nc_u64_e32 v[172:173], v[154:155], v[38:39]
	global_load_u16 v8, v[170:171], off
	global_load_u16 v174, v[172:173], off
	s_wait_loadcnt 0x0
	v_dual_lshlrev_b32 v8, 16, v8 :: v_dual_lshlrev_b32 v187, 16, v174
.LBB189_16:                             ;   in Loop: Header=BB189_3 Depth=1
	s_or_b32 exec_lo, exec_lo, s3
	v_add_nc_u64_e32 v[170:171], 5, v[168:169]
	v_dual_mov_b32 v189, 0 :: v_dual_mov_b32 v190, 0
	s_delay_alu instid0(VALU_DEP_2) | instskip(SKIP_1) | instid1(SALU_CYCLE_1)
	v_cmp_gt_i64_e32 vcc_lo, s[4:5], v[170:171]
	s_and_b32 s18, s2, vcc_lo
	s_and_saveexec_b32 s3, s18
	s_cbranch_execz .LBB189_18
; %bb.17:                               ;   in Loop: Header=BB189_3 Depth=1
	v_add_nc_u64_e32 v[170:171], v[148:149], v[38:39]
	v_add_nc_u64_e32 v[172:173], v[150:151], v[38:39]
	global_load_u16 v9, v[170:171], off
	global_load_u16 v174, v[172:173], off
	s_wait_loadcnt 0x0
	v_dual_lshlrev_b32 v9, 16, v9 :: v_dual_lshlrev_b32 v190, 16, v174
.LBB189_18:                             ;   in Loop: Header=BB189_3 Depth=1
	s_or_b32 exec_lo, exec_lo, s3
	v_add_nc_u64_e32 v[170:171], 6, v[168:169]
	s_delay_alu instid0(VALU_DEP_1) | instskip(SKIP_1) | instid1(SALU_CYCLE_1)
	v_cmp_gt_i64_e32 vcc_lo, s[4:5], v[170:171]
	s_and_b32 s18, s2, vcc_lo
	s_and_saveexec_b32 s3, s18
	s_cbranch_execz .LBB189_20
; %bb.19:                               ;   in Loop: Header=BB189_3 Depth=1
	v_add_nc_u64_e32 v[170:171], v[144:145], v[38:39]
	v_add_nc_u64_e32 v[172:173], v[146:147], v[38:39]
	global_load_u16 v10, v[170:171], off
	global_load_u16 v174, v[172:173], off
	s_wait_loadcnt 0x1
	v_lshlrev_b32_e32 v10, 16, v10
	s_wait_loadcnt 0x0
	v_lshlrev_b32_e32 v189, 16, v174
.LBB189_20:                             ;   in Loop: Header=BB189_3 Depth=1
	s_or_b32 exec_lo, exec_lo, s3
	v_add_nc_u64_e32 v[170:171], 7, v[168:169]
	v_dual_mov_b32 v191, 0 :: v_dual_mov_b32 v192, 0
	s_delay_alu instid0(VALU_DEP_2) | instskip(SKIP_1) | instid1(SALU_CYCLE_1)
	v_cmp_gt_i64_e32 vcc_lo, s[4:5], v[170:171]
	s_and_b32 s18, s2, vcc_lo
	s_and_saveexec_b32 s3, s18
	s_cbranch_execz .LBB189_22
; %bb.21:                               ;   in Loop: Header=BB189_3 Depth=1
	v_add_nc_u64_e32 v[170:171], v[140:141], v[38:39]
	v_add_nc_u64_e32 v[172:173], v[142:143], v[38:39]
	global_load_u16 v11, v[170:171], off
	global_load_u16 v174, v[172:173], off
	s_wait_loadcnt 0x0
	v_dual_lshlrev_b32 v11, 16, v11 :: v_dual_lshlrev_b32 v192, 16, v174
.LBB189_22:                             ;   in Loop: Header=BB189_3 Depth=1
	s_or_b32 exec_lo, exec_lo, s3
	v_add_nc_u64_e32 v[170:171], 8, v[168:169]
	s_delay_alu instid0(VALU_DEP_1) | instskip(SKIP_1) | instid1(SALU_CYCLE_1)
	v_cmp_gt_i64_e32 vcc_lo, s[4:5], v[170:171]
	s_and_b32 s18, s2, vcc_lo
	s_and_saveexec_b32 s3, s18
	s_cbranch_execz .LBB189_24
; %bb.23:                               ;   in Loop: Header=BB189_3 Depth=1
	v_add_nc_u64_e32 v[170:171], v[136:137], v[38:39]
	v_add_nc_u64_e32 v[172:173], v[138:139], v[38:39]
	global_load_u16 v12, v[170:171], off
	global_load_u16 v174, v[172:173], off
	s_wait_loadcnt 0x0
	v_dual_lshlrev_b32 v12, 16, v12 :: v_dual_lshlrev_b32 v191, 16, v174
.LBB189_24:                             ;   in Loop: Header=BB189_3 Depth=1
	s_or_b32 exec_lo, exec_lo, s3
	v_add_nc_u64_e32 v[170:171], 9, v[168:169]
	v_dual_mov_b32 v193, 0 :: v_dual_mov_b32 v194, 0
	s_delay_alu instid0(VALU_DEP_2) | instskip(SKIP_1) | instid1(SALU_CYCLE_1)
	v_cmp_gt_i64_e32 vcc_lo, s[4:5], v[170:171]
	s_and_b32 s18, s2, vcc_lo
	s_and_saveexec_b32 s3, s18
	s_cbranch_execz .LBB189_26
; %bb.25:                               ;   in Loop: Header=BB189_3 Depth=1
	v_add_nc_u64_e32 v[170:171], v[132:133], v[38:39]
	v_add_nc_u64_e32 v[172:173], v[134:135], v[38:39]
	global_load_u16 v13, v[170:171], off
	global_load_u16 v174, v[172:173], off
	s_wait_loadcnt 0x0
	v_dual_lshlrev_b32 v13, 16, v13 :: v_dual_lshlrev_b32 v194, 16, v174
.LBB189_26:                             ;   in Loop: Header=BB189_3 Depth=1
	s_or_b32 exec_lo, exec_lo, s3
	v_add_nc_u64_e32 v[170:171], 10, v[168:169]
	s_delay_alu instid0(VALU_DEP_1) | instskip(SKIP_1) | instid1(SALU_CYCLE_1)
	v_cmp_gt_i64_e32 vcc_lo, s[4:5], v[170:171]
	s_and_b32 s18, s2, vcc_lo
	s_and_saveexec_b32 s3, s18
	s_cbranch_execz .LBB189_28
; %bb.27:                               ;   in Loop: Header=BB189_3 Depth=1
	v_add_nc_u64_e32 v[170:171], v[128:129], v[38:39]
	v_add_nc_u64_e32 v[172:173], v[130:131], v[38:39]
	global_load_u16 v14, v[170:171], off
	global_load_u16 v174, v[172:173], off
	s_wait_loadcnt 0x1
	v_lshlrev_b32_e32 v14, 16, v14
	s_wait_loadcnt 0x0
	v_lshlrev_b32_e32 v193, 16, v174
.LBB189_28:                             ;   in Loop: Header=BB189_3 Depth=1
	;; [unrolled: 64-line block ×4, first 2 shown]
	s_or_b32 exec_lo, exec_lo, s3
	v_add_nc_u64_e32 v[170:171], 19, v[168:169]
	s_delay_alu instid0(VALU_DEP_1) | instskip(SKIP_2) | instid1(SALU_CYCLE_1)
	v_cmp_gt_i64_e32 vcc_lo, s[4:5], v[170:171]
	v_dual_mov_b32 v171, 0 :: v_dual_mov_b32 v170, 0
	s_and_b32 s18, s2, vcc_lo
	s_and_saveexec_b32 s3, s18
	s_cbranch_execz .LBB189_46
; %bb.45:                               ;   in Loop: Header=BB189_3 Depth=1
	v_add_nc_u64_e32 v[172:173], v[92:93], v[38:39]
	v_add_nc_u64_e32 v[174:175], v[94:95], v[38:39]
	global_load_u16 v23, v[172:173], off
	global_load_u16 v170, v[174:175], off
	s_wait_loadcnt 0x0
	v_dual_lshlrev_b32 v23, 16, v23 :: v_dual_lshlrev_b32 v170, 16, v170
.LBB189_46:                             ;   in Loop: Header=BB189_3 Depth=1
	s_or_b32 exec_lo, exec_lo, s3
	v_add_nc_u64_e32 v[172:173], 20, v[168:169]
	s_delay_alu instid0(VALU_DEP_1) | instskip(SKIP_1) | instid1(SALU_CYCLE_1)
	v_cmp_gt_i64_e32 vcc_lo, s[4:5], v[172:173]
	s_and_b32 s18, s2, vcc_lo
	s_and_saveexec_b32 s3, s18
	s_cbranch_execz .LBB189_48
; %bb.47:                               ;   in Loop: Header=BB189_3 Depth=1
	v_add_nc_u64_e32 v[172:173], v[88:89], v[38:39]
	v_add_nc_u64_e32 v[174:175], v[90:91], v[38:39]
	global_load_u16 v24, v[172:173], off
	global_load_u16 v171, v[174:175], off
	s_wait_loadcnt 0x0
	v_dual_lshlrev_b32 v24, 16, v24 :: v_dual_lshlrev_b32 v171, 16, v171
.LBB189_48:                             ;   in Loop: Header=BB189_3 Depth=1
	s_or_b32 exec_lo, exec_lo, s3
	v_add_nc_u64_e32 v[172:173], 21, v[168:169]
	s_delay_alu instid0(VALU_DEP_1) | instskip(SKIP_2) | instid1(SALU_CYCLE_1)
	v_cmp_gt_i64_e32 vcc_lo, s[4:5], v[172:173]
	v_dual_mov_b32 v173, 0 :: v_dual_mov_b32 v172, 0
	s_and_b32 s18, s2, vcc_lo
	s_and_saveexec_b32 s3, s18
	s_cbranch_execz .LBB189_50
; %bb.49:                               ;   in Loop: Header=BB189_3 Depth=1
	v_add_nc_u64_e32 v[174:175], v[84:85], v[38:39]
	v_add_nc_u64_e32 v[176:177], v[86:87], v[38:39]
	global_load_u16 v25, v[174:175], off
	global_load_u16 v172, v[176:177], off
	s_wait_loadcnt 0x0
	v_dual_lshlrev_b32 v25, 16, v25 :: v_dual_lshlrev_b32 v172, 16, v172
.LBB189_50:                             ;   in Loop: Header=BB189_3 Depth=1
	s_or_b32 exec_lo, exec_lo, s3
	v_add_nc_u64_e32 v[174:175], 22, v[168:169]
	s_delay_alu instid0(VALU_DEP_1) | instskip(SKIP_1) | instid1(SALU_CYCLE_1)
	v_cmp_gt_i64_e32 vcc_lo, s[4:5], v[174:175]
	s_and_b32 s18, s2, vcc_lo
	s_and_saveexec_b32 s3, s18
	s_cbranch_execz .LBB189_52
; %bb.51:                               ;   in Loop: Header=BB189_3 Depth=1
	v_add_nc_u64_e32 v[174:175], v[80:81], v[38:39]
	v_add_nc_u64_e32 v[176:177], v[82:83], v[38:39]
	global_load_u16 v26, v[174:175], off
	global_load_u16 v173, v[176:177], off
	s_wait_loadcnt 0x0
	v_dual_lshlrev_b32 v26, 16, v26 :: v_dual_lshlrev_b32 v173, 16, v173
.LBB189_52:                             ;   in Loop: Header=BB189_3 Depth=1
	;; [unrolled: 31-line block ×6, first 2 shown]
	s_or_b32 exec_lo, exec_lo, s3
	v_add_nc_u64_e32 v[204:205], 31, v[168:169]
	v_mov_b32_e32 v203, 0
	s_delay_alu instid0(VALU_DEP_2) | instskip(SKIP_1) | instid1(SALU_CYCLE_1)
	v_cmp_gt_i64_e32 vcc_lo, s[4:5], v[204:205]
	s_and_b32 s18, s2, vcc_lo
	s_and_saveexec_b32 s3, s18
	s_cbranch_execz .LBB189_70
; %bb.69:                               ;   in Loop: Header=BB189_3 Depth=1
	v_add_nc_u64_e32 v[204:205], v[44:45], v[38:39]
	v_add_nc_u64_e32 v[206:207], v[46:47], v[38:39]
	global_load_u16 v35, v[204:205], off
	global_load_u16 v203, v[206:207], off
	s_wait_loadcnt 0x1
	v_lshlrev_b32_e32 v35, 16, v35
	s_wait_loadcnt 0x0
	v_lshlrev_b32_e32 v203, 16, v203
.LBB189_70:                             ;   in Loop: Header=BB189_3 Depth=1
	s_or_b32 exec_lo, exec_lo, s3
	s_wait_loadcnt 0x0
	ds_bpermute_b32 v204, v2, v184
	ds_bpermute_b32 v205, v2, v184 offset:4
	ds_bpermute_b32 v206, v2, v184 offset:8
	v_dual_mul_f32 v4, v185, v4 :: v_dual_mul_f32 v5, v186, v5
	ds_bpermute_b32 v185, v2, v184 offset:12
	ds_bpermute_b32 v186, v2, v184 offset:16
	s_mov_b32 s3, 0
	v_mul_f32_e32 v3, v3, v6
	ds_bpermute_b32 v6, v2, v184 offset:24
	s_wait_dscnt 0x5
	v_fma_f32 v204, v4, v204, v183
	ds_bpermute_b32 v4, v2, v184 offset:20
	s_wait_dscnt 0x5
	v_dual_fmac_f32 v204, v5, v205 :: v_dual_mul_f32 v5, v188, v7
	ds_bpermute_b32 v7, v2, v184 offset:28
	s_wait_dscnt 0x5
	v_fmac_f32_e32 v204, v3, v206
	v_mul_f32_e32 v3, v187, v8
	ds_bpermute_b32 v8, v2, v184 offset:32
	s_wait_dscnt 0x5
	v_fmac_f32_e32 v204, v5, v185
	v_mul_f32_e32 v5, v190, v9
	ds_bpermute_b32 v9, v2, v184 offset:36
	s_wait_dscnt 0x5
	v_fmac_f32_e32 v204, v3, v186
	s_wait_dscnt 0x3
	s_delay_alu instid0(VALU_DEP_1)
	v_dual_fmac_f32 v204, v5, v4 :: v_dual_mul_f32 v4, v192, v11
	v_mul_f32_e32 v3, v189, v10
	ds_bpermute_b32 v5, v2, v184 offset:40
	ds_bpermute_b32 v10, v2, v184 offset:60
	;; [unrolled: 1-line block ×3, first 2 shown]
	v_fmac_f32_e32 v204, v3, v6
	ds_bpermute_b32 v6, v2, v184 offset:44
	s_wait_dscnt 0x6
	v_dual_fmac_f32 v204, v4, v7 :: v_dual_mul_f32 v4, v194, v13
	v_mul_f32_e32 v3, v191, v12
	ds_bpermute_b32 v7, v2, v184 offset:48
	ds_bpermute_b32 v12, v2, v184 offset:68
	s_wait_dscnt 0x7
	v_dual_mul_f32 v13, v202, v21 :: v_dual_fmac_f32 v204, v3, v8
	v_mul_f32_e32 v3, v193, v14
	ds_bpermute_b32 v8, v2, v184 offset:52
	ds_bpermute_b32 v14, v2, v184 offset:72
	s_wait_dscnt 0x8
	v_fmac_f32_e32 v204, v4, v9
	v_mul_f32_e32 v4, v196, v15
	ds_bpermute_b32 v9, v2, v184 offset:56
	ds_bpermute_b32 v15, v2, v184 offset:104
	s_wait_dscnt 0x9
	v_fmac_f32_e32 v204, v3, v5
	v_mul_f32_e32 v3, v195, v16
	ds_bpermute_b32 v5, v2, v184 offset:80
	s_wait_dscnt 0x7
	v_dual_fmac_f32 v204, v4, v6 :: v_dual_mul_f32 v4, v198, v17
	s_wait_dscnt 0x6
	s_delay_alu instid0(VALU_DEP_1) | instskip(SKIP_2) | instid1(VALU_DEP_2)
	v_dual_fmac_f32 v204, v3, v7 :: v_dual_mul_f32 v3, v197, v18
	v_mov_b32_e32 v7, v24
	s_wait_dscnt 0x4
	v_fmac_f32_e32 v204, v4, v8
	v_mul_f32_e32 v6, v200, v19
	ds_bpermute_b32 v4, v2, v184 offset:76
	ds_bpermute_b32 v8, v2, v184 offset:84
	s_wait_dscnt 0x4
	v_fmac_f32_e32 v204, v3, v9
	v_mul_f32_e32 v3, v199, v20
	ds_bpermute_b32 v9, v2, v184 offset:88
	v_dual_fmac_f32 v204, v6, v10 :: v_dual_mov_b32 v6, v23
	s_delay_alu instid0(VALU_DEP_1) | instskip(SKIP_1) | instid1(VALU_DEP_3)
	v_dual_mov_b32 v10, v25 :: v_dual_fmac_f32 v204, v3, v11
	v_mul_f32_e32 v3, v201, v22
	v_pk_mul_f32 v[6:7], v[170:171], v[6:7]
	s_delay_alu instid0(VALU_DEP_3)
	v_dual_mov_b32 v11, v26 :: v_dual_fmac_f32 v204, v13, v12
	ds_bpermute_b32 v12, v2, v184 offset:92
	ds_bpermute_b32 v13, v2, v184 offset:96
	s_wait_dscnt 0x4
	v_pk_mul_f32 v[4:5], v[6:7], v[4:5]
	v_mov_b32_e32 v6, v27
	v_dual_fmac_f32 v204, v3, v14 :: v_dual_mov_b32 v7, v28
	v_pk_mul_f32 v[10:11], v[172:173], v[10:11]
	ds_bpermute_b32 v14, v2, v184 offset:100
	v_dual_add_f32 v3, v204, v4 :: v_dual_mov_b32 v4, v29
	s_wait_dscnt 0x3
	v_pk_mul_f32 v[8:9], v[10:11], v[8:9]
	ds_bpermute_b32 v10, v2, v184 offset:108
	ds_bpermute_b32 v11, v2, v184 offset:112
	v_dual_add_f32 v3, v3, v5 :: v_dual_mov_b32 v5, v30
	v_pk_mul_f32 v[6:7], v[174:175], v[6:7]
	s_delay_alu instid0(VALU_DEP_2) | instskip(SKIP_2) | instid1(VALU_DEP_3)
	v_add_f32_e32 v3, v3, v8
	v_mov_b32_e32 v8, v31
	s_wait_dscnt 0x3
	v_pk_mul_f32 v[6:7], v[6:7], v[12:13]
	v_pk_mul_f32 v[4:5], v[176:177], v[4:5]
	v_dual_add_f32 v3, v3, v9 :: v_dual_mov_b32 v9, v32
	s_wait_dscnt 0x2
	s_delay_alu instid0(VALU_DEP_2) | instskip(NEXT) | instid1(VALU_DEP_2)
	v_pk_mul_f32 v[4:5], v[4:5], v[14:15]
	v_add_f32_e32 v3, v3, v6
	s_delay_alu instid0(VALU_DEP_3)
	v_pk_mul_f32 v[8:9], v[178:179], v[8:9]
	ds_bpermute_b32 v6, v2, v184 offset:116
	s_wait_dscnt 0x1
	v_pk_mul_f32 v[8:9], v[8:9], v[10:11]
	v_add_f32_e32 v3, v3, v7
	ds_bpermute_b32 v7, v2, v184 offset:120
	v_dual_add_f32 v3, v3, v4 :: v_dual_mov_b32 v4, v33
	s_delay_alu instid0(VALU_DEP_1) | instskip(SKIP_3) | instid1(VALU_DEP_2)
	v_dual_add_f32 v10, v3, v5 :: v_dual_mov_b32 v5, v34
	ds_bpermute_b32 v3, v2, v184 offset:124
	v_add_f32_e32 v8, v10, v8
	v_pk_mul_f32 v[4:5], v[180:181], v[4:5]
	v_add_f32_e32 v8, v8, v9
	s_wait_dscnt 0x1
	s_delay_alu instid0(VALU_DEP_2) | instskip(NEXT) | instid1(VALU_DEP_1)
	v_pk_mul_f32 v[4:5], v[4:5], v[6:7]
	v_add_f32_e32 v4, v8, v4
	s_set_vgpr_msb 64                       ;  msbs: dst=1 src0=0 src1=0 src2=0
	s_delay_alu instid0(VALU_DEP_1)
	v_add_f32_e32 v38 /*v294*/, v4, v5
.LBB189_71:                             ;   in Loop: Header=BB189_3 Depth=1
	s_and_b32 vcc_lo, exec_lo, s3
	s_set_vgpr_msb 0                        ;  msbs: dst=0 src0=0 src1=0 src2=0
	s_cbranch_vccz .LBB189_137
; %bb.72:                               ;   in Loop: Header=BB189_3 Depth=1
	s_load_b32 s3, s[20:21], 0x0
	v_dual_mov_b32 v181, 0 :: v_dual_mov_b32 v180, 0
	v_mov_b32_e32 v5, v2
	s_wait_kmcnt 0x0
	s_cmp_lt_u32 s12, s3
	s_cselect_b32 s18, 12, 18
	s_delay_alu instid0(SALU_CYCLE_1)
	s_add_nc_u64 s[34:35], s[20:21], s[18:19]
	s_load_u16 s3, s[34:35], 0x0
	s_wait_dscnt 0x0
	s_wait_kmcnt 0x0
	v_mad_u32_u24 v3, v1, s3, v182
	s_mov_b32 s3, exec_lo
	s_delay_alu instid0(VALU_DEP_1) | instskip(NEXT) | instid1(VALU_DEP_1)
	v_and_b32_e32 v4, 31, v3
	v_add_nc_u64_e32 v[4:5], v[168:169], v[4:5]
	s_delay_alu instid0(VALU_DEP_1)
	v_cmpx_gt_i64_e64 s[4:5], v[4:5]
	s_cbranch_execz .LBB189_74
; %bb.73:                               ;   in Loop: Header=BB189_3 Depth=1
	v_lshl_add_u64 v[4:5], v[4:5], 2, s[14:15]
	global_load_b32 v180, v[4:5], off
.LBB189_74:                             ;   in Loop: Header=BB189_3 Depth=1
	s_wait_xcnt 0x0
	s_or_b32 exec_lo, exec_lo, s3
	v_dual_mov_b32 v31, v2 :: v_dual_mov_b32 v32, v2
	v_dual_mov_b32 v33, v2 :: v_dual_mov_b32 v3, v2
	;; [unrolled: 1-line block ×15, first 2 shown]
	v_mov_b32_e32 v30, v2
	v_mov_b64_e32 v[34:35], v[32:33]
	s_delay_alu instid0(VALU_DEP_2) | instskip(NEXT) | instid1(VALU_DEP_4)
	v_mov_b64_e32 v[32:33], v[30:31]
	v_mov_b64_e32 v[30:31], v[28:29]
	;; [unrolled: 1-line block ×15, first 2 shown]
	s_and_saveexec_b32 s3, s2
	s_cbranch_execz .LBB189_76
; %bb.75:                               ;   in Loop: Header=BB189_3 Depth=1
	v_add_nc_u64_e32 v[4:5], v[40:41], v[38:39]
	v_add_nc_u64_e32 v[6:7], v[42:43], v[38:39]
	v_dual_mov_b32 v9, v2 :: v_dual_mov_b32 v10, v2
	v_dual_mov_b32 v11, v2 :: v_dual_mov_b32 v12, v2
	;; [unrolled: 1-line block ×3, first 2 shown]
	global_load_u16 v3, v[4:5], off
	global_load_u16 v168, v[6:7], off
	s_wait_xcnt 0x0
	v_dual_mov_b32 v5, v2 :: v_dual_mov_b32 v6, v2
	v_dual_mov_b32 v7, v2 :: v_dual_mov_b32 v8, v2
	;; [unrolled: 1-line block ×12, first 2 shown]
	s_wait_loadcnt 0x1
	v_dual_mov_b32 v35, v2 :: v_dual_lshlrev_b32 v4, 16, v3
	s_wait_loadcnt 0x0
	v_lshlrev_b32_e32 v181, 16, v168
.LBB189_76:                             ;   in Loop: Header=BB189_3 Depth=1
	s_or_b32 exec_lo, exec_lo, s3
	v_dual_mov_b32 v3, 0 :: v_dual_mov_b32 v184, 0
	s_and_saveexec_b32 s3, s2
	s_cbranch_execz .LBB189_78
; %bb.77:                               ;   in Loop: Header=BB189_3 Depth=1
	v_add_nc_u64_e32 v[168:169], v[164:165], v[38:39]
	v_add_nc_u64_e32 v[170:171], v[166:167], v[38:39]
	global_load_u16 v5, v[168:169], off
	global_load_u16 v172, v[170:171], off
	s_wait_loadcnt 0x0
	v_dual_lshlrev_b32 v5, 16, v5 :: v_dual_lshlrev_b32 v184, 16, v172
.LBB189_78:                             ;   in Loop: Header=BB189_3 Depth=1
	s_or_b32 exec_lo, exec_lo, s3
	s_and_saveexec_b32 s3, s2
	s_cbranch_execz .LBB189_80
; %bb.79:                               ;   in Loop: Header=BB189_3 Depth=1
	v_add_nc_u64_e32 v[168:169], v[160:161], v[38:39]
	v_add_nc_u64_e32 v[170:171], v[162:163], v[38:39]
	global_load_u16 v3, v[168:169], off
	global_load_u16 v172, v[170:171], off
	s_wait_loadcnt 0x0
	v_dual_lshlrev_b32 v6, 16, v3 :: v_dual_lshlrev_b32 v3, 16, v172
.LBB189_80:                             ;   in Loop: Header=BB189_3 Depth=1
	s_or_b32 exec_lo, exec_lo, s3
	v_dual_mov_b32 v185, 0 :: v_dual_mov_b32 v186, 0
	s_and_saveexec_b32 s3, s2
	s_cbranch_execz .LBB189_82
; %bb.81:                               ;   in Loop: Header=BB189_3 Depth=1
	v_add_nc_u64_e32 v[168:169], v[156:157], v[38:39]
	v_add_nc_u64_e32 v[170:171], v[158:159], v[38:39]
	global_load_u16 v7, v[168:169], off
	global_load_u16 v172, v[170:171], off
	s_wait_loadcnt 0x0
	v_dual_lshlrev_b32 v7, 16, v7 :: v_dual_lshlrev_b32 v186, 16, v172
.LBB189_82:                             ;   in Loop: Header=BB189_3 Depth=1
	s_or_b32 exec_lo, exec_lo, s3
	s_and_saveexec_b32 s3, s2
	s_cbranch_execz .LBB189_84
; %bb.83:                               ;   in Loop: Header=BB189_3 Depth=1
	v_add_nc_u64_e32 v[168:169], v[152:153], v[38:39]
	v_add_nc_u64_e32 v[170:171], v[154:155], v[38:39]
	global_load_u16 v8, v[168:169], off
	global_load_u16 v172, v[170:171], off
	s_wait_loadcnt 0x1
	v_lshlrev_b32_e32 v8, 16, v8
	s_wait_loadcnt 0x0
	v_lshlrev_b32_e32 v185, 16, v172
.LBB189_84:                             ;   in Loop: Header=BB189_3 Depth=1
	s_or_b32 exec_lo, exec_lo, s3
	v_dual_mov_b32 v187, 0 :: v_dual_mov_b32 v188, 0
	s_and_saveexec_b32 s3, s2
	s_cbranch_execz .LBB189_86
; %bb.85:                               ;   in Loop: Header=BB189_3 Depth=1
	v_add_nc_u64_e32 v[168:169], v[148:149], v[38:39]
	v_add_nc_u64_e32 v[170:171], v[150:151], v[38:39]
	global_load_u16 v9, v[168:169], off
	global_load_u16 v172, v[170:171], off
	s_wait_loadcnt 0x0
	v_dual_lshlrev_b32 v9, 16, v9 :: v_dual_lshlrev_b32 v188, 16, v172
.LBB189_86:                             ;   in Loop: Header=BB189_3 Depth=1
	s_or_b32 exec_lo, exec_lo, s3
	s_and_saveexec_b32 s3, s2
	s_cbranch_execz .LBB189_88
; %bb.87:                               ;   in Loop: Header=BB189_3 Depth=1
	v_add_nc_u64_e32 v[168:169], v[144:145], v[38:39]
	v_add_nc_u64_e32 v[170:171], v[146:147], v[38:39]
	global_load_u16 v10, v[168:169], off
	global_load_u16 v172, v[170:171], off
	s_wait_loadcnt 0x0
	v_dual_lshlrev_b32 v10, 16, v10 :: v_dual_lshlrev_b32 v187, 16, v172
.LBB189_88:                             ;   in Loop: Header=BB189_3 Depth=1
	s_or_b32 exec_lo, exec_lo, s3
	v_dual_mov_b32 v189, 0 :: v_dual_mov_b32 v190, 0
	s_and_saveexec_b32 s3, s2
	s_cbranch_execz .LBB189_90
; %bb.89:                               ;   in Loop: Header=BB189_3 Depth=1
	v_add_nc_u64_e32 v[168:169], v[140:141], v[38:39]
	v_add_nc_u64_e32 v[170:171], v[142:143], v[38:39]
	global_load_u16 v11, v[168:169], off
	global_load_u16 v172, v[170:171], off
	s_wait_loadcnt 0x0
	v_dual_lshlrev_b32 v11, 16, v11 :: v_dual_lshlrev_b32 v190, 16, v172
.LBB189_90:                             ;   in Loop: Header=BB189_3 Depth=1
	s_or_b32 exec_lo, exec_lo, s3
	s_and_saveexec_b32 s3, s2
	s_cbranch_execz .LBB189_92
; %bb.91:                               ;   in Loop: Header=BB189_3 Depth=1
	v_add_nc_u64_e32 v[168:169], v[136:137], v[38:39]
	v_add_nc_u64_e32 v[170:171], v[138:139], v[38:39]
	global_load_u16 v12, v[168:169], off
	global_load_u16 v172, v[170:171], off
	s_wait_loadcnt 0x1
	v_lshlrev_b32_e32 v12, 16, v12
	s_wait_loadcnt 0x0
	v_lshlrev_b32_e32 v189, 16, v172
.LBB189_92:                             ;   in Loop: Header=BB189_3 Depth=1
	s_or_b32 exec_lo, exec_lo, s3
	v_dual_mov_b32 v191, 0 :: v_dual_mov_b32 v192, 0
	s_and_saveexec_b32 s3, s2
	s_cbranch_execz .LBB189_94
; %bb.93:                               ;   in Loop: Header=BB189_3 Depth=1
	v_add_nc_u64_e32 v[168:169], v[132:133], v[38:39]
	v_add_nc_u64_e32 v[170:171], v[134:135], v[38:39]
	global_load_u16 v13, v[168:169], off
	global_load_u16 v172, v[170:171], off
	s_wait_loadcnt 0x0
	v_dual_lshlrev_b32 v13, 16, v13 :: v_dual_lshlrev_b32 v192, 16, v172
.LBB189_94:                             ;   in Loop: Header=BB189_3 Depth=1
	s_or_b32 exec_lo, exec_lo, s3
	s_and_saveexec_b32 s3, s2
	s_cbranch_execz .LBB189_96
; %bb.95:                               ;   in Loop: Header=BB189_3 Depth=1
	v_add_nc_u64_e32 v[168:169], v[128:129], v[38:39]
	v_add_nc_u64_e32 v[170:171], v[130:131], v[38:39]
	global_load_u16 v14, v[168:169], off
	global_load_u16 v172, v[170:171], off
	s_wait_loadcnt 0x0
	v_dual_lshlrev_b32 v14, 16, v14 :: v_dual_lshlrev_b32 v191, 16, v172
.LBB189_96:                             ;   in Loop: Header=BB189_3 Depth=1
	s_or_b32 exec_lo, exec_lo, s3
	v_dual_mov_b32 v193, 0 :: v_dual_mov_b32 v194, 0
	s_and_saveexec_b32 s3, s2
	s_cbranch_execz .LBB189_98
; %bb.97:                               ;   in Loop: Header=BB189_3 Depth=1
	v_add_nc_u64_e32 v[168:169], v[124:125], v[38:39]
	v_add_nc_u64_e32 v[170:171], v[126:127], v[38:39]
	global_load_u16 v15, v[168:169], off
	global_load_u16 v172, v[170:171], off
	s_wait_loadcnt 0x0
	v_dual_lshlrev_b32 v15, 16, v15 :: v_dual_lshlrev_b32 v194, 16, v172
.LBB189_98:                             ;   in Loop: Header=BB189_3 Depth=1
	s_or_b32 exec_lo, exec_lo, s3
	s_and_saveexec_b32 s3, s2
	s_cbranch_execz .LBB189_100
; %bb.99:                               ;   in Loop: Header=BB189_3 Depth=1
	v_add_nc_u64_e32 v[168:169], v[120:121], v[38:39]
	v_add_nc_u64_e32 v[170:171], v[122:123], v[38:39]
	global_load_u16 v16, v[168:169], off
	global_load_u16 v172, v[170:171], off
	s_wait_loadcnt 0x1
	v_lshlrev_b32_e32 v16, 16, v16
	s_wait_loadcnt 0x0
	v_lshlrev_b32_e32 v193, 16, v172
.LBB189_100:                            ;   in Loop: Header=BB189_3 Depth=1
	s_or_b32 exec_lo, exec_lo, s3
	v_dual_mov_b32 v195, 0 :: v_dual_mov_b32 v196, 0
	s_and_saveexec_b32 s3, s2
	s_cbranch_execz .LBB189_102
; %bb.101:                              ;   in Loop: Header=BB189_3 Depth=1
	v_add_nc_u64_e32 v[168:169], v[116:117], v[38:39]
	v_add_nc_u64_e32 v[170:171], v[118:119], v[38:39]
	global_load_u16 v17, v[168:169], off
	global_load_u16 v172, v[170:171], off
	s_wait_loadcnt 0x0
	v_dual_lshlrev_b32 v17, 16, v17 :: v_dual_lshlrev_b32 v196, 16, v172
.LBB189_102:                            ;   in Loop: Header=BB189_3 Depth=1
	s_or_b32 exec_lo, exec_lo, s3
	s_and_saveexec_b32 s3, s2
	s_cbranch_execz .LBB189_104
; %bb.103:                              ;   in Loop: Header=BB189_3 Depth=1
	v_add_nc_u64_e32 v[168:169], v[112:113], v[38:39]
	v_add_nc_u64_e32 v[170:171], v[114:115], v[38:39]
	global_load_u16 v18, v[168:169], off
	global_load_u16 v172, v[170:171], off
	s_wait_loadcnt 0x0
	v_dual_lshlrev_b32 v18, 16, v18 :: v_dual_lshlrev_b32 v195, 16, v172
.LBB189_104:                            ;   in Loop: Header=BB189_3 Depth=1
	s_or_b32 exec_lo, exec_lo, s3
	v_dual_mov_b32 v197, 0 :: v_dual_mov_b32 v198, 0
	s_and_saveexec_b32 s3, s2
	s_cbranch_execz .LBB189_106
; %bb.105:                              ;   in Loop: Header=BB189_3 Depth=1
	v_add_nc_u64_e32 v[168:169], v[108:109], v[38:39]
	v_add_nc_u64_e32 v[170:171], v[110:111], v[38:39]
	global_load_u16 v19, v[168:169], off
	global_load_u16 v172, v[170:171], off
	s_wait_loadcnt 0x0
	v_dual_lshlrev_b32 v19, 16, v19 :: v_dual_lshlrev_b32 v198, 16, v172
.LBB189_106:                            ;   in Loop: Header=BB189_3 Depth=1
	s_or_b32 exec_lo, exec_lo, s3
	s_and_saveexec_b32 s3, s2
	s_cbranch_execz .LBB189_108
; %bb.107:                              ;   in Loop: Header=BB189_3 Depth=1
	v_add_nc_u64_e32 v[168:169], v[104:105], v[38:39]
	v_add_nc_u64_e32 v[170:171], v[106:107], v[38:39]
	global_load_u16 v20, v[168:169], off
	global_load_u16 v172, v[170:171], off
	s_wait_loadcnt 0x1
	v_lshlrev_b32_e32 v20, 16, v20
	s_wait_loadcnt 0x0
	v_lshlrev_b32_e32 v197, 16, v172
.LBB189_108:                            ;   in Loop: Header=BB189_3 Depth=1
	s_or_b32 exec_lo, exec_lo, s3
	v_dual_mov_b32 v199, 0 :: v_dual_mov_b32 v200, 0
	s_and_saveexec_b32 s3, s2
	s_cbranch_execz .LBB189_110
; %bb.109:                              ;   in Loop: Header=BB189_3 Depth=1
	v_add_nc_u64_e32 v[168:169], v[100:101], v[38:39]
	v_add_nc_u64_e32 v[170:171], v[102:103], v[38:39]
	global_load_u16 v21, v[168:169], off
	global_load_u16 v172, v[170:171], off
	s_wait_loadcnt 0x0
	v_dual_lshlrev_b32 v21, 16, v21 :: v_dual_lshlrev_b32 v200, 16, v172
.LBB189_110:                            ;   in Loop: Header=BB189_3 Depth=1
	s_or_b32 exec_lo, exec_lo, s3
	s_and_saveexec_b32 s3, s2
	s_cbranch_execz .LBB189_112
; %bb.111:                              ;   in Loop: Header=BB189_3 Depth=1
	v_add_nc_u64_e32 v[168:169], v[96:97], v[38:39]
	v_add_nc_u64_e32 v[170:171], v[98:99], v[38:39]
	global_load_u16 v22, v[168:169], off
	global_load_u16 v172, v[170:171], off
	s_wait_loadcnt 0x0
	v_dual_lshlrev_b32 v22, 16, v22 :: v_dual_lshlrev_b32 v199, 16, v172
.LBB189_112:                            ;   in Loop: Header=BB189_3 Depth=1
	s_or_b32 exec_lo, exec_lo, s3
	v_dual_mov_b32 v169, 0 :: v_dual_mov_b32 v168, 0
	s_and_saveexec_b32 s3, s2
	s_cbranch_execz .LBB189_114
; %bb.113:                              ;   in Loop: Header=BB189_3 Depth=1
	v_add_nc_u64_e32 v[170:171], v[92:93], v[38:39]
	v_add_nc_u64_e32 v[172:173], v[94:95], v[38:39]
	global_load_u16 v23, v[170:171], off
	global_load_u16 v168, v[172:173], off
	s_wait_loadcnt 0x0
	v_dual_lshlrev_b32 v23, 16, v23 :: v_dual_lshlrev_b32 v168, 16, v168
.LBB189_114:                            ;   in Loop: Header=BB189_3 Depth=1
	s_or_b32 exec_lo, exec_lo, s3
	s_and_saveexec_b32 s3, s2
	s_cbranch_execz .LBB189_116
; %bb.115:                              ;   in Loop: Header=BB189_3 Depth=1
	v_add_nc_u64_e32 v[170:171], v[88:89], v[38:39]
	v_add_nc_u64_e32 v[172:173], v[90:91], v[38:39]
	global_load_u16 v24, v[170:171], off
	global_load_u16 v169, v[172:173], off
	s_wait_loadcnt 0x0
	v_dual_lshlrev_b32 v24, 16, v24 :: v_dual_lshlrev_b32 v169, 16, v169
.LBB189_116:                            ;   in Loop: Header=BB189_3 Depth=1
	s_or_b32 exec_lo, exec_lo, s3
	v_dual_mov_b32 v171, 0 :: v_dual_mov_b32 v170, 0
	s_and_saveexec_b32 s3, s2
	s_cbranch_execz .LBB189_118
; %bb.117:                              ;   in Loop: Header=BB189_3 Depth=1
	v_add_nc_u64_e32 v[172:173], v[84:85], v[38:39]
	v_add_nc_u64_e32 v[174:175], v[86:87], v[38:39]
	global_load_u16 v25, v[172:173], off
	global_load_u16 v170, v[174:175], off
	s_wait_loadcnt 0x0
	v_dual_lshlrev_b32 v25, 16, v25 :: v_dual_lshlrev_b32 v170, 16, v170
.LBB189_118:                            ;   in Loop: Header=BB189_3 Depth=1
	s_or_b32 exec_lo, exec_lo, s3
	s_and_saveexec_b32 s3, s2
	s_cbranch_execz .LBB189_120
; %bb.119:                              ;   in Loop: Header=BB189_3 Depth=1
	v_add_nc_u64_e32 v[172:173], v[80:81], v[38:39]
	v_add_nc_u64_e32 v[174:175], v[82:83], v[38:39]
	global_load_u16 v26, v[172:173], off
	global_load_u16 v171, v[174:175], off
	s_wait_loadcnt 0x0
	v_dual_lshlrev_b32 v26, 16, v26 :: v_dual_lshlrev_b32 v171, 16, v171
.LBB189_120:                            ;   in Loop: Header=BB189_3 Depth=1
	s_or_b32 exec_lo, exec_lo, s3
	v_dual_mov_b32 v173, 0 :: v_dual_mov_b32 v172, 0
	s_and_saveexec_b32 s3, s2
	s_cbranch_execz .LBB189_122
; %bb.121:                              ;   in Loop: Header=BB189_3 Depth=1
	v_add_nc_u64_e32 v[174:175], v[76:77], v[38:39]
	v_add_nc_u64_e32 v[176:177], v[78:79], v[38:39]
	global_load_u16 v27, v[174:175], off
	global_load_u16 v172, v[176:177], off
	s_wait_loadcnt 0x0
	v_dual_lshlrev_b32 v27, 16, v27 :: v_dual_lshlrev_b32 v172, 16, v172
.LBB189_122:                            ;   in Loop: Header=BB189_3 Depth=1
	s_or_b32 exec_lo, exec_lo, s3
	s_and_saveexec_b32 s3, s2
	s_cbranch_execz .LBB189_124
; %bb.123:                              ;   in Loop: Header=BB189_3 Depth=1
	v_add_nc_u64_e32 v[174:175], v[72:73], v[38:39]
	v_add_nc_u64_e32 v[176:177], v[74:75], v[38:39]
	global_load_u16 v28, v[174:175], off
	global_load_u16 v173, v[176:177], off
	s_wait_loadcnt 0x0
	v_dual_lshlrev_b32 v28, 16, v28 :: v_dual_lshlrev_b32 v173, 16, v173
.LBB189_124:                            ;   in Loop: Header=BB189_3 Depth=1
	s_or_b32 exec_lo, exec_lo, s3
	v_dual_mov_b32 v175, 0 :: v_dual_mov_b32 v174, 0
	s_and_saveexec_b32 s3, s2
	s_cbranch_execz .LBB189_126
; %bb.125:                              ;   in Loop: Header=BB189_3 Depth=1
	v_add_nc_u64_e32 v[176:177], v[68:69], v[38:39]
	v_add_nc_u64_e32 v[178:179], v[70:71], v[38:39]
	global_load_u16 v29, v[176:177], off
	global_load_u16 v174, v[178:179], off
	s_wait_loadcnt 0x0
	v_dual_lshlrev_b32 v29, 16, v29 :: v_dual_lshlrev_b32 v174, 16, v174
.LBB189_126:                            ;   in Loop: Header=BB189_3 Depth=1
	s_or_b32 exec_lo, exec_lo, s3
	s_and_saveexec_b32 s3, s2
	s_cbranch_execz .LBB189_128
; %bb.127:                              ;   in Loop: Header=BB189_3 Depth=1
	v_add_nc_u64_e32 v[176:177], v[64:65], v[38:39]
	v_add_nc_u64_e32 v[178:179], v[66:67], v[38:39]
	global_load_u16 v30, v[176:177], off
	global_load_u16 v175, v[178:179], off
	s_wait_loadcnt 0x0
	v_dual_lshlrev_b32 v30, 16, v30 :: v_dual_lshlrev_b32 v175, 16, v175
.LBB189_128:                            ;   in Loop: Header=BB189_3 Depth=1
	s_or_b32 exec_lo, exec_lo, s3
	v_dual_mov_b32 v177, 0 :: v_dual_mov_b32 v176, 0
	s_and_saveexec_b32 s3, s2
	s_cbranch_execz .LBB189_130
; %bb.129:                              ;   in Loop: Header=BB189_3 Depth=1
	v_add_nc_u64_e32 v[178:179], v[60:61], v[38:39]
	v_add_nc_u64_e32 v[202:203], v[62:63], v[38:39]
	global_load_u16 v31, v[178:179], off
	global_load_u16 v176, v[202:203], off
	s_wait_loadcnt 0x0
	v_dual_lshlrev_b32 v31, 16, v31 :: v_dual_lshlrev_b32 v176, 16, v176
.LBB189_130:                            ;   in Loop: Header=BB189_3 Depth=1
	s_or_b32 exec_lo, exec_lo, s3
	s_and_saveexec_b32 s3, s2
	s_cbranch_execz .LBB189_132
; %bb.131:                              ;   in Loop: Header=BB189_3 Depth=1
	v_add_nc_u64_e32 v[178:179], v[56:57], v[38:39]
	v_add_nc_u64_e32 v[202:203], v[58:59], v[38:39]
	global_load_u16 v32, v[178:179], off
	global_load_u16 v177, v[202:203], off
	s_wait_loadcnt 0x0
	v_dual_lshlrev_b32 v32, 16, v32 :: v_dual_lshlrev_b32 v177, 16, v177
.LBB189_132:                            ;   in Loop: Header=BB189_3 Depth=1
	s_or_b32 exec_lo, exec_lo, s3
	v_dual_mov_b32 v179, 0 :: v_dual_mov_b32 v178, 0
	s_and_saveexec_b32 s3, s2
	s_cbranch_execnz .LBB189_139
; %bb.133:                              ;   in Loop: Header=BB189_3 Depth=1
	s_or_b32 exec_lo, exec_lo, s3
	s_and_saveexec_b32 s3, s2
	s_cbranch_execnz .LBB189_140
.LBB189_134:                            ;   in Loop: Header=BB189_3 Depth=1
	s_or_b32 exec_lo, exec_lo, s3
	v_mov_b32_e32 v203, 0
	s_and_saveexec_b32 s3, s2
	s_cbranch_execz .LBB189_136
.LBB189_135:                            ;   in Loop: Header=BB189_3 Depth=1
	v_add_nc_u64_e32 v[202:203], v[44:45], v[38:39]
	v_add_nc_u64_e32 v[204:205], v[46:47], v[38:39]
	global_load_u16 v35, v[202:203], off
	global_load_u16 v201, v[204:205], off
	s_wait_loadcnt 0x0
	v_dual_lshlrev_b32 v35, 16, v35 :: v_dual_lshlrev_b32 v203, 16, v201
.LBB189_136:                            ;   in Loop: Header=BB189_3 Depth=1
	s_or_b32 exec_lo, exec_lo, s3
	s_wait_loadcnt 0x0
	ds_bpermute_b32 v201, v2, v180
	ds_bpermute_b32 v202, v2, v180 offset:4
	ds_bpermute_b32 v204, v2, v180 offset:8
	v_dual_mul_f32 v4, v181, v4 :: v_dual_mul_f32 v5, v184, v5
	ds_bpermute_b32 v181, v2, v180 offset:12
	ds_bpermute_b32 v184, v2, v180 offset:16
	v_mul_f32_e32 v3, v3, v6
	ds_bpermute_b32 v6, v2, v180 offset:24
	s_wait_dscnt 0x5
	v_fmac_f32_e32 v183, v4, v201
	ds_bpermute_b32 v4, v2, v180 offset:20
	s_wait_dscnt 0x5
	v_dual_fmac_f32 v183, v5, v202 :: v_dual_mul_f32 v5, v186, v7
	ds_bpermute_b32 v7, v2, v180 offset:28
	s_wait_dscnt 0x5
	v_fmac_f32_e32 v183, v3, v204
	v_mul_f32_e32 v3, v185, v8
	ds_bpermute_b32 v8, v2, v180 offset:32
	s_wait_dscnt 0x5
	v_fmac_f32_e32 v183, v5, v181
	v_mul_f32_e32 v5, v188, v9
	;; [unrolled: 4-line block ×3, first 2 shown]
	ds_bpermute_b32 v10, v2, v180 offset:60
	s_wait_dscnt 0x4
	v_dual_fmac_f32 v183, v5, v4 :: v_dual_mul_f32 v4, v190, v11
	ds_bpermute_b32 v5, v2, v180 offset:40
	ds_bpermute_b32 v11, v2, v180 offset:64
	v_dual_fmac_f32 v183, v3, v6 :: v_dual_mul_f32 v3, v189, v12
	ds_bpermute_b32 v6, v2, v180 offset:44
	ds_bpermute_b32 v12, v2, v180 offset:68
	s_wait_dscnt 0x7
	v_fmac_f32_e32 v183, v4, v7
	v_mul_f32_e32 v4, v192, v13
	ds_bpermute_b32 v7, v2, v180 offset:48
	s_wait_dscnt 0x7
	v_fmac_f32_e32 v183, v3, v8
	v_mul_f32_e32 v3, v191, v14
	ds_bpermute_b32 v8, v2, v180 offset:52
	ds_bpermute_b32 v14, v2, v180 offset:72
	s_wait_dscnt 0x8
	v_dual_fmac_f32 v183, v4, v9 :: v_dual_mul_f32 v4, v194, v15
	ds_bpermute_b32 v9, v2, v180 offset:56
	ds_bpermute_b32 v15, v2, v180 offset:104
	s_wait_dscnt 0x8
	v_dual_fmac_f32 v183, v3, v5 :: v_dual_mul_f32 v3, v193, v16
	ds_bpermute_b32 v5, v2, v180 offset:80
	s_wait_dscnt 0x7
	v_fmac_f32_e32 v183, v4, v6
	v_dual_mul_f32 v4, v196, v17 :: v_dual_mul_f32 v6, v198, v19
	s_wait_dscnt 0x5
	s_delay_alu instid0(VALU_DEP_2) | instskip(SKIP_2) | instid1(VALU_DEP_2)
	v_fmac_f32_e32 v183, v3, v7
	v_dual_mul_f32 v3, v195, v18 :: v_dual_mov_b32 v7, v24
	s_wait_dscnt 0x4
	v_fmac_f32_e32 v183, v4, v8
	ds_bpermute_b32 v4, v2, v180 offset:76
	ds_bpermute_b32 v8, v2, v180 offset:84
	s_wait_dscnt 0x4
	v_dual_fmac_f32 v183, v3, v9 :: v_dual_mul_f32 v3, v197, v20
	v_mul_f32_e32 v13, v200, v21
	ds_bpermute_b32 v9, v2, v180 offset:88
	v_dual_fmac_f32 v183, v6, v10 :: v_dual_mov_b32 v6, v23
	s_delay_alu instid0(VALU_DEP_1) | instskip(SKIP_1) | instid1(VALU_DEP_3)
	v_dual_mov_b32 v10, v25 :: v_dual_fmac_f32 v183, v3, v11
	v_mul_f32_e32 v3, v199, v22
	v_pk_mul_f32 v[6:7], v[168:169], v[6:7]
	s_delay_alu instid0(VALU_DEP_3)
	v_dual_fmac_f32 v183, v13, v12 :: v_dual_mov_b32 v11, v26
	ds_bpermute_b32 v12, v2, v180 offset:92
	ds_bpermute_b32 v13, v2, v180 offset:96
	s_wait_dscnt 0x4
	v_pk_mul_f32 v[4:5], v[6:7], v[4:5]
	v_fmac_f32_e32 v183, v3, v14
	v_pk_mul_f32 v[10:11], v[170:171], v[10:11]
	v_dual_mov_b32 v6, v27 :: v_dual_mov_b32 v7, v28
	ds_bpermute_b32 v14, v2, v180 offset:100
	v_dual_add_f32 v3, v183, v4 :: v_dual_mov_b32 v4, v29
	s_wait_dscnt 0x3
	v_pk_mul_f32 v[8:9], v[10:11], v[8:9]
	ds_bpermute_b32 v10, v2, v180 offset:108
	ds_bpermute_b32 v11, v2, v180 offset:112
	v_dual_add_f32 v3, v3, v5 :: v_dual_mov_b32 v5, v30
	v_pk_mul_f32 v[6:7], v[172:173], v[6:7]
	s_delay_alu instid0(VALU_DEP_2) | instskip(SKIP_1) | instid1(VALU_DEP_4)
	v_add_f32_e32 v3, v3, v8
	v_mov_b32_e32 v8, v31
	v_pk_mul_f32 v[4:5], v[174:175], v[4:5]
	s_wait_dscnt 0x3
	v_pk_mul_f32 v[6:7], v[6:7], v[12:13]
	v_dual_add_f32 v3, v3, v9 :: v_dual_mov_b32 v9, v32
	s_wait_dscnt 0x2
	v_pk_mul_f32 v[4:5], v[4:5], v[14:15]
	s_delay_alu instid0(VALU_DEP_2) | instskip(NEXT) | instid1(VALU_DEP_3)
	v_add_f32_e32 v3, v3, v6
	v_pk_mul_f32 v[8:9], v[176:177], v[8:9]
	ds_bpermute_b32 v6, v2, v180 offset:116
	s_wait_dscnt 0x1
	v_pk_mul_f32 v[8:9], v[8:9], v[10:11]
	v_add_f32_e32 v3, v3, v7
	ds_bpermute_b32 v7, v2, v180 offset:120
	v_dual_add_f32 v3, v3, v4 :: v_dual_mov_b32 v4, v33
	s_delay_alu instid0(VALU_DEP_1) | instskip(SKIP_3) | instid1(VALU_DEP_2)
	v_dual_add_f32 v10, v3, v5 :: v_dual_mov_b32 v5, v34
	ds_bpermute_b32 v3, v2, v180 offset:124
	v_add_f32_e32 v8, v10, v8
	v_pk_mul_f32 v[4:5], v[178:179], v[4:5]
	v_add_f32_e32 v8, v8, v9
	s_wait_dscnt 0x1
	s_delay_alu instid0(VALU_DEP_2) | instskip(NEXT) | instid1(VALU_DEP_1)
	v_pk_mul_f32 v[4:5], v[4:5], v[6:7]
	v_add_f32_e32 v4, v8, v4
	s_set_vgpr_msb 64                       ;  msbs: dst=1 src0=0 src1=0 src2=0
	s_delay_alu instid0(VALU_DEP_1)
	v_add_f32_e32 v38 /*v294*/, v4, v5
.LBB189_137:                            ;   in Loop: Header=BB189_3 Depth=1
	s_add_nc_u64 s[28:29], s[28:29], s[22:23]
	s_set_vgpr_msb 0                        ;  msbs: dst=0 src0=0 src1=0 src2=0
	v_mul_f32_e32 v4, v203, v35
	v_cmp_lt_i64_e64 s3, s[28:29], s[4:5]
	v_add_nc_u64_e32 v[40:41], s[24:25], v[40:41]
	v_add_nc_u64_e32 v[42:43], s[24:25], v[42:43]
	v_add_nc_u64_e32 v[44:45], s[24:25], v[44:45]
	v_add_nc_u64_e32 v[46:47], s[24:25], v[46:47]
	v_add_nc_u64_e32 v[48:49], s[24:25], v[48:49]
	v_add_nc_u64_e32 v[50:51], s[24:25], v[50:51]
	v_add_nc_u64_e32 v[52:53], s[24:25], v[52:53]
	v_add_nc_u64_e32 v[54:55], s[24:25], v[54:55]
	v_add_nc_u64_e32 v[56:57], s[24:25], v[56:57]
	v_add_nc_u64_e32 v[58:59], s[24:25], v[58:59]
	v_add_nc_u64_e32 v[60:61], s[24:25], v[60:61]
	v_add_nc_u64_e32 v[62:63], s[24:25], v[62:63]
	v_add_nc_u64_e32 v[64:65], s[24:25], v[64:65]
	v_add_nc_u64_e32 v[66:67], s[24:25], v[66:67]
	v_add_nc_u64_e32 v[68:69], s[24:25], v[68:69]
	v_add_nc_u64_e32 v[70:71], s[24:25], v[70:71]
	v_add_nc_u64_e32 v[72:73], s[24:25], v[72:73]
	v_add_nc_u64_e32 v[74:75], s[24:25], v[74:75]
	v_add_nc_u64_e32 v[76:77], s[24:25], v[76:77]
	v_add_nc_u64_e32 v[78:79], s[24:25], v[78:79]
	v_add_nc_u64_e32 v[80:81], s[24:25], v[80:81]
	v_add_nc_u64_e32 v[82:83], s[24:25], v[82:83]
	v_add_nc_u64_e32 v[84:85], s[24:25], v[84:85]
	v_add_nc_u64_e32 v[86:87], s[24:25], v[86:87]
	v_add_nc_u64_e32 v[88:89], s[24:25], v[88:89]
	v_add_nc_u64_e32 v[90:91], s[24:25], v[90:91]
	v_add_nc_u64_e32 v[92:93], s[24:25], v[92:93]
	v_add_nc_u64_e32 v[94:95], s[24:25], v[94:95]
	v_add_nc_u64_e32 v[96:97], s[24:25], v[96:97]
	v_add_nc_u64_e32 v[98:99], s[24:25], v[98:99]
	v_add_nc_u64_e32 v[100:101], s[24:25], v[100:101]
	v_add_nc_u64_e32 v[102:103], s[24:25], v[102:103]
	v_add_nc_u64_e32 v[104:105], s[24:25], v[104:105]
	v_add_nc_u64_e32 v[106:107], s[24:25], v[106:107]
	v_add_nc_u64_e32 v[108:109], s[24:25], v[108:109]
	v_add_nc_u64_e32 v[110:111], s[24:25], v[110:111]
	v_add_nc_u64_e32 v[112:113], s[24:25], v[112:113]
	v_add_nc_u64_e32 v[114:115], s[24:25], v[114:115]
	v_add_nc_u64_e32 v[116:117], s[24:25], v[116:117]
	v_add_nc_u64_e32 v[118:119], s[24:25], v[118:119]
	v_add_nc_u64_e32 v[120:121], s[24:25], v[120:121]
	v_add_nc_u64_e32 v[122:123], s[24:25], v[122:123]
	v_add_nc_u64_e32 v[124:125], s[24:25], v[124:125]
	v_add_nc_u64_e32 v[126:127], s[24:25], v[126:127]
	v_add_nc_u64_e32 v[128:129], s[24:25], v[128:129]
	v_add_nc_u64_e32 v[130:131], s[24:25], v[130:131]
	v_add_nc_u64_e32 v[132:133], s[24:25], v[132:133]
	v_add_nc_u64_e32 v[134:135], s[24:25], v[134:135]
	v_add_nc_u64_e32 v[136:137], s[24:25], v[136:137]
	v_add_nc_u64_e32 v[138:139], s[24:25], v[138:139]
	v_add_nc_u64_e32 v[140:141], s[24:25], v[140:141]
	v_add_nc_u64_e32 v[142:143], s[24:25], v[142:143]
	v_add_nc_u64_e32 v[144:145], s[24:25], v[144:145]
	v_add_nc_u64_e32 v[146:147], s[24:25], v[146:147]
	v_add_nc_u64_e32 v[148:149], s[24:25], v[148:149]
	v_add_nc_u64_e32 v[150:151], s[24:25], v[150:151]
	v_add_nc_u64_e32 v[152:153], s[24:25], v[152:153]
	v_add_nc_u64_e32 v[154:155], s[24:25], v[154:155]
	v_add_nc_u64_e32 v[156:157], s[24:25], v[156:157]
	v_add_nc_u64_e32 v[158:159], s[24:25], v[158:159]
	v_add_nc_u64_e32 v[160:161], s[24:25], v[160:161]
	v_add_nc_u64_e32 v[162:163], s[24:25], v[162:163]
	v_add_nc_u64_e32 v[164:165], s[24:25], v[164:165]
	v_add_nc_u64_e32 v[166:167], s[24:25], v[166:167]
	v_add_nc_u64_e32 v[36:37], s[22:23], v[36:37]
	s_wait_dscnt 0x0
	s_set_vgpr_msb 64                       ;  msbs: dst=1 src0=0 src1=0 src2=0
	v_fmac_f32_e32 v38 /*v294*/, v4, v3
	s_and_b32 vcc_lo, exec_lo, s3
	s_add_nc_u64 s[26:27], s[26:27], s[22:23]
	s_set_vgpr_msb 0                        ;  msbs: dst=0 src0=0 src1=0 src2=0
	s_cbranch_vccz .LBB189_142
; %bb.138:                              ;   in Loop: Header=BB189_3 Depth=1
	s_set_vgpr_msb 1                        ;  msbs: dst=0 src0=1 src1=0 src2=0
	v_mov_b32_e32 v183, v38 /*v294*/
	s_set_vgpr_msb 0                        ;  msbs: dst=0 src0=0 src1=0 src2=0
	s_branch .LBB189_3
.LBB189_139:                            ;   in Loop: Header=BB189_3 Depth=1
	v_add_nc_u64_e32 v[202:203], v[52:53], v[38:39]
	v_add_nc_u64_e32 v[204:205], v[54:55], v[38:39]
	global_load_u16 v33, v[202:203], off
	global_load_u16 v178, v[204:205], off
	s_wait_loadcnt 0x0
	v_dual_lshlrev_b32 v33, 16, v33 :: v_dual_lshlrev_b32 v178, 16, v178
	s_or_b32 exec_lo, exec_lo, s3
	s_and_saveexec_b32 s3, s2
	s_cbranch_execz .LBB189_134
.LBB189_140:                            ;   in Loop: Header=BB189_3 Depth=1
	v_add_nc_u64_e32 v[202:203], v[48:49], v[38:39]
	v_add_nc_u64_e32 v[204:205], v[50:51], v[38:39]
	global_load_u16 v34, v[202:203], off
	global_load_u16 v179, v[204:205], off
	s_wait_loadcnt 0x0
	v_dual_lshlrev_b32 v34, 16, v34 :: v_dual_lshlrev_b32 v179, 16, v179
	s_or_b32 exec_lo, exec_lo, s3
	v_mov_b32_e32 v203, 0
	s_and_saveexec_b32 s3, s2
	s_cbranch_execnz .LBB189_135
	s_branch .LBB189_136
.LBB189_141:
                                        ; implicit-def: $vgpr294
	s_load_b64 s[2:3], s[0:1], 0x30
	s_branch .LBB189_143
.LBB189_142:
	s_load_b64 s[2:3], s[0:1], 0x30
	s_cbranch_execnz .LBB189_219
.LBB189_143:
	s_set_vgpr_msb 64                       ;  msbs: dst=1 src0=0 src1=0 src2=0
	v_mov_b32_e32 v38 /*v294*/, 0
	s_and_not1_b32 vcc_lo, exec_lo, s31
	s_set_vgpr_msb 0                        ;  msbs: dst=0 src0=0 src1=0 src2=0
	s_cbranch_vccnz .LBB189_219
; %bb.144:
	v_bfe_u32 v1, v0, 10, 10
	v_mov_b32_e32 v2, 0
	s_set_vgpr_msb 64                       ;  msbs: dst=1 src0=0 src1=0 src2=0
	v_and_b32_e32 v50 /*v306*/, 0x3ff, v0
	s_load_b32 s18, s[0:1], 0x44
	s_mov_b32 s19, 0
	s_set_vgpr_msb 0                        ;  msbs: dst=0 src0=0 src1=0 src2=0
	v_dual_mov_b32 v5, v2 :: v_dual_lshlrev_b32 v4, 6, v1
	v_dual_mov_b32 v145, v2 :: v_dual_lshlrev_b32 v144, 5, v1
	s_mov_b32 s21, s19
	s_set_vgpr_msb 64                       ;  msbs: dst=1 src0=0 src1=0 src2=0
	v_mov_b32_e32 v51 /*v307*/, 0
	s_set_vgpr_msb 0                        ;  msbs: dst=0 src0=0 src1=0 src2=0
	v_lshl_add_u64 v[4:5], s[16:17], 1, v[4:5]
	s_add_nc_u64 s[22:23], s[0:1], 64
	s_mov_b64 s[24:25], s[16:17]
	s_delay_alu instid0(VALU_DEP_1)
	v_add_nc_u64_e32 v[6:7], 2, v[4:5]
	v_add_nc_u64_e32 v[8:9], 4, v[4:5]
	;; [unrolled: 1-line block ×7, first 2 shown]
	v_mad_nc_u64_u32 v[36:37], s6, v6, s[8:9]
	v_mul_lo_u32 v3, s6, v7
	v_mul_lo_u32 v7, s7, v6
	v_mad_nc_u64_u32 v[38:39], s6, v6, s[10:11]
	v_mad_nc_u64_u32 v[40:41], s6, v8, s[8:9]
	v_mul_lo_u32 v6, s6, v9
	v_mul_lo_u32 v9, s7, v8
	v_mad_nc_u64_u32 v[44:45], s6, v8, s[10:11]
	;; [unrolled: 4-line block ×4, first 2 shown]
	v_mad_nc_u64_u32 v[52:53], s6, v14, s[8:9]
	v_mul_lo_u32 v12, s6, v15
	v_add3_u32 v37, v7, v37, v3
	v_add3_u32 v39, v7, v39, v3
	v_mul_lo_u32 v3, s7, v14
	v_mad_nc_u64_u32 v[54:55], s6, v14, s[10:11]
	v_add3_u32 v41, v9, v41, v6
	v_add3_u32 v45, v9, v45, v6
	v_add_nc_u64_e32 v[6:7], 16, v[4:5]
	v_mul_lo_u32 v14, s7, v16
	v_mad_nc_u64_u32 v[56:57], s6, v16, s[8:9]
	v_mad_nc_u64_u32 v[58:59], s6, v16, s[10:11]
	v_mul_lo_u32 v15, s6, v19
	v_mul_lo_u32 v16, s7, v18
	v_mad_nc_u64_u32 v[60:61], s6, v18, s[8:9]
	v_mad_nc_u64_u32 v[62:63], s6, v18, s[10:11]
	v_add3_u32 v43, v11, v43, v8
	v_add3_u32 v47, v11, v47, v8
	;; [unrolled: 1-line block ×6, first 2 shown]
	v_mul_lo_u32 v3, s6, v7
	v_mul_lo_u32 v12, s7, v6
	v_mad_nc_u64_u32 v[64:65], s6, v6, s[8:9]
	v_add_nc_u64_e32 v[10:11], 20, v[4:5]
	v_mad_nc_u64_u32 v[66:67], s6, v6, s[10:11]
	v_add_nc_u64_e32 v[6:7], 22, v[4:5]
	v_mul_lo_u32 v9, s6, v17
	v_add3_u32 v61, v16, v61, v15
	v_add3_u32 v63, v16, v63, v15
	s_wait_kmcnt 0x0
	s_lshl_b32 s20, s18, 5
	v_mul_lo_u32 v11, s6, v11
	v_mul_lo_u32 v15, s7, v10
	v_mad_nc_u64_u32 v[72:73], s6, v10, s[8:9]
	v_mad_nc_u64_u32 v[74:75], s6, v10, s[10:11]
	v_mul_lo_u32 v10, s6, v7
	v_mul_lo_u32 v16, s7, v6
	v_mad_nc_u64_u32 v[76:77], s6, v6, s[8:9]
	v_mad_nc_u64_u32 v[78:79], s6, v6, s[10:11]
	v_add_nc_u64_e32 v[6:7], 26, v[4:5]
	v_add3_u32 v57, v14, v57, v9
	v_add3_u32 v59, v14, v59, v9
	v_add_nc_u64_e32 v[8:9], 18, v[4:5]
	v_add3_u32 v65, v12, v65, v3
	v_add3_u32 v67, v12, v67, v3
	;; [unrolled: 1-line block ×4, first 2 shown]
	v_mul_lo_u32 v3, s6, v7
	v_add3_u32 v77, v16, v77, v10
	v_add3_u32 v79, v16, v79, v10
	v_mul_lo_u32 v12, s7, v6
	v_mad_nc_u64_u32 v[84:85], s6, v6, s[8:9]
	v_add_nc_u64_e32 v[10:11], 30, v[4:5]
	v_mad_nc_u64_u32 v[86:87], s6, v6, s[10:11]
	v_add_nc_u64_e32 v[6:7], 32, v[4:5]
	v_mul_lo_u32 v13, s6, v9
	v_mul_lo_u32 v14, s7, v8
	v_mad_nc_u64_u32 v[68:69], s6, v8, s[8:9]
	v_mad_nc_u64_u32 v[70:71], s6, v8, s[10:11]
	v_add_nc_u64_e32 v[8:9], 24, v[4:5]
	v_mul_lo_u32 v11, s6, v11
	v_mul_lo_u32 v15, s7, v10
	v_mad_nc_u64_u32 v[92:93], s6, v10, s[8:9]
	v_mad_nc_u64_u32 v[94:95], s6, v10, s[10:11]
	v_mul_lo_u32 v10, s6, v7
	v_mul_lo_u32 v16, s7, v6
	v_mad_nc_u64_u32 v[96:97], s6, v6, s[8:9]
	v_mad_nc_u64_u32 v[98:99], s6, v6, s[10:11]
	v_add_nc_u64_e32 v[6:7], 36, v[4:5]
	v_mul_lo_u32 v17, s6, v9
	v_mul_lo_u32 v18, s7, v8
	v_mad_nc_u64_u32 v[80:81], s6, v8, s[8:9]
	v_mad_nc_u64_u32 v[82:83], s6, v8, s[10:11]
	v_add_nc_u64_e32 v[8:9], 28, v[4:5]
	v_add3_u32 v85, v12, v85, v3
	v_add3_u32 v87, v12, v87, v3
	;; [unrolled: 1-line block ×6, first 2 shown]
	v_mul_lo_u32 v3, s6, v7
	v_mul_lo_u32 v12, s7, v6
	v_mad_nc_u64_u32 v[104:105], s6, v6, s[8:9]
	v_add_nc_u64_e32 v[10:11], 40, v[4:5]
	v_mad_nc_u64_u32 v[106:107], s6, v6, s[10:11]
	v_add_nc_u64_e32 v[6:7], 42, v[4:5]
	v_add3_u32 v69, v14, v69, v13
	v_add3_u32 v71, v14, v71, v13
	v_mul_lo_u32 v13, s6, v9
	v_mul_lo_u32 v14, s7, v8
	v_mad_nc_u64_u32 v[88:89], s6, v8, s[8:9]
	v_mad_nc_u64_u32 v[90:91], s6, v8, s[10:11]
	v_add_nc_u64_e32 v[8:9], 34, v[4:5]
	v_mul_lo_u32 v11, s6, v11
	v_mul_lo_u32 v15, s7, v10
	v_mad_nc_u64_u32 v[112:113], s6, v10, s[8:9]
	v_mad_nc_u64_u32 v[114:115], s6, v10, s[10:11]
	v_mul_lo_u32 v10, s6, v7
	v_mul_lo_u32 v16, s7, v6
	v_mad_nc_u64_u32 v[116:117], s6, v6, s[8:9]
	v_mad_nc_u64_u32 v[118:119], s6, v6, s[10:11]
	v_add3_u32 v81, v18, v81, v17
	v_add3_u32 v83, v18, v83, v17
	v_mul_lo_u32 v17, s6, v9
	v_mul_lo_u32 v18, s7, v8
	v_mad_nc_u64_u32 v[100:101], s6, v8, s[8:9]
	v_mad_nc_u64_u32 v[102:103], s6, v8, s[10:11]
	v_add_nc_u64_e32 v[8:9], 38, v[4:5]
	v_add_nc_u64_e32 v[6:7], 46, v[4:5]
	v_add3_u32 v89, v14, v89, v13
	v_add3_u32 v91, v14, v91, v13
	;; [unrolled: 1-line block ×5, first 2 shown]
	v_mul_lo_u32 v13, s6, v9
	v_mul_lo_u32 v14, s7, v8
	v_mad_nc_u64_u32 v[108:109], s6, v8, s[8:9]
	v_mad_nc_u64_u32 v[110:111], s6, v8, s[10:11]
	v_add_nc_u64_e32 v[8:9], 44, v[4:5]
	v_add3_u32 v115, v15, v115, v11
	v_add3_u32 v117, v16, v117, v10
	;; [unrolled: 1-line block ×3, first 2 shown]
	v_mul_lo_u32 v3, s6, v7
	v_mul_lo_u32 v12, s7, v6
	v_mad_nc_u64_u32 v[124:125], s6, v6, s[8:9]
	v_add_nc_u64_e32 v[10:11], 50, v[4:5]
	v_mad_nc_u64_u32 v[126:127], s6, v6, s[10:11]
	v_add_nc_u64_e32 v[6:7], 52, v[4:5]
	v_add3_u32 v101, v18, v101, v17
	v_add3_u32 v103, v18, v103, v17
	v_mul_lo_u32 v17, s6, v9
	v_mul_lo_u32 v18, s7, v8
	v_mad_nc_u64_u32 v[120:121], s6, v8, s[8:9]
	v_mad_nc_u64_u32 v[122:123], s6, v8, s[10:11]
	v_add_nc_u64_e32 v[8:9], 48, v[4:5]
	v_mul_lo_u32 v11, s6, v11
	v_mul_lo_u32 v15, s7, v10
	v_mad_nc_u64_u32 v[132:133], s6, v10, s[8:9]
	v_mad_nc_u64_u32 v[134:135], s6, v10, s[10:11]
	v_mul_lo_u32 v10, s6, v7
	v_mul_lo_u32 v16, s7, v6
	v_mad_nc_u64_u32 v[136:137], s6, v6, s[8:9]
	v_mad_nc_u64_u32 v[138:139], s6, v6, s[10:11]
	v_add3_u32 v109, v14, v109, v13
	v_add3_u32 v111, v14, v111, v13
	v_mul_lo_u32 v13, s6, v9
	v_mul_lo_u32 v14, s7, v8
	v_mad_nc_u64_u32 v[128:129], s6, v8, s[8:9]
	v_mad_nc_u64_u32 v[130:131], s6, v8, s[10:11]
	v_add_nc_u64_e32 v[8:9], 54, v[4:5]
	v_add3_u32 v121, v18, v121, v17
	v_add3_u32 v123, v18, v123, v17
	;; [unrolled: 1-line block ×6, first 2 shown]
	v_mul_lo_u32 v9, s6, v9
	v_mul_lo_u32 v17, s7, v8
	v_mad_nc_u64_u32 v[140:141], s6, v8, s[8:9]
	v_mad_nc_u64_u32 v[142:143], s6, v8, s[10:11]
	v_add_nc_u64_e32 v[10:11], s[16:17], v[144:145]
	v_add3_u32 v129, v14, v129, v13
	v_add3_u32 v131, v14, v131, v13
	v_add_nc_u64_e32 v[6:7], 56, v[4:5]
	v_add3_u32 v125, v12, v125, v3
	v_add3_u32 v127, v12, v127, v3
	v_add_nc_u64_e32 v[12:13], 60, v[4:5]
	v_mul_u64_e32 v[14:15], s[6:7], v[10:11]
	v_add_nc_u64_e32 v[26:27], 23, v[10:11]
	v_add3_u32 v141, v17, v141, v9
	v_add3_u32 v143, v17, v143, v9
	v_add_nc_u64_e32 v[8:9], 58, v[4:5]
	v_mul_lo_u32 v3, s6, v7
	v_mul_lo_u32 v18, s7, v6
	v_mad_nc_u64_u32 v[146:147], s6, v6, s[8:9]
	v_mad_nc_u64_u32 v[148:149], s6, v6, s[10:11]
	v_add_nc_u64_e32 v[6:7], 31, v[10:11]
	v_add_nc_u64_e32 v[4:5], 62, v[4:5]
	v_mul_lo_u32 v19, s6, v9
	v_mul_lo_u32 v20, s7, v8
	v_mad_nc_u64_u32 v[150:151], s6, v8, s[8:9]
	v_mad_nc_u64_u32 v[152:153], s6, v8, s[10:11]
	v_add_nc_u64_e32 v[8:9], 30, v[10:11]
	v_mul_lo_u32 v21, s6, v13
	v_mul_lo_u32 v22, s7, v12
	v_mad_nc_u64_u32 v[154:155], s6, v12, s[8:9]
	v_mad_nc_u64_u32 v[156:157], s6, v12, s[10:11]
	v_add_nc_u64_e32 v[12:13], 29, v[10:11]
	v_add_nc_u64_e32 v[16:17], 28, v[10:11]
	v_mul_u64_e32 v[6:7], s[6:7], v[6:7]
	v_mul_u64_e32 v[8:9], s[6:7], v[8:9]
	v_mul_lo_u32 v23, s6, v5
	v_mul_lo_u32 v24, s7, v4
	v_mad_nc_u64_u32 v[158:159], s6, v4, s[8:9]
	v_mad_nc_u64_u32 v[160:161], s6, v4, s[10:11]
	v_mul_u64_e32 v[4:5], s[6:7], v[12:13]
	v_mul_u64_e32 v[12:13], s[6:7], v[16:17]
	s_set_vgpr_msb 4                        ;  msbs: dst=0 src0=0 src1=1 src2=0
	v_dual_mov_b32 v17, v2 :: v_dual_add_nc_u32 v16, s13, v50 /*v306*/
	s_set_vgpr_msb 0                        ;  msbs: dst=0 src0=0 src1=0 src2=0
	v_add3_u32 v151, v20, v151, v19
	v_add3_u32 v153, v20, v153, v19
	;; [unrolled: 1-line block ×4, first 2 shown]
	v_lshlrev_b64_e32 v[162:163], 1, v[16:17]
	v_add_nc_u64_e32 v[16:17], 26, v[10:11]
	v_add3_u32 v159, v24, v159, v23
	v_add3_u32 v161, v24, v161, v23
	v_add_nc_u64_e32 v[20:21], 25, v[10:11]
	v_lshlrev_b64_e32 v[22:23], 1, v[14:15]
	v_add3_u32 v147, v18, v147, v3
	v_add3_u32 v149, v18, v149, v3
	v_mul_u64_e32 v[16:17], s[6:7], v[16:17]
	v_add_nc_u64_e32 v[18:19], 27, v[10:11]
	v_mul_u64_e32 v[26:27], s[6:7], v[26:27]
	v_mul_u64_e32 v[20:21], s[6:7], v[20:21]
	v_add_nc_u64_e32 v[164:165], s[8:9], v[22:23]
	v_add_nc_u64_e32 v[166:167], s[10:11], v[22:23]
	;; [unrolled: 1-line block ×4, first 2 shown]
	v_mul_u64_e32 v[18:19], s[6:7], v[18:19]
	v_add_nc_u64_e32 v[30:31], 20, v[10:11]
	v_lshlrev_b64_e32 v[6:7], 1, v[6:7]
	v_lshlrev_b64_e32 v[8:9], 1, v[8:9]
	v_add_nc_u64_e32 v[32:33], 19, v[10:11]
	v_mul_u64_e32 v[22:23], s[6:7], v[22:23]
	v_mul_u64_e32 v[24:25], s[6:7], v[24:25]
	v_add_nc_u64_e32 v[28:29], 21, v[10:11]
	v_add_nc_u64_e32 v[34:35], 18, v[10:11]
	;; [unrolled: 1-line block ×4, first 2 shown]
	v_mul_u64_e32 v[6:7], s[6:7], v[30:31]
	v_add_nc_u64_e32 v[172:173], s[8:9], v[8:9]
	v_add_nc_u64_e32 v[174:175], s[10:11], v[8:9]
	v_mul_u64_e32 v[8:9], s[6:7], v[32:33]
	v_lshlrev_b64_e32 v[12:13], 1, v[12:13]
	v_lshlrev_b64_e32 v[4:5], 1, v[4:5]
	v_mul_u64_e32 v[28:29], s[6:7], v[28:29]
	v_add_nc_u64_e32 v[30:31], 17, v[10:11]
	v_mul_u64_e32 v[32:33], s[6:7], v[34:35]
	v_add_nc_u64_e32 v[34:35], 15, v[10:11]
	v_add_nc_u64_e32 v[180:181], s[8:9], v[12:13]
	;; [unrolled: 1-line block ×3, first 2 shown]
	v_lshlrev_b64_e32 v[12:13], 1, v[16:17]
	v_add_nc_u64_e32 v[176:177], s[8:9], v[4:5]
	v_add_nc_u64_e32 v[178:179], s[10:11], v[4:5]
	v_mul_u64_e32 v[4:5], s[6:7], v[30:31]
	v_add_nc_u64_e32 v[30:31], 16, v[10:11]
	v_lshlrev_b64_e32 v[16:17], 1, v[20:21]
	v_add_nc_u64_e32 v[188:189], s[8:9], v[12:13]
	v_add_nc_u64_e32 v[190:191], s[10:11], v[12:13]
	v_lshlrev_b64_e32 v[12:13], 1, v[26:27]
	v_lshlrev_b64_e32 v[18:19], 1, v[18:19]
	v_mul_u64_e32 v[20:21], s[6:7], v[30:31]
	v_add_nc_u64_e32 v[192:193], s[8:9], v[16:17]
	v_add_nc_u64_e32 v[194:195], s[10:11], v[16:17]
	v_lshlrev_b64_e32 v[16:17], 1, v[22:23]
	v_add_nc_u64_e32 v[22:23], 13, v[10:11]
	v_add_nc_u64_e32 v[200:201], s[8:9], v[12:13]
	;; [unrolled: 1-line block ×6, first 2 shown]
	v_lshlrev_b64_e32 v[18:19], 1, v[24:25]
	v_mul_u64_e32 v[22:23], s[6:7], v[22:23]
	v_lshlrev_b64_e32 v[6:7], 1, v[6:7]
	v_lshlrev_b64_e32 v[8:9], 1, v[8:9]
	v_mul_u64_e32 v[12:13], s[6:7], v[12:13]
	v_add_nc_u64_e32 v[24:25], 11, v[10:11]
	v_add_nc_u64_e32 v[204:205], s[8:9], v[16:17]
	;; [unrolled: 1-line block ×4, first 2 shown]
	v_lshlrev_b64_e32 v[18:19], 1, v[28:29]
	v_add_nc_u64_e32 v[206:207], s[10:11], v[16:17]
	v_lshlrev_b64_e32 v[16:17], 1, v[32:33]
	v_add_nc_u64_e32 v[212:213], s[8:9], v[6:7]
	v_add_nc_u64_e32 v[214:215], s[10:11], v[6:7]
	;; [unrolled: 1-line block ×4, first 2 shown]
	v_mul_u64_e32 v[24:25], s[6:7], v[24:25]
	v_add_nc_u64_e32 v[26:27], 9, v[10:11]
	v_add_nc_u64_e32 v[28:29], 8, v[10:11]
	;; [unrolled: 1-line block ×4, first 2 shown]
	v_lshlrev_b64_e32 v[4:5], 1, v[4:5]
	v_mul_u64_e32 v[6:7], s[6:7], v[6:7]
	v_add_nc_u64_e32 v[220:221], s[8:9], v[16:17]
	v_add_nc_u64_e32 v[222:223], s[10:11], v[16:17]
	v_mul_u64_e32 v[16:17], s[6:7], v[26:27]
	v_mul_u64_e32 v[26:27], s[6:7], v[28:29]
	v_add_nc_u64_e32 v[28:29], 6, v[10:11]
	v_mul_u64_e32 v[8:9], s[6:7], v[8:9]
	v_add_nc_u64_e32 v[32:33], 5, v[10:11]
	;; [unrolled: 2-line block ×3, first 2 shown]
	v_add_nc_u64_e32 v[210:211], s[10:11], v[18:19]
	v_add_nc_u64_e32 v[18:19], 12, v[10:11]
	;; [unrolled: 1-line block ×5, first 2 shown]
	v_lshlrev_b64_e32 v[20:21], 1, v[20:21]
	v_mul_u64_e32 v[28:29], s[6:7], v[28:29]
	v_mul_u64_e32 v[32:33], s[6:7], v[32:33]
	v_add_nc_u64_e32 v[34:35], 3, v[10:11]
	v_add_nc_u64_e32 v[10:11], 2, v[10:11]
	v_mul_u64_e32 v[18:19], s[6:7], v[18:19]
	v_mul_u64_e32 v[4:5], s[6:7], v[4:5]
	v_add_nc_u64_e32 v[228:229], s[8:9], v[20:21]
	v_add_nc_u64_e32 v[230:231], s[10:11], v[20:21]
	v_lshlrev_b64_e32 v[20:21], 1, v[22:23]
	v_mul_u64_e32 v[22:23], s[6:7], v[34:35]
	v_mul_u64_e32 v[10:11], s[6:7], v[10:11]
	v_lshlrev_b64_e32 v[12:13], 1, v[12:13]
	s_delay_alu instid0(VALU_DEP_4) | instskip(SKIP_2) | instid1(VALU_DEP_4)
	v_add_nc_u64_e32 v[240:241], s[8:9], v[20:21]
	v_lshlrev_b64_e32 v[6:7], 1, v[6:7]
	v_add_nc_u64_e32 v[242:243], s[10:11], v[20:21]
	v_add_nc_u64_e32 v[236:237], s[8:9], v[12:13]
	v_add_nc_u64_e32 v[238:239], s[10:11], v[12:13]
	v_lshlrev_b64_e32 v[12:13], 1, v[24:25]
	v_lshlrev_b64_e32 v[16:17], 1, v[16:17]
	;; [unrolled: 1-line block ×3, first 2 shown]
	v_add_nc_u64_e32 v[252:253], s[8:9], v[6:7]
	v_add_nc_u64_e32 v[254:255], s[10:11], v[6:7]
	v_lshlrev_b64_e32 v[30:31], 1, v[30:31]
	v_add_nc_u64_e32 v[248:249], s[8:9], v[12:13]
	v_add_nc_u64_e32 v[250:251], s[10:11], v[12:13]
	v_lshlrev_b64_e32 v[12:13], 1, v[26:27]
	s_set_vgpr_msb 64                       ;  msbs: dst=1 src0=0 src1=0 src2=0
	v_add_nc_u64_e32 v[8:9] /*v[264:265]*/, s[8:9], v[8:9]
	v_add_nc_u64_e32 v[10:11] /*v[266:267]*/, s[10:11], v[8:9]
	s_set_vgpr_msb 0                        ;  msbs: dst=0 src0=0 src1=0 src2=0
	v_lshlrev_b64_e32 v[6:7], 1, v[28:29]
	v_lshlrev_b64_e32 v[8:9], 1, v[32:33]
	v_add_nc_u64_e32 v[232:233], s[8:9], v[30:31]
	v_add_nc_u64_e32 v[234:235], s[10:11], v[30:31]
	s_set_vgpr_msb 64                       ;  msbs: dst=1 src0=0 src1=0 src2=0
	v_add_nc_u64_e32 v[4:5] /*v[260:261]*/, s[8:9], v[12:13]
	v_add_nc_u64_e32 v[6:7] /*v[262:263]*/, s[10:11], v[12:13]
	s_set_vgpr_msb 0                        ;  msbs: dst=0 src0=0 src1=0 src2=0
	v_add_nc_u64_e32 v[12:13], s[6:7], v[14:15]
	v_lshlrev_b64_e32 v[18:19], 1, v[18:19]
	v_lshlrev_b64_e32 v[4:5], 1, v[4:5]
	s_set_vgpr_msb 64                       ;  msbs: dst=1 src0=0 src1=0 src2=0
	v_add_nc_u64_e32 v[12:13] /*v[268:269]*/, s[8:9], v[6:7]
	v_add_nc_u64_e32 v[14:15] /*v[270:271]*/, s[10:11], v[6:7]
	s_set_vgpr_msb 0                        ;  msbs: dst=0 src0=0 src1=0 src2=0
	v_lshlrev_b64_e32 v[6:7], 1, v[22:23]
	v_lshlrev_b64_e32 v[10:11], 1, v[10:11]
	s_set_vgpr_msb 64                       ;  msbs: dst=1 src0=0 src1=0 src2=0
	v_add_nc_u64_e32 v[16:17] /*v[272:273]*/, s[8:9], v[8:9]
	v_add_nc_u64_e32 v[18:19] /*v[274:275]*/, s[10:11], v[8:9]
	s_set_vgpr_msb 0                        ;  msbs: dst=0 src0=0 src1=0 src2=0
	v_lshlrev_b64_e32 v[8:9], 1, v[12:13]
	v_add_nc_u64_e32 v[244:245], s[8:9], v[18:19]
	v_add_nc_u64_e32 v[246:247], s[10:11], v[18:19]
	s_set_vgpr_msb 64                       ;  msbs: dst=1 src0=0 src1=0 src2=0
	v_add_nc_u64_e32 v[0:1] /*v[256:257]*/, s[8:9], v[16:17]
	v_add_nc_u64_e32 v[2:3] /*v[258:259]*/, s[10:11], v[16:17]
	;; [unrolled: 1-line block ×10, first 2 shown]
	s_mul_u64 s[8:9], s[6:7], s[20:21]
	s_mov_b64 s[10:11], 31
	s_lshl_b64 s[8:9], s[8:9], 1
.LBB189_145:                            ; =>This Inner Loop Header: Depth=1
	s_add_nc_u64 s[26:27], s[16:17], s[10:11]
	s_set_vgpr_msb 64                       ;  msbs: dst=1 src0=0 src1=0 src2=0
	v_add_nc_u64_e32 v[36:37] /*v[292:293]*/, s[16:17], v[144:145]
	v_cmp_ge_i64_e64 s13, s[26:27], s[4:5]
                                        ; implicit-def: $vgpr294
	s_and_b32 vcc_lo, exec_lo, s13
	s_mov_b32 s13, -1
	s_set_vgpr_msb 0                        ;  msbs: dst=0 src0=0 src1=0 src2=0
	s_cbranch_vccz .LBB189_213
; %bb.146:                              ;   in Loop: Header=BB189_145 Depth=1
	s_load_b32 s13, s[22:23], 0xc
	s_set_vgpr_msb 64                       ;  msbs: dst=1 src0=0 src1=0 src2=0
	v_dual_mov_b32 v53 /*v309*/, 0 :: v_dual_mov_b32 v52 /*v308*/, 0
	s_set_vgpr_msb 16                       ;  msbs: dst=0 src0=0 src1=0 src2=1
	v_mov_b32_e32 v5, v2
	s_wait_kmcnt 0x0
	s_and_b32 s13, s13, 0xffff
	s_delay_alu instid0(SALU_CYCLE_1) | instskip(SKIP_1) | instid1(VALU_DEP_1)
	v_mad_u32_u24 v3, v1, s13, v50 /*v306*/
	s_mov_b32 s13, exec_lo
	v_and_b32_e32 v4, 31, v3
	s_set_vgpr_msb 1                        ;  msbs: dst=0 src0=1 src1=0 src2=0
	s_delay_alu instid0(VALU_DEP_1) | instskip(NEXT) | instid1(VALU_DEP_1)
	v_add_nc_u64_e32 v[4:5], v[36:37] /*v[292:293]*/, v[4:5]
	v_cmpx_gt_i64_e64 s[4:5], v[4:5]
	s_set_vgpr_msb 0                        ;  msbs: dst=0 src0=0 src1=0 src2=0
	s_cbranch_execz .LBB189_148
; %bb.147:                              ;   in Loop: Header=BB189_145 Depth=1
	v_lshl_add_u64 v[4:5], v[4:5], 2, s[14:15]
	s_set_vgpr_msb 64                       ;  msbs: dst=1 src0=0 src1=0 src2=0
	global_load_b32 v52 /*v308*/, v[4:5], off
.LBB189_148:                            ;   in Loop: Header=BB189_145 Depth=1
	s_wait_xcnt 0x0
	s_or_b32 exec_lo, exec_lo, s13
	s_set_vgpr_msb 4                        ;  msbs: dst=0 src0=0 src1=1 src2=0
	v_dual_mov_b32 v31, v2 :: v_dual_mov_b32 v32, v2
	v_dual_mov_b32 v33, v2 :: v_dual_mov_b32 v3, v2
	;; [unrolled: 1-line block ×15, first 2 shown]
	v_mov_b32_e32 v30, v2
	v_mov_b64_e32 v[34:35], v[32:33]
	s_delay_alu instid0(VALU_DEP_2) | instskip(NEXT) | instid1(VALU_DEP_4)
	v_mov_b64_e32 v[32:33], v[30:31]
	v_mov_b64_e32 v[30:31], v[28:29]
	;; [unrolled: 1-line block ×15, first 2 shown]
	s_mov_b32 s13, exec_lo
	v_cmpx_gt_i64_e64 s[4:5], v[36:37] /*v[292:293]*/
	s_set_vgpr_msb 0                        ;  msbs: dst=0 src0=0 src1=0 src2=0
	s_cbranch_execz .LBB189_150
; %bb.149:                              ;   in Loop: Header=BB189_145 Depth=1
	v_add_nc_u64_e32 v[4:5], v[164:165], v[162:163]
	v_add_nc_u64_e32 v[6:7], v[166:167], v[162:163]
	v_dual_mov_b32 v9, v2 :: v_dual_mov_b32 v10, v2
	v_dual_mov_b32 v11, v2 :: v_dual_mov_b32 v12, v2
	;; [unrolled: 1-line block ×3, first 2 shown]
	global_load_u16 v3, v[4:5], off
	s_set_vgpr_msb 64                       ;  msbs: dst=1 src0=0 src1=0 src2=0
	global_load_u16 v38 /*v294*/, v[6:7], off
	s_wait_xcnt 0x0
	s_set_vgpr_msb 0                        ;  msbs: dst=0 src0=0 src1=0 src2=0
	v_dual_mov_b32 v5, v2 :: v_dual_mov_b32 v6, v2
	v_dual_mov_b32 v7, v2 :: v_dual_mov_b32 v8, v2
	;; [unrolled: 1-line block ×12, first 2 shown]
	s_wait_loadcnt 0x1
	v_dual_mov_b32 v35, v2 :: v_dual_lshlrev_b32 v4, 16, v3
	s_wait_loadcnt 0x0
	s_set_vgpr_msb 0x44                     ;  msbs: dst=1 src0=0 src1=1 src2=0
	v_lshlrev_b32_e32 v53 /*v309*/, 16, v38 /*v294*/
.LBB189_150:                            ;   in Loop: Header=BB189_145 Depth=1
	s_or_b32 exec_lo, exec_lo, s13
	s_set_vgpr_msb 0x44                     ;  msbs: dst=1 src0=0 src1=1 src2=0
	v_add_nc_u64_e32 v[38:39] /*v[294:295]*/, 1, v[36:37] /*v[292:293]*/
	s_set_vgpr_msb 0                        ;  msbs: dst=0 src0=0 src1=0 src2=0
	v_mov_b32_e32 v3, 0
	s_set_vgpr_msb 64                       ;  msbs: dst=1 src0=0 src1=0 src2=0
	v_mov_b32_e32 v54 /*v310*/, 0
	s_mov_b32 s13, exec_lo
	s_set_vgpr_msb 4                        ;  msbs: dst=0 src0=0 src1=1 src2=0
	v_cmpx_gt_i64_e64 s[4:5], v[38:39] /*v[294:295]*/
	s_set_vgpr_msb 0                        ;  msbs: dst=0 src0=0 src1=0 src2=0
	s_cbranch_execz .LBB189_152
; %bb.151:                              ;   in Loop: Header=BB189_145 Depth=1
	s_set_vgpr_msb 0x41                     ;  msbs: dst=1 src0=1 src1=0 src2=0
	v_add_nc_u64_e32 v[38:39] /*v[294:295]*/, v[32:33] /*v[288:289]*/, v[162:163]
	v_add_nc_u64_e32 v[40:41] /*v[296:297]*/, v[34:35] /*v[290:291]*/, v[162:163]
	s_set_vgpr_msb 1                        ;  msbs: dst=0 src0=1 src1=0 src2=0
	global_load_u16 v5, v[38:39] /*v[294:295]*/, off
	s_set_vgpr_msb 0x41                     ;  msbs: dst=1 src0=1 src1=0 src2=0
	global_load_u16 v42 /*v298*/, v[40:41] /*v[296:297]*/, off
	s_wait_loadcnt 0x1
	s_set_vgpr_msb 0                        ;  msbs: dst=0 src0=0 src1=0 src2=0
	v_lshlrev_b32_e32 v5, 16, v5
	s_wait_loadcnt 0x0
	s_set_vgpr_msb 0x44                     ;  msbs: dst=1 src0=0 src1=1 src2=0
	v_lshlrev_b32_e32 v54 /*v310*/, 16, v42 /*v298*/
.LBB189_152:                            ;   in Loop: Header=BB189_145 Depth=1
	s_or_b32 exec_lo, exec_lo, s13
	s_set_vgpr_msb 0x44                     ;  msbs: dst=1 src0=0 src1=1 src2=0
	v_add_nc_u64_e32 v[38:39] /*v[294:295]*/, 2, v[36:37] /*v[292:293]*/
	s_mov_b32 s13, exec_lo
	s_delay_alu instid0(VALU_DEP_1)
	v_cmpx_gt_i64_e64 s[4:5], v[38:39] /*v[294:295]*/
	s_set_vgpr_msb 0                        ;  msbs: dst=0 src0=0 src1=0 src2=0
	s_cbranch_execz .LBB189_154
; %bb.153:                              ;   in Loop: Header=BB189_145 Depth=1
	s_set_vgpr_msb 0x41                     ;  msbs: dst=1 src0=1 src1=0 src2=0
	v_add_nc_u64_e32 v[38:39] /*v[294:295]*/, v[28:29] /*v[284:285]*/, v[162:163]
	v_add_nc_u64_e32 v[40:41] /*v[296:297]*/, v[30:31] /*v[286:287]*/, v[162:163]
	s_set_vgpr_msb 1                        ;  msbs: dst=0 src0=1 src1=0 src2=0
	global_load_u16 v3, v[38:39] /*v[294:295]*/, off
	s_set_vgpr_msb 0x41                     ;  msbs: dst=1 src0=1 src1=0 src2=0
	global_load_u16 v42 /*v298*/, v[40:41] /*v[296:297]*/, off
	s_wait_loadcnt 0x1
	s_set_vgpr_msb 0                        ;  msbs: dst=0 src0=0 src1=0 src2=0
	v_lshlrev_b32_e32 v6, 16, v3
	s_wait_loadcnt 0x0
	s_set_vgpr_msb 4                        ;  msbs: dst=0 src0=0 src1=1 src2=0
	v_lshlrev_b32_e32 v3, 16, v42 /*v298*/
.LBB189_154:                            ;   in Loop: Header=BB189_145 Depth=1
	s_or_b32 exec_lo, exec_lo, s13
	s_set_vgpr_msb 0x44                     ;  msbs: dst=1 src0=0 src1=1 src2=0
	v_add_nc_u64_e32 v[38:39] /*v[294:295]*/, 3, v[36:37] /*v[292:293]*/
	v_dual_mov_b32 v55 /*v311*/, 0 :: v_dual_mov_b32 v56 /*v312*/, 0
	s_mov_b32 s13, exec_lo
	s_delay_alu instid0(VALU_DEP_2)
	v_cmpx_gt_i64_e64 s[4:5], v[38:39] /*v[294:295]*/
	s_set_vgpr_msb 0                        ;  msbs: dst=0 src0=0 src1=0 src2=0
	s_cbranch_execz .LBB189_156
; %bb.155:                              ;   in Loop: Header=BB189_145 Depth=1
	s_set_vgpr_msb 0x41                     ;  msbs: dst=1 src0=1 src1=0 src2=0
	v_add_nc_u64_e32 v[38:39] /*v[294:295]*/, v[24:25] /*v[280:281]*/, v[162:163]
	v_add_nc_u64_e32 v[40:41] /*v[296:297]*/, v[26:27] /*v[282:283]*/, v[162:163]
	s_set_vgpr_msb 1                        ;  msbs: dst=0 src0=1 src1=0 src2=0
	global_load_u16 v7, v[38:39] /*v[294:295]*/, off
	s_set_vgpr_msb 0x41                     ;  msbs: dst=1 src0=1 src1=0 src2=0
	global_load_u16 v42 /*v298*/, v[40:41] /*v[296:297]*/, off
	s_wait_loadcnt 0x1
	s_set_vgpr_msb 0                        ;  msbs: dst=0 src0=0 src1=0 src2=0
	v_lshlrev_b32_e32 v7, 16, v7
	s_wait_loadcnt 0x0
	s_set_vgpr_msb 0x44                     ;  msbs: dst=1 src0=0 src1=1 src2=0
	v_lshlrev_b32_e32 v56 /*v312*/, 16, v42 /*v298*/
.LBB189_156:                            ;   in Loop: Header=BB189_145 Depth=1
	s_or_b32 exec_lo, exec_lo, s13
	s_set_vgpr_msb 0x44                     ;  msbs: dst=1 src0=0 src1=1 src2=0
	v_add_nc_u64_e32 v[38:39] /*v[294:295]*/, 4, v[36:37] /*v[292:293]*/
	s_mov_b32 s13, exec_lo
	s_delay_alu instid0(VALU_DEP_1)
	v_cmpx_gt_i64_e64 s[4:5], v[38:39] /*v[294:295]*/
	s_set_vgpr_msb 0                        ;  msbs: dst=0 src0=0 src1=0 src2=0
	s_cbranch_execz .LBB189_158
; %bb.157:                              ;   in Loop: Header=BB189_145 Depth=1
	s_set_vgpr_msb 0x41                     ;  msbs: dst=1 src0=1 src1=0 src2=0
	v_add_nc_u64_e32 v[38:39] /*v[294:295]*/, v[20:21] /*v[276:277]*/, v[162:163]
	v_add_nc_u64_e32 v[40:41] /*v[296:297]*/, v[22:23] /*v[278:279]*/, v[162:163]
	s_set_vgpr_msb 1                        ;  msbs: dst=0 src0=1 src1=0 src2=0
	global_load_u16 v8, v[38:39] /*v[294:295]*/, off
	s_set_vgpr_msb 0x41                     ;  msbs: dst=1 src0=1 src1=0 src2=0
	global_load_u16 v42 /*v298*/, v[40:41] /*v[296:297]*/, off
	s_wait_loadcnt 0x1
	s_set_vgpr_msb 0                        ;  msbs: dst=0 src0=0 src1=0 src2=0
	v_lshlrev_b32_e32 v8, 16, v8
	s_wait_loadcnt 0x0
	s_set_vgpr_msb 0x44                     ;  msbs: dst=1 src0=0 src1=1 src2=0
	v_lshlrev_b32_e32 v55 /*v311*/, 16, v42 /*v298*/
.LBB189_158:                            ;   in Loop: Header=BB189_145 Depth=1
	s_or_b32 exec_lo, exec_lo, s13
	s_set_vgpr_msb 0x44                     ;  msbs: dst=1 src0=0 src1=1 src2=0
	v_add_nc_u64_e32 v[38:39] /*v[294:295]*/, 5, v[36:37] /*v[292:293]*/
	v_dual_mov_b32 v57 /*v313*/, 0 :: v_dual_mov_b32 v58 /*v314*/, 0
	s_mov_b32 s13, exec_lo
	s_delay_alu instid0(VALU_DEP_2)
	v_cmpx_gt_i64_e64 s[4:5], v[38:39] /*v[294:295]*/
	s_set_vgpr_msb 0                        ;  msbs: dst=0 src0=0 src1=0 src2=0
	s_cbranch_execz .LBB189_160
; %bb.159:                              ;   in Loop: Header=BB189_145 Depth=1
	s_set_vgpr_msb 0x41                     ;  msbs: dst=1 src0=1 src1=0 src2=0
	v_add_nc_u64_e32 v[38:39] /*v[294:295]*/, v[16:17] /*v[272:273]*/, v[162:163]
	v_add_nc_u64_e32 v[40:41] /*v[296:297]*/, v[18:19] /*v[274:275]*/, v[162:163]
	s_set_vgpr_msb 1                        ;  msbs: dst=0 src0=1 src1=0 src2=0
	global_load_u16 v9, v[38:39] /*v[294:295]*/, off
	s_set_vgpr_msb 0x41                     ;  msbs: dst=1 src0=1 src1=0 src2=0
	global_load_u16 v42 /*v298*/, v[40:41] /*v[296:297]*/, off
	s_wait_loadcnt 0x1
	s_set_vgpr_msb 0                        ;  msbs: dst=0 src0=0 src1=0 src2=0
	v_lshlrev_b32_e32 v9, 16, v9
	s_wait_loadcnt 0x0
	s_set_vgpr_msb 0x44                     ;  msbs: dst=1 src0=0 src1=1 src2=0
	v_lshlrev_b32_e32 v58 /*v314*/, 16, v42 /*v298*/
.LBB189_160:                            ;   in Loop: Header=BB189_145 Depth=1
	s_or_b32 exec_lo, exec_lo, s13
	s_set_vgpr_msb 0x44                     ;  msbs: dst=1 src0=0 src1=1 src2=0
	v_add_nc_u64_e32 v[38:39] /*v[294:295]*/, 6, v[36:37] /*v[292:293]*/
	s_mov_b32 s13, exec_lo
	s_delay_alu instid0(VALU_DEP_1)
	v_cmpx_gt_i64_e64 s[4:5], v[38:39] /*v[294:295]*/
	s_set_vgpr_msb 0                        ;  msbs: dst=0 src0=0 src1=0 src2=0
	s_cbranch_execz .LBB189_162
; %bb.161:                              ;   in Loop: Header=BB189_145 Depth=1
	s_set_vgpr_msb 0x41                     ;  msbs: dst=1 src0=1 src1=0 src2=0
	v_add_nc_u64_e32 v[38:39] /*v[294:295]*/, v[12:13] /*v[268:269]*/, v[162:163]
	v_add_nc_u64_e32 v[40:41] /*v[296:297]*/, v[14:15] /*v[270:271]*/, v[162:163]
	s_set_vgpr_msb 1                        ;  msbs: dst=0 src0=1 src1=0 src2=0
	global_load_u16 v10, v[38:39] /*v[294:295]*/, off
	s_set_vgpr_msb 0x41                     ;  msbs: dst=1 src0=1 src1=0 src2=0
	global_load_u16 v42 /*v298*/, v[40:41] /*v[296:297]*/, off
	s_wait_loadcnt 0x1
	s_set_vgpr_msb 0                        ;  msbs: dst=0 src0=0 src1=0 src2=0
	v_lshlrev_b32_e32 v10, 16, v10
	s_wait_loadcnt 0x0
	s_set_vgpr_msb 0x44                     ;  msbs: dst=1 src0=0 src1=1 src2=0
	v_lshlrev_b32_e32 v57 /*v313*/, 16, v42 /*v298*/
.LBB189_162:                            ;   in Loop: Header=BB189_145 Depth=1
	;; [unrolled: 47-line block ×3, first 2 shown]
	s_or_b32 exec_lo, exec_lo, s13
	s_set_vgpr_msb 0x44                     ;  msbs: dst=1 src0=0 src1=1 src2=0
	v_add_nc_u64_e32 v[38:39] /*v[294:295]*/, 9, v[36:37] /*v[292:293]*/
	v_dual_mov_b32 v61 /*v317*/, 0 :: v_dual_mov_b32 v62 /*v318*/, 0
	s_mov_b32 s13, exec_lo
	s_delay_alu instid0(VALU_DEP_2)
	v_cmpx_gt_i64_e64 s[4:5], v[38:39] /*v[294:295]*/
	s_set_vgpr_msb 0                        ;  msbs: dst=0 src0=0 src1=0 src2=0
	s_cbranch_execz .LBB189_168
; %bb.167:                              ;   in Loop: Header=BB189_145 Depth=1
	s_set_vgpr_msb 0x41                     ;  msbs: dst=1 src0=1 src1=0 src2=0
	v_add_nc_u64_e32 v[38:39] /*v[294:295]*/, v[0:1] /*v[256:257]*/, v[162:163]
	v_add_nc_u64_e32 v[40:41] /*v[296:297]*/, v[2:3] /*v[258:259]*/, v[162:163]
	s_set_vgpr_msb 1                        ;  msbs: dst=0 src0=1 src1=0 src2=0
	global_load_u16 v13, v[38:39] /*v[294:295]*/, off
	s_set_vgpr_msb 0x41                     ;  msbs: dst=1 src0=1 src1=0 src2=0
	global_load_u16 v42 /*v298*/, v[40:41] /*v[296:297]*/, off
	s_wait_loadcnt 0x1
	s_set_vgpr_msb 0                        ;  msbs: dst=0 src0=0 src1=0 src2=0
	v_lshlrev_b32_e32 v13, 16, v13
	s_wait_loadcnt 0x0
	s_set_vgpr_msb 0x44                     ;  msbs: dst=1 src0=0 src1=1 src2=0
	v_lshlrev_b32_e32 v62 /*v318*/, 16, v42 /*v298*/
.LBB189_168:                            ;   in Loop: Header=BB189_145 Depth=1
	s_or_b32 exec_lo, exec_lo, s13
	s_set_vgpr_msb 0x44                     ;  msbs: dst=1 src0=0 src1=1 src2=0
	v_add_nc_u64_e32 v[38:39] /*v[294:295]*/, 10, v[36:37] /*v[292:293]*/
	s_mov_b32 s13, exec_lo
	s_delay_alu instid0(VALU_DEP_1)
	v_cmpx_gt_i64_e64 s[4:5], v[38:39] /*v[294:295]*/
	s_set_vgpr_msb 0                        ;  msbs: dst=0 src0=0 src1=0 src2=0
	s_cbranch_execz .LBB189_170
; %bb.169:                              ;   in Loop: Header=BB189_145 Depth=1
	s_set_vgpr_msb 64                       ;  msbs: dst=1 src0=0 src1=0 src2=0
	v_add_nc_u64_e32 v[38:39] /*v[294:295]*/, v[252:253], v[162:163]
	v_add_nc_u64_e32 v[40:41] /*v[296:297]*/, v[254:255], v[162:163]
	s_set_vgpr_msb 1                        ;  msbs: dst=0 src0=1 src1=0 src2=0
	global_load_u16 v14, v[38:39] /*v[294:295]*/, off
	s_set_vgpr_msb 0x41                     ;  msbs: dst=1 src0=1 src1=0 src2=0
	global_load_u16 v42 /*v298*/, v[40:41] /*v[296:297]*/, off
	s_wait_loadcnt 0x1
	s_set_vgpr_msb 0                        ;  msbs: dst=0 src0=0 src1=0 src2=0
	v_lshlrev_b32_e32 v14, 16, v14
	s_wait_loadcnt 0x0
	s_set_vgpr_msb 0x44                     ;  msbs: dst=1 src0=0 src1=1 src2=0
	v_lshlrev_b32_e32 v61 /*v317*/, 16, v42 /*v298*/
.LBB189_170:                            ;   in Loop: Header=BB189_145 Depth=1
	s_or_b32 exec_lo, exec_lo, s13
	s_set_vgpr_msb 0x44                     ;  msbs: dst=1 src0=0 src1=1 src2=0
	v_add_nc_u64_e32 v[38:39] /*v[294:295]*/, 11, v[36:37] /*v[292:293]*/
	v_dual_mov_b32 v63 /*v319*/, 0 :: v_dual_mov_b32 v64 /*v320*/, 0
	s_mov_b32 s13, exec_lo
	s_delay_alu instid0(VALU_DEP_2)
	v_cmpx_gt_i64_e64 s[4:5], v[38:39] /*v[294:295]*/
	s_set_vgpr_msb 0                        ;  msbs: dst=0 src0=0 src1=0 src2=0
	s_cbranch_execz .LBB189_172
; %bb.171:                              ;   in Loop: Header=BB189_145 Depth=1
	s_set_vgpr_msb 64                       ;  msbs: dst=1 src0=0 src1=0 src2=0
	v_add_nc_u64_e32 v[38:39] /*v[294:295]*/, v[248:249], v[162:163]
	v_add_nc_u64_e32 v[40:41] /*v[296:297]*/, v[250:251], v[162:163]
	s_set_vgpr_msb 1                        ;  msbs: dst=0 src0=1 src1=0 src2=0
	global_load_u16 v15, v[38:39] /*v[294:295]*/, off
	s_set_vgpr_msb 0x41                     ;  msbs: dst=1 src0=1 src1=0 src2=0
	global_load_u16 v42 /*v298*/, v[40:41] /*v[296:297]*/, off
	s_wait_loadcnt 0x1
	s_set_vgpr_msb 0                        ;  msbs: dst=0 src0=0 src1=0 src2=0
	v_lshlrev_b32_e32 v15, 16, v15
	s_wait_loadcnt 0x0
	s_set_vgpr_msb 0x44                     ;  msbs: dst=1 src0=0 src1=1 src2=0
	v_lshlrev_b32_e32 v64 /*v320*/, 16, v42 /*v298*/
.LBB189_172:                            ;   in Loop: Header=BB189_145 Depth=1
	s_or_b32 exec_lo, exec_lo, s13
	s_set_vgpr_msb 0x44                     ;  msbs: dst=1 src0=0 src1=1 src2=0
	v_add_nc_u64_e32 v[38:39] /*v[294:295]*/, 12, v[36:37] /*v[292:293]*/
	s_mov_b32 s13, exec_lo
	s_delay_alu instid0(VALU_DEP_1)
	v_cmpx_gt_i64_e64 s[4:5], v[38:39] /*v[294:295]*/
	s_set_vgpr_msb 0                        ;  msbs: dst=0 src0=0 src1=0 src2=0
	s_cbranch_execz .LBB189_174
; %bb.173:                              ;   in Loop: Header=BB189_145 Depth=1
	s_set_vgpr_msb 64                       ;  msbs: dst=1 src0=0 src1=0 src2=0
	v_add_nc_u64_e32 v[38:39] /*v[294:295]*/, v[244:245], v[162:163]
	v_add_nc_u64_e32 v[40:41] /*v[296:297]*/, v[246:247], v[162:163]
	s_set_vgpr_msb 1                        ;  msbs: dst=0 src0=1 src1=0 src2=0
	global_load_u16 v16, v[38:39] /*v[294:295]*/, off
	s_set_vgpr_msb 0x41                     ;  msbs: dst=1 src0=1 src1=0 src2=0
	global_load_u16 v42 /*v298*/, v[40:41] /*v[296:297]*/, off
	s_wait_loadcnt 0x1
	s_set_vgpr_msb 0                        ;  msbs: dst=0 src0=0 src1=0 src2=0
	v_lshlrev_b32_e32 v16, 16, v16
	s_wait_loadcnt 0x0
	s_set_vgpr_msb 0x44                     ;  msbs: dst=1 src0=0 src1=1 src2=0
	v_lshlrev_b32_e32 v63 /*v319*/, 16, v42 /*v298*/
.LBB189_174:                            ;   in Loop: Header=BB189_145 Depth=1
	s_or_b32 exec_lo, exec_lo, s13
	s_set_vgpr_msb 0x44                     ;  msbs: dst=1 src0=0 src1=1 src2=0
	v_add_nc_u64_e32 v[38:39] /*v[294:295]*/, 13, v[36:37] /*v[292:293]*/
	v_dual_mov_b32 v65 /*v321*/, 0 :: v_dual_mov_b32 v66 /*v322*/, 0
	s_mov_b32 s13, exec_lo
	s_delay_alu instid0(VALU_DEP_2)
	v_cmpx_gt_i64_e64 s[4:5], v[38:39] /*v[294:295]*/
	s_set_vgpr_msb 0                        ;  msbs: dst=0 src0=0 src1=0 src2=0
	s_cbranch_execz .LBB189_176
; %bb.175:                              ;   in Loop: Header=BB189_145 Depth=1
	s_set_vgpr_msb 64                       ;  msbs: dst=1 src0=0 src1=0 src2=0
	v_add_nc_u64_e32 v[38:39] /*v[294:295]*/, v[240:241], v[162:163]
	v_add_nc_u64_e32 v[40:41] /*v[296:297]*/, v[242:243], v[162:163]
	s_set_vgpr_msb 1                        ;  msbs: dst=0 src0=1 src1=0 src2=0
	global_load_u16 v17, v[38:39] /*v[294:295]*/, off
	s_set_vgpr_msb 0x41                     ;  msbs: dst=1 src0=1 src1=0 src2=0
	global_load_u16 v42 /*v298*/, v[40:41] /*v[296:297]*/, off
	s_wait_loadcnt 0x1
	s_set_vgpr_msb 0                        ;  msbs: dst=0 src0=0 src1=0 src2=0
	v_lshlrev_b32_e32 v17, 16, v17
	s_wait_loadcnt 0x0
	s_set_vgpr_msb 0x44                     ;  msbs: dst=1 src0=0 src1=1 src2=0
	v_lshlrev_b32_e32 v66 /*v322*/, 16, v42 /*v298*/
.LBB189_176:                            ;   in Loop: Header=BB189_145 Depth=1
	;; [unrolled: 47-line block ×4, first 2 shown]
	s_or_b32 exec_lo, exec_lo, s13
	s_set_vgpr_msb 0x44                     ;  msbs: dst=1 src0=0 src1=1 src2=0
	v_add_nc_u64_e32 v[38:39] /*v[294:295]*/, 18, v[36:37] /*v[292:293]*/
	s_mov_b32 s13, exec_lo
	s_delay_alu instid0(VALU_DEP_1)
	v_cmpx_gt_i64_e64 s[4:5], v[38:39] /*v[294:295]*/
	s_set_vgpr_msb 0                        ;  msbs: dst=0 src0=0 src1=0 src2=0
	s_cbranch_execz .LBB189_186
; %bb.185:                              ;   in Loop: Header=BB189_145 Depth=1
	s_set_vgpr_msb 64                       ;  msbs: dst=1 src0=0 src1=0 src2=0
	v_add_nc_u64_e32 v[38:39] /*v[294:295]*/, v[220:221], v[162:163]
	v_add_nc_u64_e32 v[40:41] /*v[296:297]*/, v[222:223], v[162:163]
	s_set_vgpr_msb 1                        ;  msbs: dst=0 src0=1 src1=0 src2=0
	global_load_u16 v22, v[38:39] /*v[294:295]*/, off
	s_set_vgpr_msb 0x41                     ;  msbs: dst=1 src0=1 src1=0 src2=0
	global_load_u16 v42 /*v298*/, v[40:41] /*v[296:297]*/, off
	s_wait_loadcnt 0x1
	s_set_vgpr_msb 0                        ;  msbs: dst=0 src0=0 src1=0 src2=0
	v_lshlrev_b32_e32 v22, 16, v22
	s_wait_loadcnt 0x0
	s_set_vgpr_msb 0x44                     ;  msbs: dst=1 src0=0 src1=1 src2=0
	v_lshlrev_b32_e32 v69 /*v325*/, 16, v42 /*v298*/
.LBB189_186:                            ;   in Loop: Header=BB189_145 Depth=1
	s_or_b32 exec_lo, exec_lo, s13
	s_set_vgpr_msb 0x44                     ;  msbs: dst=1 src0=0 src1=1 src2=0
	v_add_nc_u64_e32 v[38:39] /*v[294:295]*/, 19, v[36:37] /*v[292:293]*/
	v_mov_b32_e32 v71 /*v327*/, 0
	s_delay_alu instid0(VALU_DEP_2)
	v_cmp_gt_i64_e32 vcc_lo, s[4:5], v[38:39] /*v[294:295]*/
	v_mov_b32_e32 v38 /*v294*/, 0
	s_and_saveexec_b32 s13, vcc_lo
	s_set_vgpr_msb 0                        ;  msbs: dst=0 src0=0 src1=0 src2=0
	s_cbranch_execz .LBB189_188
; %bb.187:                              ;   in Loop: Header=BB189_145 Depth=1
	s_set_vgpr_msb 64                       ;  msbs: dst=1 src0=0 src1=0 src2=0
	v_add_nc_u64_e32 v[40:41] /*v[296:297]*/, v[216:217], v[162:163]
	v_add_nc_u64_e32 v[42:43] /*v[298:299]*/, v[218:219], v[162:163]
	s_set_vgpr_msb 1                        ;  msbs: dst=0 src0=1 src1=0 src2=0
	global_load_u16 v23, v[40:41] /*v[296:297]*/, off
	s_set_vgpr_msb 0x41                     ;  msbs: dst=1 src0=1 src1=0 src2=0
	global_load_u16 v39 /*v295*/, v[42:43] /*v[298:299]*/, off
	s_wait_loadcnt 0x1
	s_set_vgpr_msb 0                        ;  msbs: dst=0 src0=0 src1=0 src2=0
	v_lshlrev_b32_e32 v23, 16, v23
	s_wait_loadcnt 0x0
	s_set_vgpr_msb 0x44                     ;  msbs: dst=1 src0=0 src1=1 src2=0
	v_lshlrev_b32_e32 v71 /*v327*/, 16, v39 /*v295*/
.LBB189_188:                            ;   in Loop: Header=BB189_145 Depth=1
	s_or_b32 exec_lo, exec_lo, s13
	s_set_vgpr_msb 0x44                     ;  msbs: dst=1 src0=0 src1=1 src2=0
	v_add_nc_u64_e32 v[40:41] /*v[296:297]*/, 20, v[36:37] /*v[292:293]*/
	s_mov_b32 s13, exec_lo
	s_delay_alu instid0(VALU_DEP_1)
	v_cmpx_gt_i64_e64 s[4:5], v[40:41] /*v[296:297]*/
	s_set_vgpr_msb 0                        ;  msbs: dst=0 src0=0 src1=0 src2=0
	s_cbranch_execz .LBB189_190
; %bb.189:                              ;   in Loop: Header=BB189_145 Depth=1
	s_set_vgpr_msb 64                       ;  msbs: dst=1 src0=0 src1=0 src2=0
	v_add_nc_u64_e32 v[38:39] /*v[294:295]*/, v[212:213], v[162:163]
	v_add_nc_u64_e32 v[40:41] /*v[296:297]*/, v[214:215], v[162:163]
	s_set_vgpr_msb 1                        ;  msbs: dst=0 src0=1 src1=0 src2=0
	global_load_u16 v24, v[38:39] /*v[294:295]*/, off
	s_set_vgpr_msb 0x41                     ;  msbs: dst=1 src0=1 src1=0 src2=0
	global_load_u16 v42 /*v298*/, v[40:41] /*v[296:297]*/, off
	s_wait_loadcnt 0x1
	s_set_vgpr_msb 0                        ;  msbs: dst=0 src0=0 src1=0 src2=0
	v_lshlrev_b32_e32 v24, 16, v24
	s_wait_loadcnt 0x0
	s_set_vgpr_msb 0x44                     ;  msbs: dst=1 src0=0 src1=1 src2=0
	v_lshlrev_b32_e32 v38 /*v294*/, 16, v42 /*v298*/
.LBB189_190:                            ;   in Loop: Header=BB189_145 Depth=1
	s_or_b32 exec_lo, exec_lo, s13
	s_set_vgpr_msb 0x44                     ;  msbs: dst=1 src0=0 src1=1 src2=0
	v_add_nc_u64_e32 v[40:41] /*v[296:297]*/, 21, v[36:37] /*v[292:293]*/
	v_mov_b32_e32 v39 /*v295*/, 0
	s_delay_alu instid0(VALU_DEP_2)
	v_cmp_gt_i64_e32 vcc_lo, s[4:5], v[40:41] /*v[296:297]*/
	v_mov_b32_e32 v40 /*v296*/, 0
	s_and_saveexec_b32 s13, vcc_lo
	s_set_vgpr_msb 0                        ;  msbs: dst=0 src0=0 src1=0 src2=0
	s_cbranch_execz .LBB189_192
; %bb.191:                              ;   in Loop: Header=BB189_145 Depth=1
	s_set_vgpr_msb 64                       ;  msbs: dst=1 src0=0 src1=0 src2=0
	v_add_nc_u64_e32 v[42:43] /*v[298:299]*/, v[208:209], v[162:163]
	v_add_nc_u64_e32 v[44:45] /*v[300:301]*/, v[210:211], v[162:163]
	s_set_vgpr_msb 1                        ;  msbs: dst=0 src0=1 src1=0 src2=0
	global_load_u16 v25, v[42:43] /*v[298:299]*/, off
	s_set_vgpr_msb 0x41                     ;  msbs: dst=1 src0=1 src1=0 src2=0
	global_load_u16 v39 /*v295*/, v[44:45] /*v[300:301]*/, off
	s_wait_loadcnt 0x1
	s_set_vgpr_msb 0                        ;  msbs: dst=0 src0=0 src1=0 src2=0
	v_lshlrev_b32_e32 v25, 16, v25
	s_wait_loadcnt 0x0
	s_set_vgpr_msb 0x44                     ;  msbs: dst=1 src0=0 src1=1 src2=0
	v_lshlrev_b32_e32 v39 /*v295*/, 16, v39 /*v295*/
.LBB189_192:                            ;   in Loop: Header=BB189_145 Depth=1
	;; [unrolled: 48-line block ×6, first 2 shown]
	s_or_b32 exec_lo, exec_lo, s13
	s_set_vgpr_msb 0x44                     ;  msbs: dst=1 src0=0 src1=1 src2=0
	v_add_nc_u64_e32 v[72:73] /*v[328:329]*/, 30, v[36:37] /*v[292:293]*/
	s_mov_b32 s13, exec_lo
	s_delay_alu instid0(VALU_DEP_1)
	v_cmpx_gt_i64_e64 s[4:5], v[72:73] /*v[328:329]*/
	s_set_vgpr_msb 0                        ;  msbs: dst=0 src0=0 src1=0 src2=0
	s_cbranch_execz .LBB189_210
; %bb.209:                              ;   in Loop: Header=BB189_145 Depth=1
	s_set_vgpr_msb 64                       ;  msbs: dst=1 src0=0 src1=0 src2=0
	v_add_nc_u64_e32 v[48:49] /*v[304:305]*/, v[172:173], v[162:163]
	v_add_nc_u64_e32 v[72:73] /*v[328:329]*/, v[174:175], v[162:163]
	s_set_vgpr_msb 1                        ;  msbs: dst=0 src0=1 src1=0 src2=0
	global_load_u16 v34, v[48:49] /*v[304:305]*/, off
	s_set_vgpr_msb 0x41                     ;  msbs: dst=1 src0=1 src1=0 src2=0
	global_load_u16 v74 /*v330*/, v[72:73] /*v[328:329]*/, off
	s_wait_loadcnt 0x1
	s_set_vgpr_msb 0                        ;  msbs: dst=0 src0=0 src1=0 src2=0
	v_lshlrev_b32_e32 v34, 16, v34
	s_wait_loadcnt 0x0
	s_set_vgpr_msb 0x44                     ;  msbs: dst=1 src0=0 src1=1 src2=0
	v_lshlrev_b32_e32 v48 /*v304*/, 16, v74 /*v330*/
.LBB189_210:                            ;   in Loop: Header=BB189_145 Depth=1
	s_or_b32 exec_lo, exec_lo, s13
	s_set_vgpr_msb 0x44                     ;  msbs: dst=1 src0=0 src1=1 src2=0
	v_add_nc_u64_e32 v[72:73] /*v[328:329]*/, 31, v[36:37] /*v[292:293]*/
	v_mov_b32_e32 v49 /*v305*/, 0
	s_mov_b32 s13, exec_lo
	s_delay_alu instid0(VALU_DEP_2)
	v_cmpx_gt_i64_e64 s[4:5], v[72:73] /*v[328:329]*/
	s_set_vgpr_msb 0                        ;  msbs: dst=0 src0=0 src1=0 src2=0
	s_cbranch_execz .LBB189_212
; %bb.211:                              ;   in Loop: Header=BB189_145 Depth=1
	s_set_vgpr_msb 64                       ;  msbs: dst=1 src0=0 src1=0 src2=0
	v_add_nc_u64_e32 v[72:73] /*v[328:329]*/, v[168:169], v[162:163]
	v_add_nc_u64_e32 v[74:75] /*v[330:331]*/, v[170:171], v[162:163]
	s_set_vgpr_msb 1                        ;  msbs: dst=0 src0=1 src1=0 src2=0
	global_load_u16 v35, v[72:73] /*v[328:329]*/, off
	s_set_vgpr_msb 0x41                     ;  msbs: dst=1 src0=1 src1=0 src2=0
	global_load_u16 v49 /*v305*/, v[74:75] /*v[330:331]*/, off
	s_wait_loadcnt 0x1
	s_set_vgpr_msb 0                        ;  msbs: dst=0 src0=0 src1=0 src2=0
	v_lshlrev_b32_e32 v35, 16, v35
	s_wait_loadcnt 0x0
	s_set_vgpr_msb 0x44                     ;  msbs: dst=1 src0=0 src1=1 src2=0
	v_lshlrev_b32_e32 v49 /*v305*/, 16, v49 /*v305*/
.LBB189_212:                            ;   in Loop: Header=BB189_145 Depth=1
	s_or_b32 exec_lo, exec_lo, s13
	s_wait_loadcnt 0x0
	s_set_vgpr_msb 0x44                     ;  msbs: dst=1 src0=0 src1=1 src2=0
	ds_bpermute_b32 v72 /*v328*/, v2, v52 /*v308*/
	ds_bpermute_b32 v73 /*v329*/, v2, v52 /*v308*/ offset:4
	ds_bpermute_b32 v74 /*v330*/, v2, v52 /*v308*/ offset:8
	s_set_vgpr_msb 1                        ;  msbs: dst=0 src0=1 src1=0 src2=0
	v_dual_mul_f32 v4, v53 /*v309*/, v4 :: v_dual_mul_f32 v5, v54 /*v310*/, v5
	s_set_vgpr_msb 0x44                     ;  msbs: dst=1 src0=0 src1=1 src2=0
	ds_bpermute_b32 v53 /*v309*/, v2, v52 /*v308*/ offset:12
	ds_bpermute_b32 v54 /*v310*/, v2, v52 /*v308*/ offset:16
	s_set_vgpr_msb 0                        ;  msbs: dst=0 src0=0 src1=0 src2=0
	v_mul_f32_e32 v3, v3, v6
	s_set_vgpr_msb 4                        ;  msbs: dst=0 src0=0 src1=1 src2=0
	ds_bpermute_b32 v6, v2, v52 /*v308*/ offset:24
	s_mov_b32 s13, 0
	s_wait_dscnt 0x5
	s_set_vgpr_msb 0x54                     ;  msbs: dst=1 src0=0 src1=1 src2=1
	v_fma_f32 v72 /*v328*/, v4, v72 /*v328*/, v51 /*v307*/
	s_set_vgpr_msb 4                        ;  msbs: dst=0 src0=0 src1=1 src2=0
	ds_bpermute_b32 v4, v2, v52 /*v308*/ offset:20
	s_wait_dscnt 0x5
	s_set_vgpr_msb 0x44                     ;  msbs: dst=1 src0=0 src1=1 src2=0
	v_fmac_f32_e32 v72 /*v328*/, v5, v73 /*v329*/
	s_set_vgpr_msb 1                        ;  msbs: dst=0 src0=1 src1=0 src2=0
	v_mul_f32_e32 v5, v56 /*v312*/, v7
	s_set_vgpr_msb 4                        ;  msbs: dst=0 src0=0 src1=1 src2=0
	ds_bpermute_b32 v7, v2, v52 /*v308*/ offset:28
	s_wait_dscnt 0x5
	s_set_vgpr_msb 0x44                     ;  msbs: dst=1 src0=0 src1=1 src2=0
	v_fmac_f32_e32 v72 /*v328*/, v3, v74 /*v330*/
	s_set_vgpr_msb 1                        ;  msbs: dst=0 src0=1 src1=0 src2=0
	v_mul_f32_e32 v3, v55 /*v311*/, v8
	;; [unrolled: 7-line block ×4, first 2 shown]
	s_set_vgpr_msb 4                        ;  msbs: dst=0 src0=0 src1=1 src2=0
	ds_bpermute_b32 v10, v2, v52 /*v308*/ offset:60
	s_wait_dscnt 0x4
	s_set_vgpr_msb 64                       ;  msbs: dst=1 src0=0 src1=0 src2=0
	v_fmac_f32_e32 v72 /*v328*/, v5, v4
	s_set_vgpr_msb 1                        ;  msbs: dst=0 src0=1 src1=0 src2=0
	v_mul_f32_e32 v4, v60 /*v316*/, v11
	s_set_vgpr_msb 4                        ;  msbs: dst=0 src0=0 src1=1 src2=0
	ds_bpermute_b32 v5, v2, v52 /*v308*/ offset:40
	ds_bpermute_b32 v11, v2, v52 /*v308*/ offset:68
	s_set_vgpr_msb 64                       ;  msbs: dst=1 src0=0 src1=0 src2=0
	v_fmac_f32_e32 v72 /*v328*/, v3, v6
	s_set_vgpr_msb 1                        ;  msbs: dst=0 src0=1 src1=0 src2=0
	v_mul_f32_e32 v3, v59 /*v315*/, v12
	s_set_vgpr_msb 4                        ;  msbs: dst=0 src0=0 src1=1 src2=0
	ds_bpermute_b32 v6, v2, v52 /*v308*/ offset:44
	ds_bpermute_b32 v12, v2, v52 /*v308*/ offset:72
	s_wait_dscnt 0x7
	s_set_vgpr_msb 64                       ;  msbs: dst=1 src0=0 src1=0 src2=0
	v_fmac_f32_e32 v72 /*v328*/, v4, v7
	s_set_vgpr_msb 1                        ;  msbs: dst=0 src0=1 src1=0 src2=0
	v_mul_f32_e32 v4, v62 /*v318*/, v13
	s_set_vgpr_msb 4                        ;  msbs: dst=0 src0=0 src1=1 src2=0
	ds_bpermute_b32 v7, v2, v52 /*v308*/ offset:48
	ds_bpermute_b32 v13, v2, v52 /*v308*/ offset:76
	s_wait_dscnt 0x8
	s_set_vgpr_msb 64                       ;  msbs: dst=1 src0=0 src1=0 src2=0
	v_fmac_f32_e32 v72 /*v328*/, v3, v8
	s_set_vgpr_msb 1                        ;  msbs: dst=0 src0=1 src1=0 src2=0
	v_mul_f32_e32 v3, v61 /*v317*/, v14
	s_set_vgpr_msb 4                        ;  msbs: dst=0 src0=0 src1=1 src2=0
	ds_bpermute_b32 v8, v2, v52 /*v308*/ offset:52
	s_wait_dscnt 0x8
	s_set_vgpr_msb 64                       ;  msbs: dst=1 src0=0 src1=0 src2=0
	v_fmac_f32_e32 v72 /*v328*/, v4, v9
	s_set_vgpr_msb 1                        ;  msbs: dst=0 src0=1 src1=0 src2=0
	v_mul_f32_e32 v4, v64 /*v320*/, v15
	s_set_vgpr_msb 4                        ;  msbs: dst=0 src0=0 src1=1 src2=0
	;; [unrolled: 7-line block ×4, first 2 shown]
	ds_bpermute_b32 v6, v2, v52 /*v308*/ offset:64
	s_wait_dscnt 0x5
	s_set_vgpr_msb 64                       ;  msbs: dst=1 src0=0 src1=0 src2=0
	v_fmac_f32_e32 v72 /*v328*/, v3, v7
	s_set_vgpr_msb 1                        ;  msbs: dst=0 src0=1 src1=0 src2=0
	v_dual_mul_f32 v3, v65 /*v321*/, v18 :: v_dual_mul_f32 v7, v68 /*v324*/, v19
	s_wait_dscnt 0x3
	s_set_vgpr_msb 64                       ;  msbs: dst=1 src0=0 src1=0 src2=0
	v_fmac_f32_e32 v72 /*v328*/, v4, v8
	s_set_vgpr_msb 4                        ;  msbs: dst=0 src0=0 src1=1 src2=0
	ds_bpermute_b32 v4, v2, v52 /*v308*/ offset:80
	s_set_vgpr_msb 1                        ;  msbs: dst=0 src0=1 src1=0 src2=0
	v_mul_f32_e32 v8, v70 /*v326*/, v21
	s_wait_dscnt 0x3
	s_set_vgpr_msb 64                       ;  msbs: dst=1 src0=0 src1=0 src2=0
	v_fmac_f32_e32 v72 /*v328*/, v3, v9
	s_set_vgpr_msb 1                        ;  msbs: dst=0 src0=1 src1=0 src2=0
	v_mul_f32_e32 v3, v67 /*v323*/, v20
	s_set_vgpr_msb 64                       ;  msbs: dst=1 src0=0 src1=0 src2=0
	s_delay_alu instid0(VALU_DEP_2)
	v_fmac_f32_e32 v72 /*v328*/, v7, v10
	s_set_vgpr_msb 4                        ;  msbs: dst=0 src0=0 src1=1 src2=0
	ds_bpermute_b32 v7, v2, v52 /*v308*/ offset:92
	ds_bpermute_b32 v10, v2, v52 /*v308*/ offset:96
	s_wait_dscnt 0x3
	s_set_vgpr_msb 64                       ;  msbs: dst=1 src0=0 src1=0 src2=0
	v_fmac_f32_e32 v72 /*v328*/, v3, v6
	s_set_vgpr_msb 1                        ;  msbs: dst=0 src0=1 src1=0 src2=0
	v_mul_f32_e32 v3, v69 /*v325*/, v22
	s_set_vgpr_msb 4                        ;  msbs: dst=0 src0=0 src1=1 src2=0
	ds_bpermute_b32 v6, v2, v52 /*v308*/ offset:88
	s_set_vgpr_msb 64                       ;  msbs: dst=1 src0=0 src1=0 src2=0
	v_fmac_f32_e32 v72 /*v328*/, v8, v11
	s_set_vgpr_msb 1                        ;  msbs: dst=0 src0=1 src1=0 src2=0
	v_pk_mul_f32 v[8:9], v[38:39] /*v[294:295]*/, v[24:25]
	s_set_vgpr_msb 4                        ;  msbs: dst=0 src0=0 src1=1 src2=0
	ds_bpermute_b32 v11, v2, v52 /*v308*/ offset:100
	s_set_vgpr_msb 64                       ;  msbs: dst=1 src0=0 src1=0 src2=0
	v_fmac_f32_e32 v72 /*v328*/, v3, v12
	s_wait_dscnt 0x4
	s_set_vgpr_msb 0                        ;  msbs: dst=0 src0=0 src1=0 src2=0
	v_pk_mul_f32 v[4:5], v[8:9], v[4:5]
	s_set_vgpr_msb 1                        ;  msbs: dst=0 src0=1 src1=0 src2=0
	v_mul_f32_e32 v14, v71 /*v327*/, v23
	v_pk_mul_f32 v[8:9], v[40:41] /*v[296:297]*/, v[26:27]
	s_set_vgpr_msb 4                        ;  msbs: dst=0 src0=0 src1=1 src2=0
	ds_bpermute_b32 v12, v2, v52 /*v308*/ offset:104
	s_set_vgpr_msb 64                       ;  msbs: dst=1 src0=0 src1=0 src2=0
	v_fmac_f32_e32 v72 /*v328*/, v14, v13
	s_set_vgpr_msb 4                        ;  msbs: dst=0 src0=0 src1=1 src2=0
	ds_bpermute_b32 v13, v2, v52 /*v308*/ offset:108
	s_set_vgpr_msb 1                        ;  msbs: dst=0 src0=1 src1=0 src2=0
	v_add_f32_e32 v3, v72 /*v328*/, v4
	s_wait_dscnt 0x3
	s_set_vgpr_msb 0                        ;  msbs: dst=0 src0=0 src1=0 src2=0
	v_pk_mul_f32 v[6:7], v[8:9], v[6:7]
	s_set_vgpr_msb 4                        ;  msbs: dst=0 src0=0 src1=1 src2=0
	ds_bpermute_b32 v8, v2, v52 /*v308*/ offset:112
	ds_bpermute_b32 v9, v2, v52 /*v308*/ offset:116
	s_set_vgpr_msb 0                        ;  msbs: dst=0 src0=0 src1=0 src2=0
	v_add_f32_e32 v3, v3, v5
	s_set_vgpr_msb 1                        ;  msbs: dst=0 src0=1 src1=0 src2=0
	v_pk_mul_f32 v[4:5], v[42:43] /*v[298:299]*/, v[28:29]
	s_set_vgpr_msb 0                        ;  msbs: dst=0 src0=0 src1=0 src2=0
	s_delay_alu instid0(VALU_DEP_2) | instskip(SKIP_1) | instid1(VALU_DEP_2)
	v_add_f32_e32 v3, v3, v6
	s_wait_dscnt 0x4
	v_pk_mul_f32 v[4:5], v[4:5], v[10:11]
	s_set_vgpr_msb 1                        ;  msbs: dst=0 src0=1 src1=0 src2=0
	v_pk_mul_f32 v[10:11], v[46:47] /*v[302:303]*/, v[32:33]
	s_set_vgpr_msb 0                        ;  msbs: dst=0 src0=0 src1=0 src2=0
	v_add_f32_e32 v3, v3, v7
	s_set_vgpr_msb 1                        ;  msbs: dst=0 src0=1 src1=0 src2=0
	v_pk_mul_f32 v[6:7], v[44:45] /*v[300:301]*/, v[30:31]
	s_set_vgpr_msb 0                        ;  msbs: dst=0 src0=0 src1=0 src2=0
	s_delay_alu instid0(VALU_DEP_2)
	v_add_f32_e32 v3, v3, v4
	s_set_vgpr_msb 4                        ;  msbs: dst=0 src0=0 src1=1 src2=0
	ds_bpermute_b32 v4, v2, v52 /*v308*/ offset:120
	s_wait_dscnt 0x3
	s_set_vgpr_msb 0                        ;  msbs: dst=0 src0=0 src1=0 src2=0
	v_pk_mul_f32 v[6:7], v[6:7], v[12:13]
	s_wait_dscnt 0x1
	v_pk_mul_f32 v[8:9], v[10:11], v[8:9]
	v_add_f32_e32 v3, v3, v5
	s_set_vgpr_msb 4                        ;  msbs: dst=0 src0=0 src1=1 src2=0
	ds_bpermute_b32 v5, v2, v52 /*v308*/ offset:124
	s_set_vgpr_msb 0                        ;  msbs: dst=0 src0=0 src1=0 src2=0
	v_add_f32_e32 v3, v3, v6
	s_delay_alu instid0(VALU_DEP_1) | instskip(SKIP_3) | instid1(VALU_DEP_2)
	v_add_f32_e32 v3, v3, v7
	s_set_vgpr_msb 1                        ;  msbs: dst=0 src0=1 src1=0 src2=0
	v_pk_mul_f32 v[6:7], v[48:49] /*v[304:305]*/, v[34:35]
	s_set_vgpr_msb 0                        ;  msbs: dst=0 src0=0 src1=0 src2=0
	v_add_f32_e32 v3, v3, v8
	s_delay_alu instid0(VALU_DEP_1) | instskip(SKIP_2) | instid1(VALU_DEP_1)
	v_add_f32_e32 v3, v3, v9
	s_wait_dscnt 0x0
	v_pk_mul_f32 v[4:5], v[6:7], v[4:5]
	v_add_f32_e32 v3, v3, v4
	s_set_vgpr_msb 64                       ;  msbs: dst=1 src0=0 src1=0 src2=0
	s_delay_alu instid0(VALU_DEP_1)
	v_add_f32_e32 v38 /*v294*/, v3, v5
.LBB189_213:                            ;   in Loop: Header=BB189_145 Depth=1
	s_and_b32 vcc_lo, exec_lo, s13
	s_set_vgpr_msb 0                        ;  msbs: dst=0 src0=0 src1=0 src2=0
	s_cbranch_vccz .LBB189_217
; %bb.214:                              ;   in Loop: Header=BB189_145 Depth=1
	s_load_b32 s13, s[22:23], 0x0
	v_mov_b32_e32 v5, v2
	s_wait_kmcnt 0x0
	s_cmp_lt_u32 s12, s13
	s_cselect_b32 s18, 12, 18
	s_delay_alu instid0(SALU_CYCLE_1)
	s_add_nc_u64 s[26:27], s[22:23], s[18:19]
	s_load_u16 s13, s[26:27], 0x0
	s_wait_kmcnt 0x0
	s_set_vgpr_msb 16                       ;  msbs: dst=0 src0=0 src1=0 src2=1
	v_mad_u32_u24 v3, v1, s13, v50 /*v306*/
	s_mov_b32 s13, exec_lo
	s_delay_alu instid0(VALU_DEP_1) | instskip(SKIP_1) | instid1(VALU_DEP_1)
	v_dual_mov_b32 v3, 0 :: v_dual_bitop2_b32 v4, 31, v3 bitop3:0x40
	s_set_vgpr_msb 1                        ;  msbs: dst=0 src0=1 src1=0 src2=0
	v_add_nc_u64_e32 v[4:5], v[36:37] /*v[292:293]*/, v[4:5]
	s_delay_alu instid0(VALU_DEP_1)
	v_cmpx_gt_i64_e64 s[4:5], v[4:5]
	s_set_vgpr_msb 0                        ;  msbs: dst=0 src0=0 src1=0 src2=0
	s_cbranch_execz .LBB189_216
; %bb.215:                              ;   in Loop: Header=BB189_145 Depth=1
	v_lshl_add_u64 v[4:5], v[4:5], 2, s[14:15]
	global_load_b32 v3, v[4:5], off
.LBB189_216:                            ;   in Loop: Header=BB189_145 Depth=1
	s_wait_xcnt 0x0
	s_or_b32 exec_lo, exec_lo, s13
	v_add_nc_u64_e32 v[4:5], v[164:165], v[162:163]
	v_add_nc_u64_e32 v[6:7], v[166:167], v[162:163]
	;; [unrolled: 1-line block ×7, first 2 shown]
	global_load_u16 v20, v[4:5], off
	global_load_u16 v21, v[6:7], off
	s_wait_xcnt 0x1
	v_add_nc_u64_e32 v[4:5], v[44:45], v[162:163]
	global_load_u16 v22, v[8:9], off
	global_load_u16 v23, v[10:11], off
	s_wait_xcnt 0x2
	v_add_nc_u64_e32 v[6:7], v[42:43], v[162:163]
	s_wait_xcnt 0x1
	v_add_nc_u64_e32 v[8:9], v[46:47], v[162:163]
	;; [unrolled: 2-line block ×3, first 2 shown]
	global_load_u16 v24, v[12:13], off
	global_load_u16 v25, v[4:5], off
	s_wait_xcnt 0x0
	v_add_nc_u64_e32 v[4:5], v[48:49], v[162:163]
	global_load_u16 v26, v[6:7], off
	global_load_u16 v27, v[8:9], off
	s_wait_xcnt 0x1
	v_add_nc_u64_e32 v[6:7], v[52:53], v[162:163]
	s_wait_xcnt 0x0
	v_add_nc_u64_e32 v[8:9], v[54:55], v[162:163]
	global_load_u16 v28, v[4:5], off
	global_load_u16 v29, v[10:11], off
	s_wait_xcnt 0x1
	v_add_nc_u64_e32 v[4:5], v[56:57], v[162:163]
	;; [unrolled: 6-line block ×5, first 2 shown]
	s_wait_xcnt 0x0
	v_add_nc_u64_e32 v[8:9], v[70:71], v[162:163]
	s_set_vgpr_msb 64                       ;  msbs: dst=1 src0=0 src1=0 src2=0
	global_load_u16 v36 /*v292*/, v[4:5], off
	global_load_u16 v37 /*v293*/, v[10:11], off
	s_wait_xcnt 0x1
	s_set_vgpr_msb 0                        ;  msbs: dst=0 src0=0 src1=0 src2=0
	v_add_nc_u64_e32 v[4:5], v[72:73], v[162:163]
	s_wait_xcnt 0x0
	v_add_nc_u64_e32 v[10:11], v[74:75], v[162:163]
	s_set_vgpr_msb 64                       ;  msbs: dst=1 src0=0 src1=0 src2=0
	global_load_u16 v38 /*v294*/, v[6:7], off
	global_load_u16 v39 /*v295*/, v[8:9], off
	s_wait_xcnt 0x1
	s_set_vgpr_msb 0                        ;  msbs: dst=0 src0=0 src1=0 src2=0
	v_add_nc_u64_e32 v[6:7], v[76:77], v[162:163]
	s_wait_xcnt 0x0
	v_add_nc_u64_e32 v[8:9], v[78:79], v[162:163]
	s_set_vgpr_msb 64                       ;  msbs: dst=1 src0=0 src1=0 src2=0
	global_load_u16 v40 /*v296*/, v[4:5], off
	global_load_u16 v41 /*v297*/, v[10:11], off
	s_wait_xcnt 0x1
	s_set_vgpr_msb 0                        ;  msbs: dst=0 src0=0 src1=0 src2=0
	v_add_nc_u64_e32 v[4:5], v[80:81], v[162:163]
	s_wait_xcnt 0x0
	v_add_nc_u64_e32 v[10:11], v[82:83], v[162:163]
	s_set_vgpr_msb 64                       ;  msbs: dst=1 src0=0 src1=0 src2=0
	global_load_u16 v42 /*v298*/, v[6:7], off
	global_load_u16 v43 /*v299*/, v[8:9], off
	s_wait_xcnt 0x1
	s_set_vgpr_msb 0                        ;  msbs: dst=0 src0=0 src1=0 src2=0
	v_add_nc_u64_e32 v[6:7], v[84:85], v[162:163]
	v_add_nc_u64_e32 v[12:13], v[88:89], v[162:163]
	s_wait_xcnt 0x0
	v_add_nc_u64_e32 v[8:9], v[86:87], v[162:163]
	s_set_vgpr_msb 64                       ;  msbs: dst=1 src0=0 src1=0 src2=0
	global_load_u16 v44 /*v300*/, v[4:5], off
	global_load_u16 v45 /*v301*/, v[10:11], off
	s_wait_xcnt 0x1
	s_set_vgpr_msb 0                        ;  msbs: dst=0 src0=0 src1=0 src2=0
	v_add_nc_u64_e32 v[4:5], v[90:91], v[162:163]
	s_wait_xcnt 0x0
	v_add_nc_u64_e32 v[10:11], v[92:93], v[162:163]
	s_set_vgpr_msb 64                       ;  msbs: dst=1 src0=0 src1=0 src2=0
	global_load_u16 v46 /*v302*/, v[6:7], off
	global_load_u16 v47 /*v303*/, v[8:9], off
	;; [unrolled: 1-line block ×6, first 2 shown]
	s_wait_xcnt 0x5
	s_set_vgpr_msb 0                        ;  msbs: dst=0 src0=0 src1=0 src2=0
	v_add_nc_u64_e32 v[6:7], v[96:97], v[162:163]
	s_wait_xcnt 0x4
	v_add_nc_u64_e32 v[8:9], v[98:99], v[162:163]
	s_wait_xcnt 0x2
	v_add_nc_u64_e32 v[4:5], v[102:103], v[162:163]
	v_add_nc_u64_e32 v[12:13], v[104:105], v[162:163]
	s_set_vgpr_msb 64                       ;  msbs: dst=1 src0=0 src1=0 src2=0
	global_load_u16 v54 /*v310*/, v[6:7], off
	global_load_u16 v55 /*v311*/, v[8:9], off
	;; [unrolled: 1-line block ×3, first 2 shown]
	s_set_vgpr_msb 0                        ;  msbs: dst=0 src0=0 src1=0 src2=0
	v_add_nc_u64_e32 v[18:19], v[106:107], v[162:163]
	s_wait_xcnt 0x4
	v_add_nc_u64_e32 v[10:11], v[108:109], v[162:163]
	s_wait_xcnt 0x3
	;; [unrolled: 2-line block ×3, first 2 shown]
	v_add_nc_u64_e32 v[8:9], v[116:117], v[162:163]
	global_load_u16 v16, v[4:5], off
	global_load_u16 v17, v[12:13], off
	s_set_vgpr_msb 64                       ;  msbs: dst=1 src0=0 src1=0 src2=0
	global_load_u16 v57 /*v313*/, v[18:19], off
	s_set_vgpr_msb 0                        ;  msbs: dst=0 src0=0 src1=0 src2=0
	v_add_nc_u64_e32 v[6:7], v[112:113], v[162:163]
	s_wait_xcnt 0x1
	v_add_nc_u64_e32 v[12:13], v[118:119], v[162:163]
	v_add_nc_u64_e32 v[4:5], v[114:115], v[162:163]
	global_load_u16 v18, v[10:11], off
	global_load_u16 v19, v[14:15], off
	s_set_vgpr_msb 64                       ;  msbs: dst=1 src0=0 src1=0 src2=0
	global_load_u16 v58 /*v314*/, v[8:9], off
	s_set_vgpr_msb 0                        ;  msbs: dst=0 src0=0 src1=0 src2=0
	global_load_u16 v14, v[6:7], off
	global_load_u16 v15, v[12:13], off
	s_set_vgpr_msb 64                       ;  msbs: dst=1 src0=0 src1=0 src2=0
	global_load_u16 v59 /*v315*/, v[4:5], off
	s_wait_xcnt 0x3
	s_set_vgpr_msb 0                        ;  msbs: dst=0 src0=0 src1=0 src2=0
	v_add_nc_u64_e32 v[8:9], v[124:125], v[162:163]
	s_wait_xcnt 0x0
	v_add_nc_u64_e32 v[4:5], v[120:121], v[162:163]
	v_add_nc_u64_e32 v[6:7], v[126:127], v[162:163]
	;; [unrolled: 1-line block ×3, first 2 shown]
	s_wait_loadcnt 0x2c
	ds_bpermute_b32 v12, v2, v3 offset:32
	s_set_vgpr_msb 64                       ;  msbs: dst=1 src0=0 src1=0 src2=0
	ds_bpermute_b32 v80 /*v336*/, v2, v3 offset:40
	global_load_u16 v60 /*v316*/, v[8:9], off
	s_wait_xcnt 0x0
	s_set_vgpr_msb 0                        ;  msbs: dst=0 src0=0 src1=0 src2=0
	v_add_nc_u64_e32 v[8:9], v[132:133], v[162:163]
	s_set_vgpr_msb 64                       ;  msbs: dst=1 src0=0 src1=0 src2=0
	global_load_u16 v61 /*v317*/, v[4:5], off
	global_load_u16 v62 /*v318*/, v[6:7], off
	;; [unrolled: 1-line block ×3, first 2 shown]
	s_wait_xcnt 0x2
	s_set_vgpr_msb 0                        ;  msbs: dst=0 src0=0 src1=0 src2=0
	v_add_nc_u64_e32 v[4:5], v[128:129], v[162:163]
	s_wait_xcnt 0x1
	v_add_nc_u64_e32 v[6:7], v[134:135], v[162:163]
	s_wait_xcnt 0x0
	v_add_nc_u64_e32 v[10:11], v[130:131], v[162:163]
	s_set_vgpr_msb 64                       ;  msbs: dst=1 src0=0 src1=0 src2=0
	global_load_u16 v64 /*v320*/, v[8:9], off
	global_load_u16 v65 /*v321*/, v[4:5], off
	global_load_u16 v66 /*v322*/, v[6:7], off
	global_load_u16 v67 /*v323*/, v[10:11], off
	s_wait_xcnt 0x3
	s_set_vgpr_msb 0                        ;  msbs: dst=0 src0=0 src1=0 src2=0
	v_add_nc_u64_e32 v[8:9], v[140:141], v[162:163]
	s_wait_xcnt 0x2
	v_add_nc_u64_e32 v[4:5], v[136:137], v[162:163]
	s_wait_xcnt 0x1
	v_add_nc_u64_e32 v[6:7], v[142:143], v[162:163]
	s_wait_xcnt 0x0
	v_add_nc_u64_e32 v[10:11], v[138:139], v[162:163]
	s_set_vgpr_msb 64                       ;  msbs: dst=1 src0=0 src1=0 src2=0
	global_load_u16 v68 /*v324*/, v[8:9], off
	global_load_u16 v69 /*v325*/, v[4:5], off
	global_load_u16 v70 /*v326*/, v[6:7], off
	global_load_u16 v71 /*v327*/, v[10:11], off
	s_wait_xcnt 0x3
	s_set_vgpr_msb 0                        ;  msbs: dst=0 src0=0 src1=0 src2=0
	v_add_nc_u64_e32 v[8:9], v[150:151], v[162:163]
	s_wait_xcnt 0x2
	v_add_nc_u64_e32 v[4:5], v[146:147], v[162:163]
	s_wait_xcnt 0x1
	v_add_nc_u64_e32 v[6:7], v[152:153], v[162:163]
	s_wait_xcnt 0x0
	v_add_nc_u64_e32 v[10:11], v[148:149], v[162:163]
	s_set_vgpr_msb 64                       ;  msbs: dst=1 src0=0 src1=0 src2=0
	global_load_u16 v72 /*v328*/, v[8:9], off
	global_load_u16 v73 /*v329*/, v[4:5], off
	global_load_u16 v74 /*v330*/, v[6:7], off
	global_load_u16 v75 /*v331*/, v[10:11], off
	s_wait_xcnt 0x2
	s_set_vgpr_msb 0                        ;  msbs: dst=0 src0=0 src1=0 src2=0
	v_add_nc_u64_e32 v[4:5], v[158:159], v[162:163]
	s_wait_xcnt 0x1
	v_add_nc_u64_e32 v[6:7], v[154:155], v[162:163]
	v_add_nc_u64_e32 v[8:9], v[160:161], v[162:163]
	s_wait_xcnt 0x0
	v_add_nc_u64_e32 v[10:11], v[156:157], v[162:163]
	s_set_vgpr_msb 64                       ;  msbs: dst=1 src0=0 src1=0 src2=0
	global_load_u16 v76 /*v332*/, v[4:5], off
	global_load_u16 v77 /*v333*/, v[6:7], off
	;; [unrolled: 1-line block ×4, first 2 shown]
	s_wait_xcnt 0x3
	s_set_vgpr_msb 0                        ;  msbs: dst=0 src0=0 src1=0 src2=0
	ds_bpermute_b32 v4, v2, v3
	ds_bpermute_b32 v5, v2, v3 offset:4
	s_wait_xcnt 0x2
	ds_bpermute_b32 v6, v2, v3 offset:8
	ds_bpermute_b32 v7, v2, v3 offset:12
	s_wait_xcnt 0x1
	ds_bpermute_b32 v8, v2, v3 offset:16
	;; [unrolled: 3-line block ×3, first 2 shown]
	ds_bpermute_b32 v11, v2, v3 offset:28
	s_wait_loadcnt 0x3e
	v_dual_lshlrev_b32 v13, 16, v20 :: v_dual_lshlrev_b32 v20, 16, v21
	s_wait_loadcnt 0x3c
	v_dual_lshlrev_b32 v22, 16, v22 :: v_dual_lshlrev_b32 v23, 16, v23
	ds_bpermute_b32 v21, v2, v3 offset:36
	v_mul_f32_e32 v13, v13, v20
	s_wait_loadcnt 0x3b
	v_dual_lshlrev_b32 v24, 16, v24 :: v_dual_mul_f32 v22, v22, v23
	s_wait_loadcnt 0x3a
	v_lshlrev_b32_e32 v25, 16, v25
	ds_bpermute_b32 v20, v2, v3 offset:44
	s_wait_dscnt 0x9
	s_set_vgpr_msb 64                       ;  msbs: dst=1 src0=0 src1=0 src2=0
	v_fmac_f32_e32 v51 /*v307*/, v13, v4
	s_wait_loadcnt 0x38
	s_set_vgpr_msb 0                        ;  msbs: dst=0 src0=0 src1=0 src2=0
	v_dual_lshlrev_b32 v4, 16, v26 :: v_dual_lshlrev_b32 v23, 16, v27
	v_mul_f32_e32 v24, v24, v25
	ds_bpermute_b32 v13, v2, v3 offset:48
	s_wait_dscnt 0x9
	s_set_vgpr_msb 64                       ;  msbs: dst=1 src0=0 src1=0 src2=0
	v_fmac_f32_e32 v51 /*v307*/, v22, v5
	s_wait_loadcnt 0x36
	s_set_vgpr_msb 0                        ;  msbs: dst=0 src0=0 src1=0 src2=0
	v_dual_lshlrev_b32 v5, 16, v28 :: v_dual_lshlrev_b32 v25, 16, v29
	v_mul_f32_e32 v4, v4, v23
	;; [unrolled: 8-line block ×5, first 2 shown]
	ds_bpermute_b32 v24, v2, v3 offset:64
	s_wait_dscnt 0x9
	s_set_vgpr_msb 64                       ;  msbs: dst=1 src0=0 src1=0 src2=0
	v_fmac_f32_e32 v51 /*v307*/, v6, v9
	s_wait_loadcnt 0x2e
	s_set_vgpr_msb 4                        ;  msbs: dst=0 src0=0 src1=1 src2=0
	v_dual_lshlrev_b32 v6, 16, v36 /*v292*/ :: v_dual_lshlrev_b32 v7, 16, v37 /*v293*/
	s_set_vgpr_msb 0                        ;  msbs: dst=0 src0=0 src1=0 src2=0
	v_mul_f32_e32 v5, v5, v8
	ds_bpermute_b32 v9, v2, v3 offset:68
	s_wait_dscnt 0x9
	s_set_vgpr_msb 64                       ;  msbs: dst=1 src0=0 src1=0 src2=0
	v_fmac_f32_e32 v51 /*v307*/, v4, v10
	s_wait_loadcnt 0x2c
	s_set_vgpr_msb 4                        ;  msbs: dst=0 src0=0 src1=1 src2=0
	v_dual_lshlrev_b32 v4, 16, v38 /*v294*/ :: v_dual_lshlrev_b32 v8, 16, v39 /*v295*/
	s_set_vgpr_msb 0                        ;  msbs: dst=0 src0=0 src1=0 src2=0
	v_mul_f32_e32 v6, v6, v7
	;; [unrolled: 9-line block ×3, first 2 shown]
	ds_bpermute_b32 v27, v2, v3 offset:76
	s_set_vgpr_msb 64                       ;  msbs: dst=1 src0=0 src1=0 src2=0
	v_fmac_f32_e32 v51 /*v307*/, v6, v12
	s_wait_loadcnt 0x28
	s_set_vgpr_msb 4                        ;  msbs: dst=0 src0=0 src1=1 src2=0
	v_dual_lshlrev_b32 v6, 16, v42 /*v298*/ :: v_dual_lshlrev_b32 v10, 16, v43 /*v299*/
	s_set_vgpr_msb 0                        ;  msbs: dst=0 src0=0 src1=0 src2=0
	v_mul_f32_e32 v7, v5, v7
	s_wait_loadcnt 0x25
	s_set_vgpr_msb 4                        ;  msbs: dst=0 src0=0 src1=1 src2=0
	v_lshlrev_b32_e32 v12, 16, v46 /*v302*/
	s_wait_dscnt 0x9
	s_set_vgpr_msb 64                       ;  msbs: dst=1 src0=0 src1=0 src2=0
	v_fmac_f32_e32 v51 /*v307*/, v8, v21
	s_set_vgpr_msb 4                        ;  msbs: dst=0 src0=0 src1=1 src2=0
	v_dual_lshlrev_b32 v8, 16, v44 /*v300*/ :: v_dual_lshlrev_b32 v11, 16, v45 /*v301*/
	s_set_vgpr_msb 0                        ;  msbs: dst=0 src0=0 src1=0 src2=0
	v_mul_f32_e32 v10, v6, v10
	s_wait_loadcnt 0x24
	s_set_vgpr_msb 4                        ;  msbs: dst=0 src0=0 src1=1 src2=0
	v_lshlrev_b32_e32 v21, 16, v47 /*v303*/
	s_set_vgpr_msb 0x44                     ;  msbs: dst=1 src0=0 src1=1 src2=0
	v_fmac_f32_e32 v51 /*v307*/, v7, v80 /*v336*/
	s_set_vgpr_msb 0                        ;  msbs: dst=0 src0=0 src1=0 src2=0
	ds_bpermute_b32 v4, v2, v3 offset:80
	ds_bpermute_b32 v5, v2, v3 offset:84
	;; [unrolled: 1-line block ×4, first 2 shown]
	s_wait_dscnt 0xc
	s_set_vgpr_msb 64                       ;  msbs: dst=1 src0=0 src1=0 src2=0
	v_fmac_f32_e32 v51 /*v307*/, v10, v20
	s_wait_loadcnt 0x23
	s_set_vgpr_msb 4                        ;  msbs: dst=0 src0=0 src1=1 src2=0
	v_lshlrev_b32_e32 v10, 16, v48 /*v304*/
	s_set_vgpr_msb 0                        ;  msbs: dst=0 src0=0 src1=0 src2=0
	v_mul_f32_e32 v8, v8, v11
	s_wait_loadcnt 0x22
	s_set_vgpr_msb 4                        ;  msbs: dst=0 src0=0 src1=1 src2=0
	v_lshlrev_b32_e32 v11, 16, v49 /*v305*/
	s_wait_loadcnt 0x20
	v_lshlrev_b32_e32 v20, 16, v53 /*v309*/
	s_wait_loadcnt 0x19
	s_set_vgpr_msb 0                        ;  msbs: dst=0 src0=0 src1=0 src2=0
	v_dual_lshlrev_b32 v18, 16, v18 :: v_dual_mul_f32 v10, v10, v11
	s_wait_dscnt 0xb
	s_set_vgpr_msb 64                       ;  msbs: dst=1 src0=0 src1=0 src2=0
	v_fmac_f32_e32 v51 /*v307*/, v8, v13
	s_set_vgpr_msb 4                        ;  msbs: dst=0 src0=0 src1=1 src2=0
	v_lshlrev_b32_e32 v13, 16, v52 /*v308*/
	s_set_vgpr_msb 0                        ;  msbs: dst=0 src0=0 src1=0 src2=0
	v_mul_f32_e32 v12, v12, v21
	s_set_vgpr_msb 4                        ;  msbs: dst=0 src0=0 src1=1 src2=0
	v_dual_lshlrev_b32 v11, 16, v54 /*v310*/ :: v_dual_lshlrev_b32 v21, 16, v56 /*v312*/
	s_set_vgpr_msb 0                        ;  msbs: dst=0 src0=0 src1=0 src2=0
	ds_bpermute_b32 v8, v2, v3 offset:96
	v_mul_f32_e32 v13, v13, v20
	s_wait_dscnt 0xb
	s_set_vgpr_msb 64                       ;  msbs: dst=1 src0=0 src1=0 src2=0
	v_fmac_f32_e32 v51 /*v307*/, v12, v22
	s_set_vgpr_msb 4                        ;  msbs: dst=0 src0=0 src1=1 src2=0
	v_lshlrev_b32_e32 v12, 16, v55 /*v311*/
	s_wait_dscnt 0xa
	s_set_vgpr_msb 64                       ;  msbs: dst=1 src0=0 src1=0 src2=0
	v_fmac_f32_e32 v51 /*v307*/, v10, v23
	s_set_vgpr_msb 0                        ;  msbs: dst=0 src0=0 src1=0 src2=0
	v_dual_lshlrev_b32 v10, 16, v16 :: v_dual_lshlrev_b32 v16, 16, v17
	v_mul_f32_e32 v12, v11, v12
	s_set_vgpr_msb 4                        ;  msbs: dst=0 src0=0 src1=1 src2=0
	v_lshlrev_b32_e32 v17, 16, v57 /*v313*/
	s_wait_dscnt 0x9
	s_set_vgpr_msb 64                       ;  msbs: dst=1 src0=0 src1=0 src2=0
	v_fmac_f32_e32 v51 /*v307*/, v13, v25
	s_wait_loadcnt 0x18
	s_set_vgpr_msb 0                        ;  msbs: dst=0 src0=0 src1=0 src2=0
	v_dual_mul_f32 v20, v21, v10 :: v_dual_lshlrev_b32 v19, 16, v19
	s_wait_loadcnt 0x17
	s_set_vgpr_msb 4                        ;  msbs: dst=0 src0=0 src1=1 src2=0
	v_lshlrev_b32_e32 v11, 16, v58 /*v314*/
	s_wait_loadcnt 0x15
	s_set_vgpr_msb 0                        ;  msbs: dst=0 src0=0 src1=0 src2=0
	v_dual_lshlrev_b32 v10, 16, v14 :: v_dual_lshlrev_b32 v13, 16, v15
	s_wait_dscnt 0x8
	s_set_vgpr_msb 64                       ;  msbs: dst=1 src0=0 src1=0 src2=0
	v_fmac_f32_e32 v51 /*v307*/, v12, v24
	s_wait_loadcnt 0x14
	s_set_vgpr_msb 4                        ;  msbs: dst=0 src0=0 src1=1 src2=0
	v_lshlrev_b32_e32 v12, 16, v59 /*v315*/
	s_set_vgpr_msb 0                        ;  msbs: dst=0 src0=0 src1=0 src2=0
	v_dual_mul_f32 v14, v16, v17 :: v_dual_mul_f32 v16, v18, v19
	s_wait_loadcnt 0x13
	s_set_vgpr_msb 4                        ;  msbs: dst=0 src0=0 src1=1 src2=0
	v_lshlrev_b32_e32 v15, 16, v60 /*v316*/
	s_wait_dscnt 0x7
	s_set_vgpr_msb 64                       ;  msbs: dst=1 src0=0 src1=0 src2=0
	v_fmac_f32_e32 v51 /*v307*/, v20, v9
	s_set_vgpr_msb 0                        ;  msbs: dst=0 src0=0 src1=0 src2=0
	ds_bpermute_b32 v9, v2, v3 offset:100
	v_pk_mul_f32 v[10:11], v[10:11], v[12:13]
	s_wait_loadcnt 0x10
	s_set_vgpr_msb 4                        ;  msbs: dst=0 src0=0 src1=1 src2=0
	v_dual_lshlrev_b32 v13, 16, v62 /*v318*/ :: v_dual_lshlrev_b32 v12, 16, v63 /*v319*/
	s_wait_dscnt 0x7
	s_set_vgpr_msb 64                       ;  msbs: dst=1 src0=0 src1=0 src2=0
	v_fmac_f32_e32 v51 /*v307*/, v14, v26
	s_set_vgpr_msb 4                        ;  msbs: dst=0 src0=0 src1=1 src2=0
	v_lshlrev_b32_e32 v14, 16, v61 /*v317*/
	s_wait_dscnt 0x4
	s_set_vgpr_msb 0                        ;  msbs: dst=0 src0=0 src1=0 src2=0
	v_pk_mul_f32 v[4:5], v[10:11], v[4:5]
	s_wait_loadcnt 0xf
	s_set_vgpr_msb 4                        ;  msbs: dst=0 src0=0 src1=1 src2=0
	v_lshlrev_b32_e32 v17, 16, v64 /*v320*/
	s_set_vgpr_msb 0                        ;  msbs: dst=0 src0=0 src1=0 src2=0
	ds_bpermute_b32 v10, v2, v3 offset:104
	s_set_vgpr_msb 64                       ;  msbs: dst=1 src0=0 src1=0 src2=0
	v_fmac_f32_e32 v51 /*v307*/, v16, v27
	s_set_vgpr_msb 0                        ;  msbs: dst=0 src0=0 src1=0 src2=0
	v_pk_mul_f32 v[12:13], v[14:15], v[12:13]
	s_wait_loadcnt 0xd
	s_set_vgpr_msb 4                        ;  msbs: dst=0 src0=0 src1=1 src2=0
	v_dual_lshlrev_b32 v16, 16, v65 /*v321*/ :: v_dual_lshlrev_b32 v15, 16, v66 /*v322*/
	s_wait_loadcnt 0xc
	v_lshlrev_b32_e32 v14, 16, v67 /*v323*/
	s_set_vgpr_msb 1                        ;  msbs: dst=0 src0=1 src1=0 src2=0
	v_add_f32_e32 v4, v51 /*v307*/, v4
	s_set_vgpr_msb 0                        ;  msbs: dst=0 src0=0 src1=0 src2=0
	ds_bpermute_b32 v11, v2, v3 offset:108
	s_wait_dscnt 0x4
	v_pk_mul_f32 v[6:7], v[12:13], v[6:7]
	s_wait_loadcnt 0xb
	s_set_vgpr_msb 4                        ;  msbs: dst=0 src0=0 src1=1 src2=0
	v_lshlrev_b32_e32 v13, 16, v68 /*v324*/
	s_set_vgpr_msb 0                        ;  msbs: dst=0 src0=0 src1=0 src2=0
	v_pk_mul_f32 v[14:15], v[16:17], v[14:15]
	v_add_f32_e32 v12, v4, v5
	ds_bpermute_b32 v4, v2, v3 offset:112
	ds_bpermute_b32 v5, v2, v3 offset:116
	s_wait_loadcnt 0x8
	s_set_vgpr_msb 4                        ;  msbs: dst=0 src0=0 src1=1 src2=0
	v_dual_lshlrev_b32 v17, 16, v70 /*v326*/ :: v_dual_lshlrev_b32 v16, 16, v71 /*v327*/
	s_wait_dscnt 0x4
	s_set_vgpr_msb 0                        ;  msbs: dst=0 src0=0 src1=0 src2=0
	v_pk_mul_f32 v[8:9], v[14:15], v[8:9]
	v_add_f32_e32 v6, v12, v6
	s_wait_loadcnt 0x7
	s_set_vgpr_msb 4                        ;  msbs: dst=0 src0=0 src1=1 src2=0
	v_dual_lshlrev_b32 v12, 16, v69 /*v325*/ :: v_dual_lshlrev_b32 v15, 16, v72 /*v328*/
	s_wait_loadcnt 0x6
	v_lshlrev_b32_e32 v14, 16, v73 /*v329*/
	s_set_vgpr_msb 0                        ;  msbs: dst=0 src0=0 src1=0 src2=0
	v_add_f32_e32 v7, v6, v7
	v_pk_mul_f32 v[12:13], v[12:13], v[16:17]
	ds_bpermute_b32 v6, v2, v3 offset:120
	s_wait_loadcnt 0x4
	s_set_vgpr_msb 4                        ;  msbs: dst=0 src0=0 src1=1 src2=0
	v_dual_lshlrev_b32 v17, 16, v74 /*v330*/ :: v_dual_lshlrev_b32 v16, 16, v75 /*v331*/
	s_set_vgpr_msb 0                        ;  msbs: dst=0 src0=0 src1=0 src2=0
	v_add_f32_e32 v7, v7, v8
	s_wait_dscnt 0x3
	v_pk_mul_f32 v[10:11], v[12:13], v[10:11]
	s_wait_loadcnt 0x3
	s_set_vgpr_msb 4                        ;  msbs: dst=0 src0=0 src1=1 src2=0
	v_lshlrev_b32_e32 v13, 16, v76 /*v332*/
	s_set_vgpr_msb 0                        ;  msbs: dst=0 src0=0 src1=0 src2=0
	v_add_f32_e32 v12, v7, v9
	ds_bpermute_b32 v7, v2, v3 offset:124
	v_pk_mul_f32 v[8:9], v[14:15], v[16:17]
	s_wait_loadcnt 0x0
	s_set_vgpr_msb 4                        ;  msbs: dst=0 src0=0 src1=1 src2=0
	v_dual_lshlrev_b32 v15, 16, v78 /*v334*/ :: v_dual_lshlrev_b32 v14, 16, v79 /*v335*/
	s_set_vgpr_msb 0                        ;  msbs: dst=0 src0=0 src1=0 src2=0
	v_add_f32_e32 v3, v12, v10
	s_set_vgpr_msb 4                        ;  msbs: dst=0 src0=0 src1=1 src2=0
	v_lshlrev_b32_e32 v12, 16, v77 /*v333*/
	s_wait_dscnt 0x2
	s_set_vgpr_msb 0                        ;  msbs: dst=0 src0=0 src1=0 src2=0
	v_pk_mul_f32 v[4:5], v[8:9], v[4:5]
	v_add_f32_e32 v3, v3, v11
	v_pk_mul_f32 v[8:9], v[12:13], v[14:15]
	s_delay_alu instid0(VALU_DEP_2) | instskip(NEXT) | instid1(VALU_DEP_1)
	v_add_f32_e32 v3, v3, v4
	v_add_f32_e32 v3, v3, v5
	s_wait_dscnt 0x0
	s_delay_alu instid0(VALU_DEP_3) | instskip(NEXT) | instid1(VALU_DEP_1)
	v_pk_mul_f32 v[4:5], v[8:9], v[6:7]
	v_add_f32_e32 v3, v3, v4
	s_set_vgpr_msb 64                       ;  msbs: dst=1 src0=0 src1=0 src2=0
	s_delay_alu instid0(VALU_DEP_1)
	v_add_f32_e32 v38 /*v294*/, v3, v5
.LBB189_217:                            ;   in Loop: Header=BB189_145 Depth=1
	s_add_nc_u64 s[24:25], s[24:25], s[20:21]
	s_set_vgpr_msb 0                        ;  msbs: dst=0 src0=0 src1=0 src2=0
	v_add_nc_u64_e32 v[164:165], s[8:9], v[164:165]
	v_cmp_ge_i64_e64 s13, s[24:25], s[4:5]
	v_add_nc_u64_e32 v[166:167], s[8:9], v[166:167]
	v_add_nc_u64_e32 v[36:37], s[8:9], v[36:37]
	;; [unrolled: 1-line block ×108, first 2 shown]
	s_set_vgpr_msb 0x44                     ;  msbs: dst=1 src0=0 src1=1 src2=0
	v_add_nc_u64_e32 v[0:1] /*v[256:257]*/, s[8:9], v[0:1] /*v[256:257]*/
	v_add_nc_u64_e32 v[2:3] /*v[258:259]*/, s[8:9], v[2:3] /*v[258:259]*/
	;; [unrolled: 1-line block ×18, first 2 shown]
	s_and_b32 vcc_lo, exec_lo, s13
	s_add_nc_u64 s[10:11], s[10:11], s[20:21]
	s_set_vgpr_msb 0                        ;  msbs: dst=0 src0=0 src1=0 src2=0
	s_cbranch_vccnz .LBB189_219
; %bb.218:                              ;   in Loop: Header=BB189_145 Depth=1
	s_set_vgpr_msb 0x41                     ;  msbs: dst=1 src0=1 src1=0 src2=0
	v_mov_b32_e32 v51 /*v307*/, v38 /*v294*/
	s_set_vgpr_msb 0                        ;  msbs: dst=0 src0=0 src1=0 src2=0
	s_branch .LBB189_145
.LBB189_219:
	s_mov_b32 s13, 0
	s_delay_alu instid0(SALU_CYCLE_1)
	s_lshl_b64 s[4:5], s[12:13], 6
	s_wait_kmcnt 0x0
	s_cmp_lg_u64 s[2:3], 0
	v_and_or_b32 v2, 0x3ff, v0, s4
	v_mov_b32_e32 v3, s5
	s_cselect_b32 s4, -1, 0
	s_delay_alu instid0(VALU_DEP_1) | instskip(SKIP_1) | instid1(SALU_CYCLE_1)
	v_cmp_gt_i64_e32 vcc_lo, s[6:7], v[2:3]
	s_and_b32 s4, vcc_lo, s4
	s_and_saveexec_b32 s5, s4
	s_cbranch_execz .LBB189_221
; %bb.220:
	s_load_u16 s0, s[0:1], 0x4e
	s_set_vgpr_msb 1                        ;  msbs: dst=0 src0=1 src1=0 src2=0
	v_bfe_u32 v4, v38 /*v294*/, 16, 1
	s_set_vgpr_msb 0                        ;  msbs: dst=0 src0=0 src1=0 src2=0
	v_bfe_u32 v0, v0, 10, 10
	s_set_vgpr_msb 5                        ;  msbs: dst=0 src0=1 src1=1 src2=0
	v_cmp_o_f32_e32 vcc_lo, v38 /*v294*/, v38 /*v294*/
	s_set_vgpr_msb 1                        ;  msbs: dst=0 src0=1 src1=0 src2=0
	v_add3_u32 v4, v38 /*v294*/, v4, 0x7fff
	s_delay_alu instid0(VALU_DEP_1) | instskip(NEXT) | instid1(VALU_DEP_1)
	v_dual_mov_b32 v1, 0 :: v_dual_lshrrev_b32 v4, 16, v4
	v_cndmask_b32_e32 v4, 0x7fc0, v4, vcc_lo
	s_wait_kmcnt 0x0
	s_delay_alu instid0(VALU_DEP_2) | instskip(NEXT) | instid1(VALU_DEP_1)
	v_mad_nc_u64_u32 v[0:1], s0, s30, v[0:1]
	v_mul_u64_e32 v[0:1], s[6:7], v[0:1]
	s_set_vgpr_msb 0                        ;  msbs: dst=0 src0=0 src1=0 src2=0
	s_delay_alu instid0(VALU_DEP_1) | instskip(NEXT) | instid1(VALU_DEP_1)
	v_lshl_add_u64 v[0:1], v[0:1], 1, s[2:3]
	v_lshl_add_u64 v[0:1], v[2:3], 1, v[0:1]
	global_store_b16 v[0:1], v4, off
.LBB189_221:
	s_sendmsg sendmsg(MSG_DEALLOC_VGPRS)
	s_endpgm
	.section	.rodata,"a",@progbits
	.p2align	6, 0x0
	.amdhsa_kernel _ZN2at6native12_GLOBAL__N_135GammaBetaBackwardCUDAKernelTemplateIN3c108BFloat16EfLj64ELj1ELj32ELb1ELb0ELb1EEEvllPKT_S7_PKT0_SA_PS5_SB_
		.amdhsa_group_segment_fixed_size 0
		.amdhsa_private_segment_fixed_size 0
		.amdhsa_kernarg_size 320
		.amdhsa_user_sgpr_count 2
		.amdhsa_user_sgpr_dispatch_ptr 0
		.amdhsa_user_sgpr_queue_ptr 0
		.amdhsa_user_sgpr_kernarg_segment_ptr 1
		.amdhsa_user_sgpr_dispatch_id 0
		.amdhsa_user_sgpr_kernarg_preload_length 0
		.amdhsa_user_sgpr_kernarg_preload_offset 0
		.amdhsa_user_sgpr_private_segment_size 0
		.amdhsa_wavefront_size32 1
		.amdhsa_uses_dynamic_stack 0
		.amdhsa_enable_private_segment 0
		.amdhsa_system_sgpr_workgroup_id_x 1
		.amdhsa_system_sgpr_workgroup_id_y 1
		.amdhsa_system_sgpr_workgroup_id_z 0
		.amdhsa_system_sgpr_workgroup_info 0
		.amdhsa_system_vgpr_workitem_id 1
		.amdhsa_next_free_vgpr 337
		.amdhsa_next_free_sgpr 36
		.amdhsa_named_barrier_count 0
		.amdhsa_reserve_vcc 1
		.amdhsa_float_round_mode_32 0
		.amdhsa_float_round_mode_16_64 0
		.amdhsa_float_denorm_mode_32 3
		.amdhsa_float_denorm_mode_16_64 3
		.amdhsa_fp16_overflow 0
		.amdhsa_memory_ordered 1
		.amdhsa_forward_progress 1
		.amdhsa_inst_pref_size 152
		.amdhsa_round_robin_scheduling 0
		.amdhsa_exception_fp_ieee_invalid_op 0
		.amdhsa_exception_fp_denorm_src 0
		.amdhsa_exception_fp_ieee_div_zero 0
		.amdhsa_exception_fp_ieee_overflow 0
		.amdhsa_exception_fp_ieee_underflow 0
		.amdhsa_exception_fp_ieee_inexact 0
		.amdhsa_exception_int_div_zero 0
	.end_amdhsa_kernel
	.section	.text._ZN2at6native12_GLOBAL__N_135GammaBetaBackwardCUDAKernelTemplateIN3c108BFloat16EfLj64ELj1ELj32ELb1ELb0ELb1EEEvllPKT_S7_PKT0_SA_PS5_SB_,"axG",@progbits,_ZN2at6native12_GLOBAL__N_135GammaBetaBackwardCUDAKernelTemplateIN3c108BFloat16EfLj64ELj1ELj32ELb1ELb0ELb1EEEvllPKT_S7_PKT0_SA_PS5_SB_,comdat
.Lfunc_end189:
	.size	_ZN2at6native12_GLOBAL__N_135GammaBetaBackwardCUDAKernelTemplateIN3c108BFloat16EfLj64ELj1ELj32ELb1ELb0ELb1EEEvllPKT_S7_PKT0_SA_PS5_SB_, .Lfunc_end189-_ZN2at6native12_GLOBAL__N_135GammaBetaBackwardCUDAKernelTemplateIN3c108BFloat16EfLj64ELj1ELj32ELb1ELb0ELb1EEEvllPKT_S7_PKT0_SA_PS5_SB_
                                        ; -- End function
	.set _ZN2at6native12_GLOBAL__N_135GammaBetaBackwardCUDAKernelTemplateIN3c108BFloat16EfLj64ELj1ELj32ELb1ELb0ELb1EEEvllPKT_S7_PKT0_SA_PS5_SB_.num_vgpr, 337
	.set _ZN2at6native12_GLOBAL__N_135GammaBetaBackwardCUDAKernelTemplateIN3c108BFloat16EfLj64ELj1ELj32ELb1ELb0ELb1EEEvllPKT_S7_PKT0_SA_PS5_SB_.num_agpr, 0
	.set _ZN2at6native12_GLOBAL__N_135GammaBetaBackwardCUDAKernelTemplateIN3c108BFloat16EfLj64ELj1ELj32ELb1ELb0ELb1EEEvllPKT_S7_PKT0_SA_PS5_SB_.numbered_sgpr, 36
	.set _ZN2at6native12_GLOBAL__N_135GammaBetaBackwardCUDAKernelTemplateIN3c108BFloat16EfLj64ELj1ELj32ELb1ELb0ELb1EEEvllPKT_S7_PKT0_SA_PS5_SB_.num_named_barrier, 0
	.set _ZN2at6native12_GLOBAL__N_135GammaBetaBackwardCUDAKernelTemplateIN3c108BFloat16EfLj64ELj1ELj32ELb1ELb0ELb1EEEvllPKT_S7_PKT0_SA_PS5_SB_.private_seg_size, 0
	.set _ZN2at6native12_GLOBAL__N_135GammaBetaBackwardCUDAKernelTemplateIN3c108BFloat16EfLj64ELj1ELj32ELb1ELb0ELb1EEEvllPKT_S7_PKT0_SA_PS5_SB_.uses_vcc, 1
	.set _ZN2at6native12_GLOBAL__N_135GammaBetaBackwardCUDAKernelTemplateIN3c108BFloat16EfLj64ELj1ELj32ELb1ELb0ELb1EEEvllPKT_S7_PKT0_SA_PS5_SB_.uses_flat_scratch, 0
	.set _ZN2at6native12_GLOBAL__N_135GammaBetaBackwardCUDAKernelTemplateIN3c108BFloat16EfLj64ELj1ELj32ELb1ELb0ELb1EEEvllPKT_S7_PKT0_SA_PS5_SB_.has_dyn_sized_stack, 0
	.set _ZN2at6native12_GLOBAL__N_135GammaBetaBackwardCUDAKernelTemplateIN3c108BFloat16EfLj64ELj1ELj32ELb1ELb0ELb1EEEvllPKT_S7_PKT0_SA_PS5_SB_.has_recursion, 0
	.set _ZN2at6native12_GLOBAL__N_135GammaBetaBackwardCUDAKernelTemplateIN3c108BFloat16EfLj64ELj1ELj32ELb1ELb0ELb1EEEvllPKT_S7_PKT0_SA_PS5_SB_.has_indirect_call, 0
	.section	.AMDGPU.csdata,"",@progbits
; Kernel info:
; codeLenInByte = 19404
; TotalNumSgprs: 38
; NumVgprs: 337
; ScratchSize: 0
; MemoryBound: 0
; FloatMode: 240
; IeeeMode: 1
; LDSByteSize: 0 bytes/workgroup (compile time only)
; SGPRBlocks: 0
; VGPRBlocks: 21
; NumSGPRsForWavesPerEU: 38
; NumVGPRsForWavesPerEU: 337
; NamedBarCnt: 0
; Occupancy: 2
; WaveLimiterHint : 0
; COMPUTE_PGM_RSRC2:SCRATCH_EN: 0
; COMPUTE_PGM_RSRC2:USER_SGPR: 2
; COMPUTE_PGM_RSRC2:TRAP_HANDLER: 0
; COMPUTE_PGM_RSRC2:TGID_X_EN: 1
; COMPUTE_PGM_RSRC2:TGID_Y_EN: 1
; COMPUTE_PGM_RSRC2:TGID_Z_EN: 0
; COMPUTE_PGM_RSRC2:TIDIG_COMP_CNT: 1
	.section	.text._ZN2at6native12_GLOBAL__N_135GammaBetaBackwardCUDAKernelTemplateIN3c108BFloat16EfLj64ELj1ELj8ELb1ELb1ELb1EEEvllPKT_S7_PKT0_SA_PS5_SB_,"axG",@progbits,_ZN2at6native12_GLOBAL__N_135GammaBetaBackwardCUDAKernelTemplateIN3c108BFloat16EfLj64ELj1ELj8ELb1ELb1ELb1EEEvllPKT_S7_PKT0_SA_PS5_SB_,comdat
	.globl	_ZN2at6native12_GLOBAL__N_135GammaBetaBackwardCUDAKernelTemplateIN3c108BFloat16EfLj64ELj1ELj8ELb1ELb1ELb1EEEvllPKT_S7_PKT0_SA_PS5_SB_ ; -- Begin function _ZN2at6native12_GLOBAL__N_135GammaBetaBackwardCUDAKernelTemplateIN3c108BFloat16EfLj64ELj1ELj8ELb1ELb1ELb1EEEvllPKT_S7_PKT0_SA_PS5_SB_
	.p2align	8
	.type	_ZN2at6native12_GLOBAL__N_135GammaBetaBackwardCUDAKernelTemplateIN3c108BFloat16EfLj64ELj1ELj8ELb1ELb1ELb1EEEvllPKT_S7_PKT0_SA_PS5_SB_,@function
_ZN2at6native12_GLOBAL__N_135GammaBetaBackwardCUDAKernelTemplateIN3c108BFloat16EfLj64ELj1ELj8ELb1ELb1ELb1EEEvllPKT_S7_PKT0_SA_PS5_SB_: ; @_ZN2at6native12_GLOBAL__N_135GammaBetaBackwardCUDAKernelTemplateIN3c108BFloat16EfLj64ELj1ELj8ELb1ELb1ELb1EEEvllPKT_S7_PKT0_SA_PS5_SB_
; %bb.0:
	s_load_b128 s[4:7], s[0:1], 0x0
	s_bfe_u32 s2, ttmp6, 0x40010
	s_bfe_u32 s3, ttmp6, 0x40004
	s_add_co_i32 s2, s2, 1
	s_getreg_b32 s22, hwreg(HW_REG_IB_STS2, 6, 4)
	s_mul_i32 s2, ttmp7, s2
	s_mov_b32 s13, 0
	s_add_co_i32 s3, s3, s2
	s_cmp_eq_u32 s22, 0
	v_mov_b32_e32 v12, 0
	s_cselect_b32 s23, ttmp7, s3
	v_bfe_u32 v2, v0, 10, 10
	s_lshl_b32 s12, s23, 3
	v_and_b32_e32 v10, 0x3ff, v0
	s_wait_kmcnt 0x0
	v_cmp_le_i64_e64 s2, s[4:5], s[12:13]
	s_and_b32 vcc_lo, exec_lo, s2
	s_cbranch_vccnz .LBB190_7
; %bb.1:
	v_dual_mov_b32 v1, 0 :: v_dual_lshlrev_b32 v0, 3, v2
	s_load_b32 s2, s[0:1], 0x4c
	s_bfe_u32 s15, ttmp6, 0x4000c
	s_clause 0x2
	s_load_b32 s3, s[0:1], 0x44
	s_load_b128 s[8:11], s[0:1], 0x10
	s_load_b64 s[16:17], s[0:1], 0x28
	s_add_co_i32 s15, s15, 1
	v_add_nc_u64_e32 v[4:5], s[12:13], v[0:1]
	s_and_b32 s14, ttmp6, 15
	s_mul_i32 s15, ttmp9, s15
	v_dual_mov_b32 v11, 12 :: v_dual_mov_b32 v7, v1
	s_add_co_i32 s14, s14, s15
	s_mov_b32 s15, s13
	s_delay_alu instid0(VALU_DEP_2)
	v_mul_u64_e32 v[8:9], s[6:7], v[4:5]
	v_dual_mov_b32 v0, 8 :: v_dual_mov_b32 v3, 4
	v_dual_mov_b32 v13, 16 :: v_dual_mov_b32 v14, 20
	;; [unrolled: 1-line block ×3, first 2 shown]
	s_wait_kmcnt 0x0
	s_and_b32 s2, s2, 0xffff
	s_cmp_eq_u32 s22, 0
	v_mad_u32_u24 v6, v2, s2, v10
	s_cselect_b32 s2, ttmp9, s14
	v_mov_b32_e32 v17, v1
	v_lshl_or_b32 v16, s2, 6, v10
	s_lshl_b32 s14, s3, 3
	v_and_b32_e32 v6, 31, v6
	s_mul_u64 s[18:19], s[6:7], s[14:15]
	s_lshl_b64 s[20:21], s[6:7], 1
	v_lshlrev_b64_e32 v[18:19], 1, v[16:17]
	v_mov_b32_e32 v16, 28
	v_add_nc_u64_e32 v[4:5], v[4:5], v[6:7]
	v_cmp_gt_u32_e64 s2, 8, v6
	s_lshl_b64 s[18:19], s[18:19], 1
	v_lshl_add_u64 v[6:7], v[4:5], 2, s[16:17]
	s_lshl_b64 s[16:17], s[14:15], 2
	v_lshl_add_u64 v[8:9], v[8:9], 1, v[18:19]
	s_branch .LBB190_4
.LBB190_2:                              ;   in Loop: Header=BB190_4 Depth=1
	s_wait_xcnt 0x0
	s_or_b32 exec_lo, exec_lo, s24
.LBB190_3:                              ;   in Loop: Header=BB190_4 Depth=1
	s_delay_alu instid0(SALU_CYCLE_1)
	s_or_b32 exec_lo, exec_lo, s3
	v_add_nc_u64_e32 v[18:19], s[8:9], v[8:9]
	v_add_nc_u64_e32 v[20:21], s[10:11], v[8:9]
	s_add_nc_u64 s[12:13], s[12:13], s[14:15]
	v_add_nc_u64_e32 v[6:7], s[16:17], v[6:7]
	v_cmp_lt_i64_e64 s3, s[12:13], s[4:5]
	v_add_nc_u64_e32 v[4:5], s[14:15], v[4:5]
	v_add_nc_u64_e32 v[8:9], s[18:19], v[8:9]
	;; [unrolled: 1-line block ×4, first 2 shown]
	global_load_u16 v30, v[18:19], off
	global_load_u16 v31, v[20:21], off
	global_load_u16 v32, v[22:23], off
	global_load_u16 v33, v[24:25], off
	s_and_b32 vcc_lo, exec_lo, s3
	v_add_nc_u64_e32 v[26:27], s[20:21], v[22:23]
	v_add_nc_u64_e32 v[28:29], s[20:21], v[24:25]
	global_load_u16 v34, v[26:27], off
	global_load_u16 v35, v[28:29], off
	s_wait_xcnt 0x5
	v_add_nc_u64_e32 v[18:19], s[20:21], v[26:27]
	s_wait_xcnt 0x4
	v_add_nc_u64_e32 v[20:21], s[20:21], v[28:29]
	global_load_u16 v27, v[18:19], off
	global_load_u16 v28, v[20:21], off
	v_add_nc_u64_e32 v[22:23], s[20:21], v[18:19]
	v_add_nc_u64_e32 v[24:25], s[20:21], v[20:21]
	global_load_u16 v29, v[22:23], off
	global_load_u16 v36, v[24:25], off
	s_wait_xcnt 0x3
	v_add_nc_u64_e32 v[18:19], s[20:21], v[22:23]
	s_wait_xcnt 0x2
	v_add_nc_u64_e32 v[20:21], s[20:21], v[24:25]
	global_load_u16 v37, v[18:19], off
	global_load_u16 v38, v[20:21], off
	s_wait_xcnt 0x3
	v_add_nc_u64_e32 v[22:23], s[20:21], v[18:19]
	s_wait_xcnt 0x2
	v_add_nc_u64_e32 v[24:25], s[20:21], v[20:21]
	s_wait_xcnt 0x1
	s_delay_alu instid0(VALU_DEP_2) | instskip(SKIP_1) | instid1(VALU_DEP_2)
	v_add_nc_u64_e32 v[18:19], s[20:21], v[22:23]
	s_wait_xcnt 0x0
	v_add_nc_u64_e32 v[20:21], s[20:21], v[24:25]
	global_load_u16 v39, v[22:23], off
	global_load_u16 v40, v[24:25], off
	global_load_u16 v41, v[18:19], off
	global_load_u16 v42, v[20:21], off
	s_wait_loadcnt 0x10
	s_wait_xcnt 0x1
	ds_bpermute_b32 v18, v1, v17
	ds_bpermute_b32 v19, v3, v17
	;; [unrolled: 1-line block ×4, first 2 shown]
	s_wait_loadcnt 0xe
	s_wait_xcnt 0x0
	v_dual_lshlrev_b32 v20, 16, v30 :: v_dual_lshlrev_b32 v22, 16, v31
	s_wait_loadcnt 0xc
	v_dual_lshlrev_b32 v21, 16, v32 :: v_dual_lshlrev_b32 v23, 16, v33
	s_delay_alu instid0(VALU_DEP_1) | instskip(SKIP_3) | instid1(VALU_DEP_2)
	v_pk_mul_f32 v[20:21], v[20:21], v[22:23]
	s_wait_loadcnt 0xa
	v_dual_lshlrev_b32 v22, 16, v34 :: v_dual_lshlrev_b32 v26, 16, v35
	s_wait_dscnt 0x2
	v_pk_mul_f32 v[18:19], v[20:21], v[18:19]
	ds_bpermute_b32 v20, v13, v17
	ds_bpermute_b32 v21, v14, v17
	s_wait_loadcnt 0x9
	v_dual_add_f32 v12, v12, v18 :: v_dual_lshlrev_b32 v23, 16, v27
	s_wait_loadcnt 0x8
	v_lshlrev_b32_e32 v27, 16, v28
	ds_bpermute_b32 v18, v15, v17
	v_pk_mul_f32 v[22:23], v[22:23], v[26:27]
	s_wait_loadcnt 0x7
	v_dual_lshlrev_b32 v26, 16, v29 :: v_dual_add_f32 v12, v12, v19
	ds_bpermute_b32 v19, v16, v17
	s_wait_dscnt 0x4
	v_pk_mul_f32 v[22:23], v[22:23], v[24:25]
	s_wait_loadcnt 0x5
	v_dual_lshlrev_b32 v24, 16, v36 :: v_dual_lshlrev_b32 v27, 16, v37
	s_wait_loadcnt 0x4
	v_lshlrev_b32_e32 v25, 16, v38
	v_add_f32_e32 v12, v12, v22
	s_delay_alu instid0(VALU_DEP_2)
	v_pk_mul_f32 v[24:25], v[26:27], v[24:25]
	s_wait_loadcnt 0x3
	v_lshlrev_b32_e32 v22, 16, v39
	s_wait_loadcnt 0x2
	v_dual_add_f32 v12, v12, v23 :: v_dual_lshlrev_b32 v26, 16, v40
	s_wait_dscnt 0x2
	v_pk_mul_f32 v[20:21], v[24:25], v[20:21]
	s_wait_loadcnt 0x0
	v_dual_lshlrev_b32 v23, 16, v41 :: v_dual_lshlrev_b32 v27, 16, v42
	s_delay_alu instid0(VALU_DEP_2) | instskip(NEXT) | instid1(VALU_DEP_2)
	v_add_f32_e32 v12, v12, v20
	v_pk_mul_f32 v[22:23], v[22:23], v[26:27]
	s_delay_alu instid0(VALU_DEP_2) | instskip(SKIP_1) | instid1(VALU_DEP_2)
	v_add_f32_e32 v12, v12, v21
	s_wait_dscnt 0x0
	v_pk_mul_f32 v[18:19], v[22:23], v[18:19]
	s_delay_alu instid0(VALU_DEP_1) | instskip(NEXT) | instid1(VALU_DEP_1)
	v_add_f32_e32 v12, v12, v18
	v_add_f32_e32 v12, v12, v19
	s_cbranch_vccz .LBB190_7
.LBB190_4:                              ; =>This Inner Loop Header: Depth=1
	v_mov_b32_e32 v17, 0
	s_and_saveexec_b32 s3, s2
	s_cbranch_execz .LBB190_3
; %bb.5:                                ;   in Loop: Header=BB190_4 Depth=1
	v_mov_b32_e32 v17, 0
	s_mov_b32 s24, exec_lo
	v_cmpx_gt_i64_e64 s[4:5], v[4:5]
	s_cbranch_execz .LBB190_2
; %bb.6:                                ;   in Loop: Header=BB190_4 Depth=1
	global_load_b32 v17, v[6:7], off
	s_branch .LBB190_2
.LBB190_7:
	s_load_b64 s[2:3], s[0:1], 0x30
	s_wait_kmcnt 0x0
	s_cmp_eq_u64 s[2:3], 0
	s_cbranch_scc1 .LBB190_9
; %bb.8:
	s_load_u16 s0, s[0:1], 0x4e
	v_mov_b32_e32 v3, 0
	s_and_b32 s4, ttmp6, 15
	s_wait_xcnt 0x0
	s_mov_b32 s1, 0
	v_cmp_o_f32_e32 vcc_lo, v12, v12
	s_wait_kmcnt 0x0
	v_mad_nc_u64_u32 v[0:1], s0, s23, v[2:3]
	s_bfe_u32 s0, ttmp6, 0x4000c
	v_bfe_u32 v2, v12, 16, 1
	s_add_co_i32 s0, s0, 1
	s_delay_alu instid0(SALU_CYCLE_1) | instskip(NEXT) | instid1(SALU_CYCLE_1)
	s_mul_i32 s0, ttmp9, s0
	s_add_co_i32 s4, s4, s0
	s_cmp_eq_u32 s22, 0
	v_add3_u32 v4, v12, v2, 0x7fff
	s_cselect_b32 s0, ttmp9, s4
	s_delay_alu instid0(VALU_DEP_3) | instskip(SKIP_1) | instid1(VALU_DEP_2)
	v_mul_u64_e32 v[0:1], s[6:7], v[0:1]
	s_lshl_b64 s[0:1], s[0:1], 7
	v_dual_lshlrev_b32 v2, 1, v10 :: v_dual_lshrrev_b32 v4, 16, v4
	s_delay_alu instid0(VALU_DEP_2) | instskip(NEXT) | instid1(VALU_DEP_1)
	v_lshl_add_u64 v[0:1], v[0:1], 1, s[2:3]
	v_add_nc_u64_e32 v[0:1], s[0:1], v[0:1]
	s_delay_alu instid0(VALU_DEP_1) | instskip(NEXT) | instid1(VALU_DEP_4)
	v_add_nc_u64_e32 v[0:1], v[0:1], v[2:3]
	v_cndmask_b32_e32 v2, 0x7fc0, v4, vcc_lo
	global_store_b16 v[0:1], v2, off
.LBB190_9:
	s_endpgm
	.section	.rodata,"a",@progbits
	.p2align	6, 0x0
	.amdhsa_kernel _ZN2at6native12_GLOBAL__N_135GammaBetaBackwardCUDAKernelTemplateIN3c108BFloat16EfLj64ELj1ELj8ELb1ELb1ELb1EEEvllPKT_S7_PKT0_SA_PS5_SB_
		.amdhsa_group_segment_fixed_size 0
		.amdhsa_private_segment_fixed_size 0
		.amdhsa_kernarg_size 320
		.amdhsa_user_sgpr_count 2
		.amdhsa_user_sgpr_dispatch_ptr 0
		.amdhsa_user_sgpr_queue_ptr 0
		.amdhsa_user_sgpr_kernarg_segment_ptr 1
		.amdhsa_user_sgpr_dispatch_id 0
		.amdhsa_user_sgpr_kernarg_preload_length 0
		.amdhsa_user_sgpr_kernarg_preload_offset 0
		.amdhsa_user_sgpr_private_segment_size 0
		.amdhsa_wavefront_size32 1
		.amdhsa_uses_dynamic_stack 0
		.amdhsa_enable_private_segment 0
		.amdhsa_system_sgpr_workgroup_id_x 1
		.amdhsa_system_sgpr_workgroup_id_y 1
		.amdhsa_system_sgpr_workgroup_id_z 0
		.amdhsa_system_sgpr_workgroup_info 0
		.amdhsa_system_vgpr_workitem_id 1
		.amdhsa_next_free_vgpr 43
		.amdhsa_next_free_sgpr 25
		.amdhsa_named_barrier_count 0
		.amdhsa_reserve_vcc 1
		.amdhsa_float_round_mode_32 0
		.amdhsa_float_round_mode_16_64 0
		.amdhsa_float_denorm_mode_32 3
		.amdhsa_float_denorm_mode_16_64 3
		.amdhsa_fp16_overflow 0
		.amdhsa_memory_ordered 1
		.amdhsa_forward_progress 1
		.amdhsa_inst_pref_size 10
		.amdhsa_round_robin_scheduling 0
		.amdhsa_exception_fp_ieee_invalid_op 0
		.amdhsa_exception_fp_denorm_src 0
		.amdhsa_exception_fp_ieee_div_zero 0
		.amdhsa_exception_fp_ieee_overflow 0
		.amdhsa_exception_fp_ieee_underflow 0
		.amdhsa_exception_fp_ieee_inexact 0
		.amdhsa_exception_int_div_zero 0
	.end_amdhsa_kernel
	.section	.text._ZN2at6native12_GLOBAL__N_135GammaBetaBackwardCUDAKernelTemplateIN3c108BFloat16EfLj64ELj1ELj8ELb1ELb1ELb1EEEvllPKT_S7_PKT0_SA_PS5_SB_,"axG",@progbits,_ZN2at6native12_GLOBAL__N_135GammaBetaBackwardCUDAKernelTemplateIN3c108BFloat16EfLj64ELj1ELj8ELb1ELb1ELb1EEEvllPKT_S7_PKT0_SA_PS5_SB_,comdat
.Lfunc_end190:
	.size	_ZN2at6native12_GLOBAL__N_135GammaBetaBackwardCUDAKernelTemplateIN3c108BFloat16EfLj64ELj1ELj8ELb1ELb1ELb1EEEvllPKT_S7_PKT0_SA_PS5_SB_, .Lfunc_end190-_ZN2at6native12_GLOBAL__N_135GammaBetaBackwardCUDAKernelTemplateIN3c108BFloat16EfLj64ELj1ELj8ELb1ELb1ELb1EEEvllPKT_S7_PKT0_SA_PS5_SB_
                                        ; -- End function
	.set _ZN2at6native12_GLOBAL__N_135GammaBetaBackwardCUDAKernelTemplateIN3c108BFloat16EfLj64ELj1ELj8ELb1ELb1ELb1EEEvllPKT_S7_PKT0_SA_PS5_SB_.num_vgpr, 43
	.set _ZN2at6native12_GLOBAL__N_135GammaBetaBackwardCUDAKernelTemplateIN3c108BFloat16EfLj64ELj1ELj8ELb1ELb1ELb1EEEvllPKT_S7_PKT0_SA_PS5_SB_.num_agpr, 0
	.set _ZN2at6native12_GLOBAL__N_135GammaBetaBackwardCUDAKernelTemplateIN3c108BFloat16EfLj64ELj1ELj8ELb1ELb1ELb1EEEvllPKT_S7_PKT0_SA_PS5_SB_.numbered_sgpr, 25
	.set _ZN2at6native12_GLOBAL__N_135GammaBetaBackwardCUDAKernelTemplateIN3c108BFloat16EfLj64ELj1ELj8ELb1ELb1ELb1EEEvllPKT_S7_PKT0_SA_PS5_SB_.num_named_barrier, 0
	.set _ZN2at6native12_GLOBAL__N_135GammaBetaBackwardCUDAKernelTemplateIN3c108BFloat16EfLj64ELj1ELj8ELb1ELb1ELb1EEEvllPKT_S7_PKT0_SA_PS5_SB_.private_seg_size, 0
	.set _ZN2at6native12_GLOBAL__N_135GammaBetaBackwardCUDAKernelTemplateIN3c108BFloat16EfLj64ELj1ELj8ELb1ELb1ELb1EEEvllPKT_S7_PKT0_SA_PS5_SB_.uses_vcc, 1
	.set _ZN2at6native12_GLOBAL__N_135GammaBetaBackwardCUDAKernelTemplateIN3c108BFloat16EfLj64ELj1ELj8ELb1ELb1ELb1EEEvllPKT_S7_PKT0_SA_PS5_SB_.uses_flat_scratch, 0
	.set _ZN2at6native12_GLOBAL__N_135GammaBetaBackwardCUDAKernelTemplateIN3c108BFloat16EfLj64ELj1ELj8ELb1ELb1ELb1EEEvllPKT_S7_PKT0_SA_PS5_SB_.has_dyn_sized_stack, 0
	.set _ZN2at6native12_GLOBAL__N_135GammaBetaBackwardCUDAKernelTemplateIN3c108BFloat16EfLj64ELj1ELj8ELb1ELb1ELb1EEEvllPKT_S7_PKT0_SA_PS5_SB_.has_recursion, 0
	.set _ZN2at6native12_GLOBAL__N_135GammaBetaBackwardCUDAKernelTemplateIN3c108BFloat16EfLj64ELj1ELj8ELb1ELb1ELb1EEEvllPKT_S7_PKT0_SA_PS5_SB_.has_indirect_call, 0
	.section	.AMDGPU.csdata,"",@progbits
; Kernel info:
; codeLenInByte = 1236
; TotalNumSgprs: 27
; NumVgprs: 43
; ScratchSize: 0
; MemoryBound: 0
; FloatMode: 240
; IeeeMode: 1
; LDSByteSize: 0 bytes/workgroup (compile time only)
; SGPRBlocks: 0
; VGPRBlocks: 2
; NumSGPRsForWavesPerEU: 27
; NumVGPRsForWavesPerEU: 43
; NamedBarCnt: 0
; Occupancy: 16
; WaveLimiterHint : 0
; COMPUTE_PGM_RSRC2:SCRATCH_EN: 0
; COMPUTE_PGM_RSRC2:USER_SGPR: 2
; COMPUTE_PGM_RSRC2:TRAP_HANDLER: 0
; COMPUTE_PGM_RSRC2:TGID_X_EN: 1
; COMPUTE_PGM_RSRC2:TGID_Y_EN: 1
; COMPUTE_PGM_RSRC2:TGID_Z_EN: 0
; COMPUTE_PGM_RSRC2:TIDIG_COMP_CNT: 1
	.section	.text._ZN2at6native12_GLOBAL__N_135GammaBetaBackwardCUDAKernelTemplateIN3c108BFloat16EfLj64ELj1ELj8ELb1ELb0ELb1EEEvllPKT_S7_PKT0_SA_PS5_SB_,"axG",@progbits,_ZN2at6native12_GLOBAL__N_135GammaBetaBackwardCUDAKernelTemplateIN3c108BFloat16EfLj64ELj1ELj8ELb1ELb0ELb1EEEvllPKT_S7_PKT0_SA_PS5_SB_,comdat
	.globl	_ZN2at6native12_GLOBAL__N_135GammaBetaBackwardCUDAKernelTemplateIN3c108BFloat16EfLj64ELj1ELj8ELb1ELb0ELb1EEEvllPKT_S7_PKT0_SA_PS5_SB_ ; -- Begin function _ZN2at6native12_GLOBAL__N_135GammaBetaBackwardCUDAKernelTemplateIN3c108BFloat16EfLj64ELj1ELj8ELb1ELb0ELb1EEEvllPKT_S7_PKT0_SA_PS5_SB_
	.p2align	8
	.type	_ZN2at6native12_GLOBAL__N_135GammaBetaBackwardCUDAKernelTemplateIN3c108BFloat16EfLj64ELj1ELj8ELb1ELb0ELb1EEEvllPKT_S7_PKT0_SA_PS5_SB_,@function
_ZN2at6native12_GLOBAL__N_135GammaBetaBackwardCUDAKernelTemplateIN3c108BFloat16EfLj64ELj1ELj8ELb1ELb0ELb1EEEvllPKT_S7_PKT0_SA_PS5_SB_: ; @_ZN2at6native12_GLOBAL__N_135GammaBetaBackwardCUDAKernelTemplateIN3c108BFloat16EfLj64ELj1ELj8ELb1ELb0ELb1EEEvllPKT_S7_PKT0_SA_PS5_SB_
; %bb.0:
	s_load_b256 s[4:11], s[0:1], 0x0
	s_bfe_u32 s3, ttmp6, 0x4000c
	s_bfe_u32 s12, ttmp6, 0x40010
	s_add_co_i32 s3, s3, 1
	s_add_co_i32 s12, s12, 1
	s_and_b32 s2, ttmp6, 15
	s_bfe_u32 s13, ttmp6, 0x40004
	s_mul_i32 s3, ttmp9, s3
	s_mul_i32 s12, ttmp7, s12
	s_getreg_b32 s14, hwreg(HW_REG_IB_STS2, 6, 4)
	s_add_co_i32 s2, s2, s3
	s_add_co_i32 s13, s13, s12
	s_cmp_eq_u32 s14, 0
	s_mov_b32 s17, 0
	s_cselect_b32 s12, ttmp9, s2
	s_cselect_b32 s30, ttmp7, s13
	s_lshl_b32 s13, s12, 6
	s_load_b64 s[14:15], s[0:1], 0x28
	s_or_b32 s16, s13, 63
	s_wait_kmcnt 0x0
	v_cmp_le_i64_e64 s2, s[6:7], s[16:17]
	s_lshl_b32 s16, s30, 3
	s_delay_alu instid0(SALU_CYCLE_1) | instskip(SKIP_2) | instid1(VALU_DEP_1)
	v_cmp_gt_i64_e64 s31, s[4:5], s[16:17]
	s_and_b32 vcc_lo, exec_lo, s2
	v_cndmask_b32_e64 v1, 0, 1, s31
	v_cmp_ne_u32_e64 s2, 1, v1
	s_cbranch_vccz .LBB191_49
; %bb.1:
	v_mov_b32_e32 v88, 0
	s_and_b32 vcc_lo, exec_lo, s2
	s_cbranch_vccnz .LBB191_50
; %bb.2:
	v_bfe_u32 v1, v0, 10, 10
	v_mov_b32_e32 v2, 0
	v_and_b32_e32 v58, 0x3ff, v0
	s_load_b32 s3, s[0:1], 0x44
	s_mov_b32 s19, 0
	s_delay_alu instid0(VALU_DEP_2) | instskip(NEXT) | instid1(VALU_DEP_2)
	v_dual_mov_b32 v21, v2 :: v_dual_lshlrev_b32 v20, 3, v1
	v_dual_mov_b32 v19, v2 :: v_dual_add_nc_u32 v18, s13, v58
	v_mov_b32_e32 v59, 0
	s_mov_b32 s23, s19
	s_delay_alu instid0(VALU_DEP_3)
	v_add_nc_u64_e32 v[4:5], s[16:17], v[20:21]
	s_add_nc_u64 s[20:21], s[0:1], 64
	v_cmp_gt_i64_e64 s2, s[6:7], v[18:19]
	v_lshlrev_b64_e32 v[22:23], 1, v[18:19]
	s_mov_b64 s[26:27], 7
	s_mov_b64 s[28:29], s[16:17]
	v_mul_u64_e32 v[6:7], s[6:7], v[4:5]
	v_add_nc_u64_e32 v[8:9], 7, v[4:5]
	v_add_nc_u64_e32 v[10:11], 6, v[4:5]
	;; [unrolled: 1-line block ×6, first 2 shown]
	s_wait_kmcnt 0x0
	s_lshl_b32 s22, s3, 3
	v_mul_u64_e32 v[8:9], s[6:7], v[8:9]
	v_mul_u64_e32 v[10:11], s[6:7], v[10:11]
	;; [unrolled: 1-line block ×6, first 2 shown]
	s_mul_u64 s[24:25], s[6:7], s[22:23]
	s_delay_alu instid0(SALU_CYCLE_1) | instskip(SKIP_2) | instid1(VALU_DEP_2)
	s_lshl_b64 s[24:25], s[24:25], 1
	v_lshlrev_b64_e32 v[26:27], 1, v[6:7]
	v_add_nc_u64_e32 v[6:7], s[6:7], v[6:7]
	v_add_nc_u64_e32 v[24:25], s[8:9], v[26:27]
	v_lshlrev_b64_e32 v[8:9], 1, v[8:9]
	v_lshlrev_b64_e32 v[10:11], 1, v[10:11]
	v_lshlrev_b64_e32 v[12:13], 1, v[12:13]
	v_lshlrev_b64_e32 v[14:15], 1, v[14:15]
	v_lshlrev_b64_e32 v[16:17], 1, v[16:17]
	v_lshlrev_b64_e32 v[4:5], 1, v[4:5]
	v_lshlrev_b64_e32 v[6:7], 1, v[6:7]
	v_add_nc_u64_e32 v[26:27], s[10:11], v[26:27]
	v_add_nc_u64_e32 v[28:29], s[8:9], v[8:9]
	;; [unrolled: 1-line block ×15, first 2 shown]
.LBB191_3:                              ; =>This Inner Loop Header: Depth=1
	s_add_nc_u64 s[34:35], s[16:17], s[26:27]
	v_add_nc_u64_e32 v[56:57], s[16:17], v[20:21]
	v_cmp_ge_i64_e64 s3, s[34:35], s[4:5]
                                        ; implicit-def: $vgpr88
                                        ; implicit-def: $vgpr12_vgpr13_vgpr14_vgpr15_vgpr16_vgpr17_vgpr18_vgpr19
                                        ; implicit-def: $vgpr4_vgpr5_vgpr6_vgpr7_vgpr8_vgpr9_vgpr10_vgpr11
                                        ; implicit-def: $vgpr3
	s_and_b32 vcc_lo, exec_lo, s3
	s_mov_b32 s3, -1
	s_cbranch_vccz .LBB191_25
; %bb.4:                                ;   in Loop: Header=BB191_3 Depth=1
	s_load_b32 s3, s[20:21], 0xc
	v_mov_b32_e32 v60, 0
	s_wait_kmcnt 0x0
	s_and_b32 s3, s3, 0xffff
	s_delay_alu instid0(SALU_CYCLE_1) | instskip(SKIP_1) | instid1(VALU_DEP_1)
	v_mad_u32_u24 v3, v1, s3, v58
	s_mov_b32 s3, exec_lo
	v_and_b32_e32 v4, 31, v3
	s_delay_alu instid0(VALU_DEP_1)
	v_cmpx_gt_u32_e32 8, v4
	s_cbranch_execz .LBB191_8
; %bb.5:                                ;   in Loop: Header=BB191_3 Depth=1
	v_dual_mov_b32 v5, v2 :: v_dual_mov_b32 v60, 0
	s_mov_b32 s18, exec_lo
	s_delay_alu instid0(VALU_DEP_1) | instskip(NEXT) | instid1(VALU_DEP_1)
	v_add_nc_u64_e32 v[4:5], v[56:57], v[4:5]
	v_cmpx_gt_i64_e64 s[4:5], v[4:5]
	s_cbranch_execz .LBB191_7
; %bb.6:                                ;   in Loop: Header=BB191_3 Depth=1
	v_lshl_add_u64 v[4:5], v[4:5], 2, s[14:15]
	global_load_b32 v60, v[4:5], off
.LBB191_7:                              ;   in Loop: Header=BB191_3 Depth=1
	s_wait_xcnt 0x0
	s_or_b32 exec_lo, exec_lo, s18
.LBB191_8:                              ;   in Loop: Header=BB191_3 Depth=1
	s_delay_alu instid0(SALU_CYCLE_1)
	s_or_b32 exec_lo, exec_lo, s3
	v_dual_mov_b32 v7, v2 :: v_dual_mov_b32 v8, v2
	v_dual_mov_b32 v9, v2 :: v_dual_mov_b32 v3, v2
	;; [unrolled: 1-line block ×3, first 2 shown]
	v_mov_b32_e32 v6, v2
	v_cmp_gt_i64_e32 vcc_lo, s[4:5], v[56:57]
	s_delay_alu instid0(VALU_DEP_4)
	v_mov_b64_e32 v[18:19], v[8:9]
	v_mov_b64_e32 v[12:13], v[2:3]
	;; [unrolled: 1-line block ×8, first 2 shown]
	s_and_b32 s18, s2, vcc_lo
	s_delay_alu instid0(SALU_CYCLE_1)
	s_and_saveexec_b32 s3, s18
	s_cbranch_execz .LBB191_10
; %bb.9:                                ;   in Loop: Header=BB191_3 Depth=1
	v_add_nc_u64_e32 v[4:5], v[24:25], v[22:23]
	v_add_nc_u64_e32 v[6:7], v[26:27], v[22:23]
	v_dual_mov_b32 v9, v2 :: v_dual_mov_b32 v10, v2
	v_dual_mov_b32 v11, v2 :: v_dual_mov_b32 v13, v2
	;; [unrolled: 1-line block ×3, first 2 shown]
	global_load_u16 v3, v[4:5], off
	global_load_u16 v12, v[6:7], off
	s_wait_xcnt 0x0
	v_dual_mov_b32 v5, v2 :: v_dual_mov_b32 v6, v2
	v_dual_mov_b32 v7, v2 :: v_dual_mov_b32 v8, v2
	;; [unrolled: 1-line block ×4, first 2 shown]
	s_wait_loadcnt 0x0
	v_dual_lshlrev_b32 v4, 16, v3 :: v_dual_lshlrev_b32 v12, 16, v12
.LBB191_10:                             ;   in Loop: Header=BB191_3 Depth=1
	s_or_b32 exec_lo, exec_lo, s3
	v_add_nc_u64_e32 v[62:63], 1, v[56:57]
	s_delay_alu instid0(VALU_DEP_1) | instskip(SKIP_1) | instid1(SALU_CYCLE_1)
	v_cmp_gt_i64_e32 vcc_lo, s[4:5], v[62:63]
	s_and_b32 s18, s2, vcc_lo
	s_and_saveexec_b32 s3, s18
	s_cbranch_execz .LBB191_12
; %bb.11:                               ;   in Loop: Header=BB191_3 Depth=1
	v_add_nc_u64_e32 v[62:63], v[52:53], v[22:23]
	v_add_nc_u64_e32 v[64:65], v[54:55], v[22:23]
	global_load_u16 v3, v[62:63], off
	global_load_u16 v13, v[64:65], off
	s_wait_loadcnt 0x0
	v_dual_lshlrev_b32 v5, 16, v3 :: v_dual_lshlrev_b32 v13, 16, v13
.LBB191_12:                             ;   in Loop: Header=BB191_3 Depth=1
	s_or_b32 exec_lo, exec_lo, s3
	v_add_nc_u64_e32 v[62:63], 2, v[56:57]
	s_delay_alu instid0(VALU_DEP_1) | instskip(SKIP_1) | instid1(SALU_CYCLE_1)
	v_cmp_gt_i64_e32 vcc_lo, s[4:5], v[62:63]
	s_and_b32 s18, s2, vcc_lo
	s_and_saveexec_b32 s3, s18
	s_cbranch_execz .LBB191_14
; %bb.13:                               ;   in Loop: Header=BB191_3 Depth=1
	v_add_nc_u64_e32 v[62:63], v[48:49], v[22:23]
	v_add_nc_u64_e32 v[64:65], v[50:51], v[22:23]
	global_load_u16 v3, v[62:63], off
	global_load_u16 v14, v[64:65], off
	s_wait_loadcnt 0x0
	v_dual_lshlrev_b32 v6, 16, v3 :: v_dual_lshlrev_b32 v14, 16, v14
.LBB191_14:                             ;   in Loop: Header=BB191_3 Depth=1
	s_or_b32 exec_lo, exec_lo, s3
	v_add_nc_u64_e32 v[62:63], 3, v[56:57]
	s_delay_alu instid0(VALU_DEP_1) | instskip(SKIP_1) | instid1(SALU_CYCLE_1)
	v_cmp_gt_i64_e32 vcc_lo, s[4:5], v[62:63]
	s_and_b32 s18, s2, vcc_lo
	s_and_saveexec_b32 s3, s18
	s_cbranch_execz .LBB191_16
; %bb.15:                               ;   in Loop: Header=BB191_3 Depth=1
	v_add_nc_u64_e32 v[62:63], v[44:45], v[22:23]
	v_add_nc_u64_e32 v[64:65], v[46:47], v[22:23]
	global_load_u16 v3, v[62:63], off
	global_load_u16 v15, v[64:65], off
	s_wait_loadcnt 0x1
	v_lshlrev_b32_e32 v7, 16, v3
	s_wait_loadcnt 0x0
	v_lshlrev_b32_e32 v15, 16, v15
.LBB191_16:                             ;   in Loop: Header=BB191_3 Depth=1
	s_or_b32 exec_lo, exec_lo, s3
	v_add_nc_u64_e32 v[62:63], 4, v[56:57]
	s_delay_alu instid0(VALU_DEP_1) | instskip(SKIP_1) | instid1(SALU_CYCLE_1)
	v_cmp_gt_i64_e32 vcc_lo, s[4:5], v[62:63]
	s_and_b32 s18, s2, vcc_lo
	s_and_saveexec_b32 s3, s18
	s_cbranch_execz .LBB191_18
; %bb.17:                               ;   in Loop: Header=BB191_3 Depth=1
	v_add_nc_u64_e32 v[62:63], v[40:41], v[22:23]
	v_add_nc_u64_e32 v[64:65], v[42:43], v[22:23]
	global_load_u16 v3, v[62:63], off
	global_load_u16 v16, v[64:65], off
	s_wait_loadcnt 0x0
	v_dual_lshlrev_b32 v8, 16, v3 :: v_dual_lshlrev_b32 v16, 16, v16
.LBB191_18:                             ;   in Loop: Header=BB191_3 Depth=1
	s_or_b32 exec_lo, exec_lo, s3
	v_add_nc_u64_e32 v[62:63], 5, v[56:57]
	s_delay_alu instid0(VALU_DEP_1) | instskip(SKIP_1) | instid1(SALU_CYCLE_1)
	v_cmp_gt_i64_e32 vcc_lo, s[4:5], v[62:63]
	s_and_b32 s18, s2, vcc_lo
	s_and_saveexec_b32 s3, s18
	s_cbranch_execz .LBB191_20
; %bb.19:                               ;   in Loop: Header=BB191_3 Depth=1
	v_add_nc_u64_e32 v[62:63], v[36:37], v[22:23]
	v_add_nc_u64_e32 v[64:65], v[38:39], v[22:23]
	global_load_u16 v3, v[62:63], off
	global_load_u16 v17, v[64:65], off
	s_wait_loadcnt 0x0
	v_dual_lshlrev_b32 v9, 16, v3 :: v_dual_lshlrev_b32 v17, 16, v17
.LBB191_20:                             ;   in Loop: Header=BB191_3 Depth=1
	;; [unrolled: 15-line block ×3, first 2 shown]
	s_or_b32 exec_lo, exec_lo, s3
	v_add_nc_u64_e32 v[62:63], 7, v[56:57]
	s_delay_alu instid0(VALU_DEP_1) | instskip(SKIP_1) | instid1(SALU_CYCLE_1)
	v_cmp_gt_i64_e32 vcc_lo, s[4:5], v[62:63]
	s_and_b32 s18, s2, vcc_lo
	s_and_saveexec_b32 s3, s18
	s_cbranch_execz .LBB191_24
; %bb.23:                               ;   in Loop: Header=BB191_3 Depth=1
	v_add_nc_u64_e32 v[62:63], v[28:29], v[22:23]
	v_add_nc_u64_e32 v[64:65], v[30:31], v[22:23]
	global_load_u16 v3, v[62:63], off
	global_load_u16 v19, v[64:65], off
	s_wait_loadcnt 0x1
	v_lshlrev_b32_e32 v11, 16, v3
	s_wait_loadcnt 0x0
	v_lshlrev_b32_e32 v19, 16, v19
.LBB191_24:                             ;   in Loop: Header=BB191_3 Depth=1
	s_or_b32 exec_lo, exec_lo, s3
	s_wait_loadcnt 0x0
	ds_bpermute_b32 v3, v2, v60
	ds_bpermute_b32 v62, v2, v60 offset:4
	ds_bpermute_b32 v63, v2, v60 offset:8
	;; [unrolled: 1-line block ×4, first 2 shown]
	v_pk_mul_f32 v[6:7], v[14:15], v[6:7]
	v_dual_mul_f32 v14, v12, v4 :: v_dual_mul_f32 v4, v13, v5
	v_pk_mul_f32 v[8:9], v[16:17], v[8:9]
	ds_bpermute_b32 v12, v2, v60 offset:20
	v_dual_mov_b32 v5, v6 :: v_dual_mov_b32 v6, v7
	ds_bpermute_b32 v13, v2, v60 offset:24
	s_mov_b32 s3, 0
	s_wait_dscnt 0x6
	v_dual_mov_b32 v7, v8 :: v_dual_fma_f32 v3, v14, v3, v59
	s_wait_dscnt 0x4
	v_pk_mul_f32 v[4:5], v[4:5], v[62:63]
	s_wait_dscnt 0x2
	s_delay_alu instid0(VALU_DEP_2) | instskip(NEXT) | instid1(VALU_DEP_2)
	v_pk_mul_f32 v[6:7], v[6:7], v[64:65]
	v_add_f32_e32 v3, v3, v4
	s_delay_alu instid0(VALU_DEP_1) | instskip(SKIP_2) | instid1(VALU_DEP_1)
	v_dual_add_f32 v4, v3, v5 :: v_dual_mul_f32 v5, v18, v10
	ds_bpermute_b32 v3, v2, v60 offset:28
	v_dual_add_f32 v6, v4, v6 :: v_dual_mov_b32 v4, v9
	v_add_f32_e32 v6, v6, v7
	s_wait_dscnt 0x1
	s_delay_alu instid0(VALU_DEP_2) | instskip(NEXT) | instid1(VALU_DEP_1)
	v_pk_mul_f32 v[4:5], v[4:5], v[12:13]
	v_add_f32_e32 v4, v6, v4
	s_delay_alu instid0(VALU_DEP_1)
	v_add_f32_e32 v88, v4, v5
.LBB191_25:                             ;   in Loop: Header=BB191_3 Depth=1
	s_and_b32 vcc_lo, exec_lo, s3
	s_cbranch_vccz .LBB191_40
; %bb.26:                               ;   in Loop: Header=BB191_3 Depth=1
	s_load_b32 s3, s[20:21], 0x0
	v_mov_b32_e32 v60, 0
	s_wait_kmcnt 0x0
	s_cmp_lt_u32 s12, s3
	s_cselect_b32 s18, 12, 18
	s_delay_alu instid0(SALU_CYCLE_1)
	s_add_nc_u64 s[34:35], s[20:21], s[18:19]
	s_load_u16 s3, s[34:35], 0x0
	s_wait_dscnt 0x0
	s_wait_kmcnt 0x0
	v_mad_u32_u24 v3, v1, s3, v58
	s_mov_b32 s3, exec_lo
	s_delay_alu instid0(VALU_DEP_1) | instskip(NEXT) | instid1(VALU_DEP_1)
	v_and_b32_e32 v4, 31, v3
	v_cmpx_gt_u32_e32 8, v4
	s_cbranch_execz .LBB191_30
; %bb.27:                               ;   in Loop: Header=BB191_3 Depth=1
	v_dual_mov_b32 v5, v2 :: v_dual_mov_b32 v60, 0
	s_mov_b32 s18, exec_lo
	s_delay_alu instid0(VALU_DEP_1) | instskip(NEXT) | instid1(VALU_DEP_1)
	v_add_nc_u64_e32 v[4:5], v[56:57], v[4:5]
	v_cmpx_gt_i64_e64 s[4:5], v[4:5]
	s_cbranch_execz .LBB191_29
; %bb.28:                               ;   in Loop: Header=BB191_3 Depth=1
	v_lshl_add_u64 v[4:5], v[4:5], 2, s[14:15]
	global_load_b32 v60, v[4:5], off
.LBB191_29:                             ;   in Loop: Header=BB191_3 Depth=1
	s_wait_xcnt 0x0
	s_or_b32 exec_lo, exec_lo, s18
.LBB191_30:                             ;   in Loop: Header=BB191_3 Depth=1
	s_delay_alu instid0(SALU_CYCLE_1) | instskip(SKIP_4) | instid1(VALU_DEP_3)
	s_or_b32 exec_lo, exec_lo, s3
	v_dual_mov_b32 v7, v2 :: v_dual_mov_b32 v8, v2
	v_dual_mov_b32 v9, v2 :: v_dual_mov_b32 v3, v2
	;; [unrolled: 1-line block ×3, first 2 shown]
	v_mov_b32_e32 v6, v2
	v_mov_b64_e32 v[18:19], v[8:9]
	s_delay_alu instid0(VALU_DEP_4) | instskip(NEXT) | instid1(VALU_DEP_4)
	v_mov_b64_e32 v[12:13], v[2:3]
	v_mov_b64_e32 v[14:15], v[4:5]
	s_delay_alu instid0(VALU_DEP_4)
	v_mov_b64_e32 v[16:17], v[6:7]
	v_mov_b64_e32 v[10:11], v[8:9]
	;; [unrolled: 1-line block ×5, first 2 shown]
	s_and_saveexec_b32 s3, s2
	s_cbranch_execnz .LBB191_42
; %bb.31:                               ;   in Loop: Header=BB191_3 Depth=1
	s_or_b32 exec_lo, exec_lo, s3
	s_and_saveexec_b32 s3, s2
	s_cbranch_execnz .LBB191_43
.LBB191_32:                             ;   in Loop: Header=BB191_3 Depth=1
	s_or_b32 exec_lo, exec_lo, s3
	s_and_saveexec_b32 s3, s2
	s_cbranch_execnz .LBB191_44
.LBB191_33:                             ;   in Loop: Header=BB191_3 Depth=1
	s_or_b32 exec_lo, exec_lo, s3
	s_and_saveexec_b32 s3, s2
	s_cbranch_execnz .LBB191_45
.LBB191_34:                             ;   in Loop: Header=BB191_3 Depth=1
	s_or_b32 exec_lo, exec_lo, s3
	s_and_saveexec_b32 s3, s2
	s_cbranch_execnz .LBB191_46
.LBB191_35:                             ;   in Loop: Header=BB191_3 Depth=1
	s_or_b32 exec_lo, exec_lo, s3
	s_and_saveexec_b32 s3, s2
	s_cbranch_execnz .LBB191_47
.LBB191_36:                             ;   in Loop: Header=BB191_3 Depth=1
	s_or_b32 exec_lo, exec_lo, s3
	s_and_saveexec_b32 s3, s2
	s_cbranch_execnz .LBB191_48
.LBB191_37:                             ;   in Loop: Header=BB191_3 Depth=1
	s_or_b32 exec_lo, exec_lo, s3
	s_and_saveexec_b32 s3, s2
	s_cbranch_execz .LBB191_39
.LBB191_38:                             ;   in Loop: Header=BB191_3 Depth=1
	v_add_nc_u64_e32 v[56:57], v[28:29], v[22:23]
	v_add_nc_u64_e32 v[62:63], v[30:31], v[22:23]
	global_load_u16 v3, v[56:57], off
	global_load_u16 v19, v[62:63], off
	s_wait_loadcnt 0x1
	v_lshlrev_b32_e32 v11, 16, v3
	s_wait_loadcnt 0x0
	v_lshlrev_b32_e32 v19, 16, v19
.LBB191_39:                             ;   in Loop: Header=BB191_3 Depth=1
	s_or_b32 exec_lo, exec_lo, s3
	s_wait_loadcnt 0x0
	ds_bpermute_b32 v3, v2, v60
	ds_bpermute_b32 v56, v2, v60 offset:4
	ds_bpermute_b32 v57, v2, v60 offset:8
	;; [unrolled: 1-line block ×4, first 2 shown]
	v_pk_mul_f32 v[6:7], v[14:15], v[6:7]
	v_dual_mul_f32 v14, v12, v4 :: v_dual_mul_f32 v4, v13, v5
	v_pk_mul_f32 v[8:9], v[16:17], v[8:9]
	ds_bpermute_b32 v12, v2, v60 offset:20
	v_dual_mov_b32 v5, v6 :: v_dual_mov_b32 v6, v7
	ds_bpermute_b32 v13, v2, v60 offset:24
	s_wait_dscnt 0x6
	v_dual_mov_b32 v7, v8 :: v_dual_fmac_f32 v59, v14, v3
	s_wait_dscnt 0x4
	v_pk_mul_f32 v[4:5], v[4:5], v[56:57]
	s_wait_dscnt 0x2
	s_delay_alu instid0(VALU_DEP_2) | instskip(NEXT) | instid1(VALU_DEP_2)
	v_pk_mul_f32 v[6:7], v[6:7], v[62:63]
	v_add_f32_e32 v3, v59, v4
	s_delay_alu instid0(VALU_DEP_1) | instskip(SKIP_2) | instid1(VALU_DEP_1)
	v_dual_add_f32 v4, v3, v5 :: v_dual_mul_f32 v5, v18, v10
	ds_bpermute_b32 v3, v2, v60 offset:28
	v_dual_add_f32 v6, v4, v6 :: v_dual_mov_b32 v4, v9
	v_add_f32_e32 v6, v6, v7
	s_wait_dscnt 0x1
	s_delay_alu instid0(VALU_DEP_2) | instskip(NEXT) | instid1(VALU_DEP_1)
	v_pk_mul_f32 v[4:5], v[4:5], v[12:13]
	v_add_f32_e32 v4, v6, v4
	s_delay_alu instid0(VALU_DEP_1)
	v_add_f32_e32 v88, v4, v5
.LBB191_40:                             ;   in Loop: Header=BB191_3 Depth=1
	s_add_nc_u64 s[28:29], s[28:29], s[22:23]
	v_mul_f32_e32 v4, v11, v19
	v_cmp_lt_i64_e64 s3, s[28:29], s[4:5]
	v_add_nc_u64_e32 v[24:25], s[24:25], v[24:25]
	v_add_nc_u64_e32 v[26:27], s[24:25], v[26:27]
	v_add_nc_u64_e32 v[28:29], s[24:25], v[28:29]
	v_add_nc_u64_e32 v[30:31], s[24:25], v[30:31]
	v_add_nc_u64_e32 v[32:33], s[24:25], v[32:33]
	v_add_nc_u64_e32 v[34:35], s[24:25], v[34:35]
	v_add_nc_u64_e32 v[36:37], s[24:25], v[36:37]
	v_add_nc_u64_e32 v[38:39], s[24:25], v[38:39]
	v_add_nc_u64_e32 v[40:41], s[24:25], v[40:41]
	v_add_nc_u64_e32 v[42:43], s[24:25], v[42:43]
	v_add_nc_u64_e32 v[44:45], s[24:25], v[44:45]
	v_add_nc_u64_e32 v[46:47], s[24:25], v[46:47]
	v_add_nc_u64_e32 v[48:49], s[24:25], v[48:49]
	v_add_nc_u64_e32 v[50:51], s[24:25], v[50:51]
	v_add_nc_u64_e32 v[52:53], s[24:25], v[52:53]
	v_add_nc_u64_e32 v[54:55], s[24:25], v[54:55]
	v_add_nc_u64_e32 v[20:21], s[22:23], v[20:21]
	s_wait_dscnt 0x0
	v_fmac_f32_e32 v88, v4, v3
	s_and_b32 vcc_lo, exec_lo, s3
	s_add_nc_u64 s[26:27], s[26:27], s[22:23]
	s_cbranch_vccz .LBB191_50
; %bb.41:                               ;   in Loop: Header=BB191_3 Depth=1
	s_delay_alu instid0(VALU_DEP_1)
	v_mov_b32_e32 v59, v88
	s_branch .LBB191_3
.LBB191_42:                             ;   in Loop: Header=BB191_3 Depth=1
	v_add_nc_u64_e32 v[4:5], v[24:25], v[22:23]
	v_add_nc_u64_e32 v[6:7], v[26:27], v[22:23]
	v_dual_mov_b32 v9, v2 :: v_dual_mov_b32 v10, v2
	v_dual_mov_b32 v11, v2 :: v_dual_mov_b32 v13, v2
	;; [unrolled: 1-line block ×3, first 2 shown]
	global_load_u16 v3, v[4:5], off
	global_load_u16 v12, v[6:7], off
	s_wait_xcnt 0x0
	v_dual_mov_b32 v5, v2 :: v_dual_mov_b32 v6, v2
	v_dual_mov_b32 v7, v2 :: v_dual_mov_b32 v8, v2
	;; [unrolled: 1-line block ×4, first 2 shown]
	s_wait_loadcnt 0x0
	v_dual_lshlrev_b32 v4, 16, v3 :: v_dual_lshlrev_b32 v12, 16, v12
	s_or_b32 exec_lo, exec_lo, s3
	s_and_saveexec_b32 s3, s2
	s_cbranch_execz .LBB191_32
.LBB191_43:                             ;   in Loop: Header=BB191_3 Depth=1
	v_add_nc_u64_e32 v[56:57], v[52:53], v[22:23]
	v_add_nc_u64_e32 v[62:63], v[54:55], v[22:23]
	global_load_u16 v3, v[56:57], off
	global_load_u16 v13, v[62:63], off
	s_wait_loadcnt 0x0
	v_dual_lshlrev_b32 v5, 16, v3 :: v_dual_lshlrev_b32 v13, 16, v13
	s_or_b32 exec_lo, exec_lo, s3
	s_and_saveexec_b32 s3, s2
	s_cbranch_execz .LBB191_33
.LBB191_44:                             ;   in Loop: Header=BB191_3 Depth=1
	v_add_nc_u64_e32 v[56:57], v[48:49], v[22:23]
	v_add_nc_u64_e32 v[62:63], v[50:51], v[22:23]
	global_load_u16 v3, v[56:57], off
	global_load_u16 v14, v[62:63], off
	s_wait_loadcnt 0x0
	v_dual_lshlrev_b32 v6, 16, v3 :: v_dual_lshlrev_b32 v14, 16, v14
	s_or_b32 exec_lo, exec_lo, s3
	s_and_saveexec_b32 s3, s2
	s_cbranch_execz .LBB191_34
.LBB191_45:                             ;   in Loop: Header=BB191_3 Depth=1
	v_add_nc_u64_e32 v[56:57], v[44:45], v[22:23]
	v_add_nc_u64_e32 v[62:63], v[46:47], v[22:23]
	global_load_u16 v3, v[56:57], off
	global_load_u16 v15, v[62:63], off
	s_wait_loadcnt 0x1
	v_lshlrev_b32_e32 v7, 16, v3
	s_wait_loadcnt 0x0
	v_lshlrev_b32_e32 v15, 16, v15
	s_or_b32 exec_lo, exec_lo, s3
	s_and_saveexec_b32 s3, s2
	s_cbranch_execz .LBB191_35
.LBB191_46:                             ;   in Loop: Header=BB191_3 Depth=1
	v_add_nc_u64_e32 v[56:57], v[40:41], v[22:23]
	v_add_nc_u64_e32 v[62:63], v[42:43], v[22:23]
	global_load_u16 v3, v[56:57], off
	global_load_u16 v16, v[62:63], off
	s_wait_loadcnt 0x0
	v_dual_lshlrev_b32 v8, 16, v3 :: v_dual_lshlrev_b32 v16, 16, v16
	s_or_b32 exec_lo, exec_lo, s3
	s_and_saveexec_b32 s3, s2
	s_cbranch_execz .LBB191_36
.LBB191_47:                             ;   in Loop: Header=BB191_3 Depth=1
	v_add_nc_u64_e32 v[56:57], v[36:37], v[22:23]
	v_add_nc_u64_e32 v[62:63], v[38:39], v[22:23]
	global_load_u16 v3, v[56:57], off
	global_load_u16 v17, v[62:63], off
	s_wait_loadcnt 0x0
	v_dual_lshlrev_b32 v9, 16, v3 :: v_dual_lshlrev_b32 v17, 16, v17
	s_or_b32 exec_lo, exec_lo, s3
	s_and_saveexec_b32 s3, s2
	s_cbranch_execz .LBB191_37
.LBB191_48:                             ;   in Loop: Header=BB191_3 Depth=1
	v_add_nc_u64_e32 v[56:57], v[32:33], v[22:23]
	v_add_nc_u64_e32 v[62:63], v[34:35], v[22:23]
	global_load_u16 v3, v[56:57], off
	global_load_u16 v18, v[62:63], off
	s_wait_loadcnt 0x0
	v_dual_lshlrev_b32 v10, 16, v3 :: v_dual_lshlrev_b32 v18, 16, v18
	s_or_b32 exec_lo, exec_lo, s3
	s_and_saveexec_b32 s3, s2
	s_cbranch_execnz .LBB191_38
	s_branch .LBB191_39
.LBB191_49:
                                        ; implicit-def: $vgpr88
	s_load_b64 s[2:3], s[0:1], 0x30
	s_branch .LBB191_51
.LBB191_50:
	s_load_b64 s[2:3], s[0:1], 0x30
	s_cbranch_execnz .LBB191_83
.LBB191_51:
	v_mov_b32_e32 v88, 0
	s_and_not1_b32 vcc_lo, exec_lo, s31
	s_cbranch_vccnz .LBB191_83
; %bb.52:
	v_bfe_u32 v1, v0, 10, 10
	v_mov_b32_e32 v2, 0
	v_and_b32_e32 v86, 0x3ff, v0
	s_load_b32 s18, s[0:1], 0x44
	s_mov_b32 s19, 0
	s_delay_alu instid0(VALU_DEP_2) | instskip(SKIP_3) | instid1(VALU_DEP_2)
	v_dual_mov_b32 v5, v2 :: v_dual_lshlrev_b32 v4, 4, v1
	v_dual_mov_b32 v21, v2 :: v_dual_lshlrev_b32 v20, 3, v1
	s_mov_b32 s21, s19
	s_add_nc_u64 s[22:23], s[0:1], 64
	v_lshl_add_u64 v[4:5], s[16:17], 1, v[4:5]
	s_mov_b64 s[24:25], s[16:17]
	v_add_nc_u64_e32 v[8:9], s[16:17], v[20:21]
	v_mov_b32_e32 v87, 0
	s_delay_alu instid0(VALU_DEP_3)
	v_add_nc_u64_e32 v[6:7], 2, v[4:5]
	v_add_nc_u64_e32 v[10:11], 4, v[4:5]
	;; [unrolled: 1-line block ×5, first 2 shown]
	v_mul_u64_e32 v[60:61], s[6:7], v[8:9]
	v_add_nc_u64_e32 v[48:49], 3, v[8:9]
	v_mad_nc_u64_u32 v[22:23], s6, v6, s[8:9]
	v_mul_lo_u32 v3, s6, v7
	v_mul_lo_u32 v44, s7, v6
	v_mad_nc_u64_u32 v[32:33], s6, v6, s[10:11]
	v_add_nc_u64_e32 v[6:7], 7, v[8:9]
	v_mad_nc_u64_u32 v[24:25], s6, v10, s[8:9]
	v_mul_lo_u32 v46, s6, v11
	v_mul_lo_u32 v47, s7, v10
	v_mad_nc_u64_u32 v[26:27], s6, v12, s[8:9]
	v_mul_lo_u32 v50, s6, v13
	v_mul_lo_u32 v51, s7, v12
	v_mad_nc_u64_u32 v[34:35], s6, v10, s[10:11]
	v_mad_nc_u64_u32 v[36:37], s6, v12, s[10:11]
	v_add_nc_u64_e32 v[10:11], 6, v[8:9]
	v_mul_u64_e32 v[6:7], s[6:7], v[6:7]
	v_add_nc_u64_e32 v[12:13], 5, v[8:9]
	v_mad_nc_u64_u32 v[28:29], s6, v14, s[8:9]
	v_mul_lo_u32 v52, s6, v15
	v_mul_lo_u32 v53, s7, v14
	v_mad_nc_u64_u32 v[40:41], s6, v14, s[10:11]
	v_add_nc_u64_e32 v[14:15], 4, v[8:9]
	v_mul_u64_e32 v[10:11], s[6:7], v[10:11]
	v_add_nc_u64_e32 v[8:9], 2, v[8:9]
	v_mul_u64_e32 v[12:13], s[6:7], v[12:13]
	v_mad_nc_u64_u32 v[30:31], s6, v16, s[8:9]
	v_mul_lo_u32 v54, s6, v17
	v_mul_lo_u32 v55, s7, v16
	v_add3_u32 v23, v44, v23, v3
	v_add3_u32 v33, v44, v33, v3
	v_mul_u64_e32 v[14:15], s[6:7], v[14:15]
	v_mad_nc_u64_u32 v[44:45], s6, v16, s[10:11]
	v_mul_u64_e32 v[16:17], s[6:7], v[48:49]
	v_mul_u64_e32 v[8:9], s[6:7], v[8:9]
	v_add_nc_u64_e32 v[18:19], 12, v[4:5]
	v_add_nc_u64_e32 v[4:5], 14, v[4:5]
	v_add3_u32 v25, v47, v25, v46
	v_add3_u32 v27, v51, v27, v50
	;; [unrolled: 1-line block ×5, first 2 shown]
	v_mad_nc_u64_u32 v[38:39], s6, v18, s[8:9]
	v_mul_lo_u32 v19, s6, v19
	v_mul_lo_u32 v56, s7, v18
	v_mad_nc_u64_u32 v[42:43], s6, v4, s[8:9]
	v_mad_nc_u64_u32 v[46:47], s6, v18, s[10:11]
	v_mul_lo_u32 v3, s6, v5
	v_mul_lo_u32 v50, s7, v4
	v_mad_nc_u64_u32 v[48:49], s6, v4, s[10:11]
	v_lshlrev_b64_e32 v[6:7], 1, v[6:7]
	v_dual_mov_b32 v5, v2 :: v_dual_add_nc_u32 v4, s13, v86
	v_add3_u32 v31, v55, v31, v54
	v_add3_u32 v41, v53, v41, v52
	;; [unrolled: 1-line block ×5, first 2 shown]
	v_add_nc_u64_e32 v[56:57], s[8:9], v[6:7]
	v_add3_u32 v43, v50, v43, v3
	v_add3_u32 v49, v50, v49, v3
	v_lshlrev_b64_e32 v[50:51], 1, v[4:5]
	v_lshlrev_b64_e32 v[4:5], 1, v[10:11]
	v_add_nc_u64_e32 v[58:59], s[10:11], v[6:7]
	v_lshlrev_b64_e32 v[6:7], 1, v[12:13]
	v_add_nc_u64_e32 v[12:13], s[6:7], v[60:61]
	v_lshlrev_b64_e32 v[18:19], 1, v[60:61]
	v_lshlrev_b64_e32 v[10:11], 1, v[14:15]
	;; [unrolled: 1-line block ×3, first 2 shown]
	v_add_nc_u64_e32 v[60:61], s[8:9], v[4:5]
	v_add_nc_u64_e32 v[62:63], s[10:11], v[4:5]
	v_lshlrev_b64_e32 v[4:5], 1, v[16:17]
	v_add_nc_u64_e32 v[64:65], s[8:9], v[6:7]
	v_add_nc_u64_e32 v[66:67], s[10:11], v[6:7]
	v_lshlrev_b64_e32 v[6:7], 1, v[12:13]
	v_add_nc_u64_e32 v[52:53], s[8:9], v[18:19]
	v_add_nc_u64_e32 v[54:55], s[10:11], v[18:19]
	v_add_nc_u64_e32 v[68:69], s[8:9], v[10:11]
	v_add_nc_u64_e32 v[70:71], s[10:11], v[10:11]
	v_add_nc_u64_e32 v[72:73], s[8:9], v[4:5]
	v_add_nc_u64_e32 v[74:75], s[10:11], v[4:5]
	v_add_nc_u64_e32 v[76:77], s[8:9], v[8:9]
	v_add_nc_u64_e32 v[78:79], s[10:11], v[8:9]
	v_add_nc_u64_e32 v[80:81], s[8:9], v[6:7]
	v_add_nc_u64_e32 v[82:83], s[10:11], v[6:7]
	s_wait_kmcnt 0x0
	s_lshl_b32 s20, s18, 3
	s_mov_b64 s[10:11], 7
	s_mul_u64 s[8:9], s[6:7], s[20:21]
	s_delay_alu instid0(SALU_CYCLE_1)
	s_lshl_b64 s[8:9], s[8:9], 1
.LBB191_53:                             ; =>This Inner Loop Header: Depth=1
	s_add_nc_u64 s[26:27], s[16:17], s[10:11]
	v_add_nc_u64_e32 v[84:85], s[16:17], v[20:21]
	v_cmp_ge_i64_e64 s13, s[26:27], s[4:5]
                                        ; implicit-def: $vgpr88
	s_and_b32 vcc_lo, exec_lo, s13
	s_mov_b32 s13, -1
	s_cbranch_vccz .LBB191_75
; %bb.54:                               ;   in Loop: Header=BB191_53 Depth=1
	s_load_b32 s13, s[22:23], 0xc
	v_mov_b32_e32 v88, 0
	s_wait_kmcnt 0x0
	s_and_b32 s13, s13, 0xffff
	s_delay_alu instid0(SALU_CYCLE_1) | instskip(SKIP_1) | instid1(VALU_DEP_1)
	v_mad_u32_u24 v3, v1, s13, v86
	s_mov_b32 s13, exec_lo
	v_and_b32_e32 v4, 31, v3
	s_delay_alu instid0(VALU_DEP_1)
	v_cmpx_gt_u32_e32 8, v4
	s_cbranch_execz .LBB191_58
; %bb.55:                               ;   in Loop: Header=BB191_53 Depth=1
	v_dual_mov_b32 v5, v2 :: v_dual_mov_b32 v88, 0
	s_mov_b32 s18, exec_lo
	s_delay_alu instid0(VALU_DEP_1) | instskip(NEXT) | instid1(VALU_DEP_1)
	v_add_nc_u64_e32 v[4:5], v[84:85], v[4:5]
	v_cmpx_gt_i64_e64 s[4:5], v[4:5]
	s_cbranch_execz .LBB191_57
; %bb.56:                               ;   in Loop: Header=BB191_53 Depth=1
	v_lshl_add_u64 v[4:5], v[4:5], 2, s[14:15]
	global_load_b32 v88, v[4:5], off
.LBB191_57:                             ;   in Loop: Header=BB191_53 Depth=1
	s_wait_xcnt 0x0
	s_or_b32 exec_lo, exec_lo, s18
.LBB191_58:                             ;   in Loop: Header=BB191_53 Depth=1
	s_delay_alu instid0(SALU_CYCLE_1) | instskip(SKIP_4) | instid1(VALU_DEP_3)
	s_or_b32 exec_lo, exec_lo, s13
	v_dual_mov_b32 v7, v2 :: v_dual_mov_b32 v8, v2
	v_dual_mov_b32 v9, v2 :: v_dual_mov_b32 v3, v2
	;; [unrolled: 1-line block ×3, first 2 shown]
	v_mov_b32_e32 v6, v2
	v_mov_b64_e32 v[18:19], v[8:9]
	s_delay_alu instid0(VALU_DEP_4)
	v_mov_b64_e32 v[12:13], v[2:3]
	s_mov_b32 s13, exec_lo
	v_mov_b64_e32 v[14:15], v[4:5]
	v_mov_b64_e32 v[16:17], v[6:7]
	v_mov_b64_e32 v[10:11], v[8:9]
	v_mov_b64_e32 v[8:9], v[6:7]
	v_mov_b64_e32 v[6:7], v[4:5]
	v_mov_b64_e32 v[4:5], v[2:3]
	v_cmpx_gt_i64_e64 s[4:5], v[84:85]
	s_cbranch_execz .LBB191_60
; %bb.59:                               ;   in Loop: Header=BB191_53 Depth=1
	v_add_nc_u64_e32 v[4:5], v[52:53], v[50:51]
	v_add_nc_u64_e32 v[6:7], v[54:55], v[50:51]
	v_dual_mov_b32 v9, v2 :: v_dual_mov_b32 v10, v2
	v_dual_mov_b32 v11, v2 :: v_dual_mov_b32 v13, v2
	v_dual_mov_b32 v14, v2 :: v_dual_mov_b32 v15, v2
	global_load_u16 v3, v[4:5], off
	global_load_u16 v12, v[6:7], off
	s_wait_xcnt 0x0
	v_dual_mov_b32 v5, v2 :: v_dual_mov_b32 v6, v2
	v_dual_mov_b32 v7, v2 :: v_dual_mov_b32 v8, v2
	;; [unrolled: 1-line block ×4, first 2 shown]
	s_wait_loadcnt 0x0
	v_dual_lshlrev_b32 v4, 16, v3 :: v_dual_lshlrev_b32 v12, 16, v12
.LBB191_60:                             ;   in Loop: Header=BB191_53 Depth=1
	s_or_b32 exec_lo, exec_lo, s13
	v_add_nc_u64_e32 v[90:91], 1, v[84:85]
	s_mov_b32 s13, exec_lo
	s_delay_alu instid0(VALU_DEP_1)
	v_cmpx_gt_i64_e64 s[4:5], v[90:91]
	s_cbranch_execz .LBB191_62
; %bb.61:                               ;   in Loop: Header=BB191_53 Depth=1
	v_add_nc_u64_e32 v[90:91], v[80:81], v[50:51]
	v_add_nc_u64_e32 v[92:93], v[82:83], v[50:51]
	global_load_u16 v3, v[90:91], off
	global_load_u16 v13, v[92:93], off
	s_wait_loadcnt 0x0
	v_dual_lshlrev_b32 v5, 16, v3 :: v_dual_lshlrev_b32 v13, 16, v13
.LBB191_62:                             ;   in Loop: Header=BB191_53 Depth=1
	s_or_b32 exec_lo, exec_lo, s13
	v_add_nc_u64_e32 v[90:91], 2, v[84:85]
	s_mov_b32 s13, exec_lo
	s_delay_alu instid0(VALU_DEP_1)
	v_cmpx_gt_i64_e64 s[4:5], v[90:91]
	s_cbranch_execz .LBB191_64
; %bb.63:                               ;   in Loop: Header=BB191_53 Depth=1
	v_add_nc_u64_e32 v[90:91], v[76:77], v[50:51]
	v_add_nc_u64_e32 v[92:93], v[78:79], v[50:51]
	global_load_u16 v3, v[90:91], off
	global_load_u16 v14, v[92:93], off
	s_wait_loadcnt 0x0
	v_dual_lshlrev_b32 v6, 16, v3 :: v_dual_lshlrev_b32 v14, 16, v14
.LBB191_64:                             ;   in Loop: Header=BB191_53 Depth=1
	s_or_b32 exec_lo, exec_lo, s13
	v_add_nc_u64_e32 v[90:91], 3, v[84:85]
	s_mov_b32 s13, exec_lo
	s_delay_alu instid0(VALU_DEP_1)
	v_cmpx_gt_i64_e64 s[4:5], v[90:91]
	s_cbranch_execz .LBB191_66
; %bb.65:                               ;   in Loop: Header=BB191_53 Depth=1
	v_add_nc_u64_e32 v[90:91], v[72:73], v[50:51]
	v_add_nc_u64_e32 v[92:93], v[74:75], v[50:51]
	global_load_u16 v3, v[90:91], off
	global_load_u16 v15, v[92:93], off
	s_wait_loadcnt 0x1
	v_lshlrev_b32_e32 v7, 16, v3
	s_wait_loadcnt 0x0
	v_lshlrev_b32_e32 v15, 16, v15
.LBB191_66:                             ;   in Loop: Header=BB191_53 Depth=1
	s_or_b32 exec_lo, exec_lo, s13
	v_add_nc_u64_e32 v[90:91], 4, v[84:85]
	s_mov_b32 s13, exec_lo
	s_delay_alu instid0(VALU_DEP_1)
	v_cmpx_gt_i64_e64 s[4:5], v[90:91]
	s_cbranch_execz .LBB191_68
; %bb.67:                               ;   in Loop: Header=BB191_53 Depth=1
	v_add_nc_u64_e32 v[90:91], v[68:69], v[50:51]
	v_add_nc_u64_e32 v[92:93], v[70:71], v[50:51]
	global_load_u16 v3, v[90:91], off
	global_load_u16 v16, v[92:93], off
	s_wait_loadcnt 0x0
	v_dual_lshlrev_b32 v8, 16, v3 :: v_dual_lshlrev_b32 v16, 16, v16
.LBB191_68:                             ;   in Loop: Header=BB191_53 Depth=1
	s_or_b32 exec_lo, exec_lo, s13
	v_add_nc_u64_e32 v[90:91], 5, v[84:85]
	s_mov_b32 s13, exec_lo
	s_delay_alu instid0(VALU_DEP_1)
	v_cmpx_gt_i64_e64 s[4:5], v[90:91]
	s_cbranch_execz .LBB191_70
; %bb.69:                               ;   in Loop: Header=BB191_53 Depth=1
	v_add_nc_u64_e32 v[90:91], v[64:65], v[50:51]
	v_add_nc_u64_e32 v[92:93], v[66:67], v[50:51]
	global_load_u16 v3, v[90:91], off
	global_load_u16 v17, v[92:93], off
	s_wait_loadcnt 0x0
	v_dual_lshlrev_b32 v9, 16, v3 :: v_dual_lshlrev_b32 v17, 16, v17
.LBB191_70:                             ;   in Loop: Header=BB191_53 Depth=1
	;; [unrolled: 14-line block ×3, first 2 shown]
	s_or_b32 exec_lo, exec_lo, s13
	v_add_nc_u64_e32 v[90:91], 7, v[84:85]
	s_mov_b32 s13, exec_lo
	s_delay_alu instid0(VALU_DEP_1)
	v_cmpx_gt_i64_e64 s[4:5], v[90:91]
	s_cbranch_execz .LBB191_74
; %bb.73:                               ;   in Loop: Header=BB191_53 Depth=1
	v_add_nc_u64_e32 v[90:91], v[56:57], v[50:51]
	v_add_nc_u64_e32 v[92:93], v[58:59], v[50:51]
	global_load_u16 v3, v[90:91], off
	global_load_u16 v19, v[92:93], off
	s_wait_loadcnt 0x1
	v_lshlrev_b32_e32 v11, 16, v3
	s_wait_loadcnt 0x0
	v_lshlrev_b32_e32 v19, 16, v19
.LBB191_74:                             ;   in Loop: Header=BB191_53 Depth=1
	s_or_b32 exec_lo, exec_lo, s13
	s_wait_loadcnt 0x0
	ds_bpermute_b32 v90, v2, v88
	ds_bpermute_b32 v91, v2, v88 offset:4
	ds_bpermute_b32 v92, v2, v88 offset:8
	;; [unrolled: 1-line block ×3, first 2 shown]
	v_pk_mul_f32 v[4:5], v[12:13], v[4:5]
	ds_bpermute_b32 v12, v2, v88 offset:16
	ds_bpermute_b32 v13, v2, v88 offset:20
	v_pk_mul_f32 v[6:7], v[14:15], v[6:7]
	v_pk_mul_f32 v[8:9], v[16:17], v[8:9]
	s_mov_b32 s13, 0
	s_wait_dscnt 0x4
	v_pk_mul_f32 v[4:5], v[4:5], v[90:91]
	s_wait_dscnt 0x2
	v_pk_mul_f32 v[6:7], v[6:7], v[92:93]
	;; [unrolled: 2-line block ×3, first 2 shown]
	v_add_f32_e32 v3, v87, v4
	ds_bpermute_b32 v4, v2, v88 offset:24
	v_add_f32_e32 v3, v3, v5
	ds_bpermute_b32 v5, v2, v88 offset:28
	v_add_f32_e32 v3, v3, v6
	s_delay_alu instid0(VALU_DEP_1) | instskip(SKIP_1) | instid1(VALU_DEP_2)
	v_add_f32_e32 v3, v3, v7
	v_pk_mul_f32 v[6:7], v[18:19], v[10:11]
	v_add_f32_e32 v3, v3, v8
	s_delay_alu instid0(VALU_DEP_1) | instskip(SKIP_1) | instid1(VALU_DEP_3)
	v_add_f32_e32 v3, v3, v9
	s_wait_dscnt 0x0
	v_pk_mul_f32 v[4:5], v[6:7], v[4:5]
	s_delay_alu instid0(VALU_DEP_1) | instskip(NEXT) | instid1(VALU_DEP_1)
	v_add_f32_e32 v3, v3, v4
	v_add_f32_e32 v88, v3, v5
.LBB191_75:                             ;   in Loop: Header=BB191_53 Depth=1
	s_and_b32 vcc_lo, exec_lo, s13
	s_cbranch_vccz .LBB191_81
; %bb.76:                               ;   in Loop: Header=BB191_53 Depth=1
	s_load_b32 s13, s[22:23], 0x0
	s_wait_kmcnt 0x0
	s_cmp_lt_u32 s12, s13
	s_cselect_b32 s18, 12, 18
	s_delay_alu instid0(SALU_CYCLE_1) | instskip(SKIP_4) | instid1(VALU_DEP_1)
	s_add_nc_u64 s[26:27], s[22:23], s[18:19]
	s_load_u16 s13, s[26:27], 0x0
	s_wait_kmcnt 0x0
	v_mad_u32_u24 v3, v1, s13, v86
	s_mov_b32 s13, exec_lo
	v_dual_mov_b32 v3, 0 :: v_dual_bitop2_b32 v4, 31, v3 bitop3:0x40
	s_delay_alu instid0(VALU_DEP_1)
	v_cmpx_gt_u32_e32 8, v4
	s_cbranch_execz .LBB191_80
; %bb.77:                               ;   in Loop: Header=BB191_53 Depth=1
	v_dual_mov_b32 v5, v2 :: v_dual_mov_b32 v3, 0
	s_mov_b32 s18, exec_lo
	s_delay_alu instid0(VALU_DEP_1) | instskip(NEXT) | instid1(VALU_DEP_1)
	v_add_nc_u64_e32 v[4:5], v[84:85], v[4:5]
	v_cmpx_gt_i64_e64 s[4:5], v[4:5]
	s_cbranch_execz .LBB191_79
; %bb.78:                               ;   in Loop: Header=BB191_53 Depth=1
	v_lshl_add_u64 v[4:5], v[4:5], 2, s[14:15]
	global_load_b32 v3, v[4:5], off
.LBB191_79:                             ;   in Loop: Header=BB191_53 Depth=1
	s_wait_xcnt 0x0
	s_or_b32 exec_lo, exec_lo, s18
.LBB191_80:                             ;   in Loop: Header=BB191_53 Depth=1
	s_delay_alu instid0(SALU_CYCLE_1)
	s_or_b32 exec_lo, exec_lo, s13
	v_add_nc_u64_e32 v[4:5], v[22:23], v[50:51]
	v_add_nc_u64_e32 v[6:7], v[52:53], v[50:51]
	;; [unrolled: 1-line block ×6, first 2 shown]
	global_load_u16 v16, v[4:5], off
	global_load_u16 v17, v[6:7], off
	;; [unrolled: 1-line block ×4, first 2 shown]
	s_wait_xcnt 0x3
	v_add_nc_u64_e32 v[4:5], v[36:37], v[50:51]
	s_wait_xcnt 0x2
	v_add_nc_u64_e32 v[6:7], v[34:35], v[50:51]
	;; [unrolled: 2-line block ×3, first 2 shown]
	v_add_nc_u64_e32 v[8:9], v[28:29], v[50:51]
	global_load_u16 v84, v[14:15], off
	global_load_u16 v85, v[12:13], off
	;; [unrolled: 1-line block ×4, first 2 shown]
	s_wait_xcnt 0x1
	v_add_nc_u64_e32 v[4:5], v[44:45], v[50:51]
	s_wait_xcnt 0x0
	v_add_nc_u64_e32 v[6:7], v[40:41], v[50:51]
	s_wait_loadcnt 0x8
	ds_bpermute_b32 v12, v2, v3 offset:16
	global_load_u16 v90, v[10:11], off
	global_load_u16 v91, v[8:9], off
	global_load_u16 v92, v[4:5], off
	global_load_u16 v93, v[6:7], off
	s_wait_xcnt 0x1
	v_add_nc_u64_e32 v[4:5], v[42:43], v[50:51]
	s_wait_xcnt 0x0
	v_add_nc_u64_e32 v[6:7], v[38:39], v[50:51]
	v_add_nc_u64_e32 v[8:9], v[48:49], v[50:51]
	;; [unrolled: 1-line block ×3, first 2 shown]
	global_load_u16 v94, v[4:5], off
	global_load_u16 v95, v[6:7], off
	;; [unrolled: 1-line block ×4, first 2 shown]
	s_wait_xcnt 0x3
	ds_bpermute_b32 v4, v2, v3
	ds_bpermute_b32 v5, v2, v3 offset:4
	s_wait_xcnt 0x2
	ds_bpermute_b32 v6, v2, v3 offset:8
	ds_bpermute_b32 v7, v2, v3 offset:12
	;; [unrolled: 1-line block ×3, first 2 shown]
	s_wait_loadcnt 0xe
	s_wait_xcnt 0x1
	v_dual_lshlrev_b32 v9, 16, v16 :: v_dual_lshlrev_b32 v8, 16, v17
	s_wait_loadcnt 0xc
	s_wait_xcnt 0x0
	v_dual_lshlrev_b32 v11, 16, v18 :: v_dual_lshlrev_b32 v10, 16, v19
	s_wait_loadcnt 0x8
	v_dual_lshlrev_b32 v15, 16, v88 :: v_dual_lshlrev_b32 v14, 16, v89
	s_delay_alu instid0(VALU_DEP_2)
	v_pk_mul_f32 v[8:9], v[8:9], v[10:11]
	v_dual_lshlrev_b32 v11, 16, v84 :: v_dual_lshlrev_b32 v10, 16, v85
	s_wait_loadcnt 0x6
	v_lshlrev_b32_e32 v16, 16, v91
	s_wait_dscnt 0x3
	v_pk_mul_f32 v[4:5], v[8:9], v[4:5]
	v_lshlrev_b32_e32 v17, 16, v90
	v_pk_mul_f32 v[10:11], v[10:11], v[14:15]
	ds_bpermute_b32 v8, v2, v3 offset:24
	s_wait_loadcnt 0x5
	v_lshlrev_b32_e32 v15, 16, v92
	v_add_f32_e32 v4, v87, v4
	ds_bpermute_b32 v9, v2, v3 offset:28
	s_wait_dscnt 0x3
	v_pk_mul_f32 v[6:7], v[10:11], v[6:7]
	s_wait_loadcnt 0x3
	v_dual_add_f32 v10, v4, v5 :: v_dual_lshlrev_b32 v11, 16, v94
	s_delay_alu instid0(VALU_DEP_1) | instskip(NEXT) | instid1(VALU_DEP_1)
	v_dual_add_f32 v3, v10, v6 :: v_dual_lshlrev_b32 v14, 16, v93
	v_pk_mul_f32 v[4:5], v[16:17], v[14:15]
	s_wait_loadcnt 0x1
	v_dual_lshlrev_b32 v10, 16, v95 :: v_dual_lshlrev_b32 v15, 16, v96
	s_wait_loadcnt 0x0
	v_dual_add_f32 v3, v3, v7 :: v_dual_lshlrev_b32 v14, 16, v97
	s_wait_dscnt 0x2
	v_pk_mul_f32 v[4:5], v[4:5], v[12:13]
	s_delay_alu instid0(VALU_DEP_2) | instskip(NEXT) | instid1(VALU_DEP_2)
	v_pk_mul_f32 v[6:7], v[10:11], v[14:15]
	v_add_f32_e32 v3, v3, v4
	s_delay_alu instid0(VALU_DEP_1) | instskip(SKIP_1) | instid1(VALU_DEP_3)
	v_add_f32_e32 v3, v3, v5
	s_wait_dscnt 0x0
	v_pk_mul_f32 v[4:5], v[6:7], v[8:9]
	s_delay_alu instid0(VALU_DEP_1) | instskip(NEXT) | instid1(VALU_DEP_1)
	v_add_f32_e32 v3, v3, v4
	v_add_f32_e32 v88, v3, v5
.LBB191_81:                             ;   in Loop: Header=BB191_53 Depth=1
	s_add_nc_u64 s[24:25], s[24:25], s[20:21]
	v_add_nc_u64_e32 v[52:53], s[8:9], v[52:53]
	v_cmp_ge_i64_e64 s13, s[24:25], s[4:5]
	v_add_nc_u64_e32 v[54:55], s[8:9], v[54:55]
	v_add_nc_u64_e32 v[20:21], s[20:21], v[20:21]
	;; [unrolled: 1-line block ×30, first 2 shown]
	s_and_b32 vcc_lo, exec_lo, s13
	s_add_nc_u64 s[10:11], s[10:11], s[20:21]
	s_cbranch_vccnz .LBB191_83
; %bb.82:                               ;   in Loop: Header=BB191_53 Depth=1
	v_mov_b32_e32 v87, v88
	s_branch .LBB191_53
.LBB191_83:
	s_mov_b32 s13, 0
	s_delay_alu instid0(SALU_CYCLE_1)
	s_lshl_b64 s[4:5], s[12:13], 6
	s_wait_kmcnt 0x0
	s_cmp_lg_u64 s[2:3], 0
	v_and_or_b32 v2, 0x3ff, v0, s4
	v_mov_b32_e32 v3, s5
	s_cselect_b32 s4, -1, 0
	s_delay_alu instid0(VALU_DEP_1) | instskip(SKIP_1) | instid1(SALU_CYCLE_1)
	v_cmp_gt_i64_e32 vcc_lo, s[6:7], v[2:3]
	s_and_b32 s4, vcc_lo, s4
	s_and_saveexec_b32 s5, s4
	s_cbranch_execz .LBB191_85
; %bb.84:
	s_load_u16 s0, s[0:1], 0x4e
	v_bfe_u32 v4, v88, 16, 1
	v_bfe_u32 v0, v0, 10, 10
	v_cmp_o_f32_e32 vcc_lo, v88, v88
	s_delay_alu instid0(VALU_DEP_3) | instskip(NEXT) | instid1(VALU_DEP_1)
	v_add3_u32 v4, v88, v4, 0x7fff
	v_dual_mov_b32 v1, 0 :: v_dual_lshrrev_b32 v4, 16, v4
	s_delay_alu instid0(VALU_DEP_1) | instskip(SKIP_1) | instid1(VALU_DEP_2)
	v_cndmask_b32_e32 v4, 0x7fc0, v4, vcc_lo
	s_wait_kmcnt 0x0
	v_mad_nc_u64_u32 v[0:1], s0, s30, v[0:1]
	s_delay_alu instid0(VALU_DEP_1) | instskip(NEXT) | instid1(VALU_DEP_1)
	v_mul_u64_e32 v[0:1], s[6:7], v[0:1]
	v_lshl_add_u64 v[0:1], v[0:1], 1, s[2:3]
	s_delay_alu instid0(VALU_DEP_1)
	v_lshl_add_u64 v[0:1], v[2:3], 1, v[0:1]
	global_store_b16 v[0:1], v4, off
.LBB191_85:
	s_sendmsg sendmsg(MSG_DEALLOC_VGPRS)
	s_endpgm
	.section	.rodata,"a",@progbits
	.p2align	6, 0x0
	.amdhsa_kernel _ZN2at6native12_GLOBAL__N_135GammaBetaBackwardCUDAKernelTemplateIN3c108BFloat16EfLj64ELj1ELj8ELb1ELb0ELb1EEEvllPKT_S7_PKT0_SA_PS5_SB_
		.amdhsa_group_segment_fixed_size 0
		.amdhsa_private_segment_fixed_size 0
		.amdhsa_kernarg_size 320
		.amdhsa_user_sgpr_count 2
		.amdhsa_user_sgpr_dispatch_ptr 0
		.amdhsa_user_sgpr_queue_ptr 0
		.amdhsa_user_sgpr_kernarg_segment_ptr 1
		.amdhsa_user_sgpr_dispatch_id 0
		.amdhsa_user_sgpr_kernarg_preload_length 0
		.amdhsa_user_sgpr_kernarg_preload_offset 0
		.amdhsa_user_sgpr_private_segment_size 0
		.amdhsa_wavefront_size32 1
		.amdhsa_uses_dynamic_stack 0
		.amdhsa_enable_private_segment 0
		.amdhsa_system_sgpr_workgroup_id_x 1
		.amdhsa_system_sgpr_workgroup_id_y 1
		.amdhsa_system_sgpr_workgroup_id_z 0
		.amdhsa_system_sgpr_workgroup_info 0
		.amdhsa_system_vgpr_workitem_id 1
		.amdhsa_next_free_vgpr 98
		.amdhsa_next_free_sgpr 36
		.amdhsa_named_barrier_count 0
		.amdhsa_reserve_vcc 1
		.amdhsa_float_round_mode_32 0
		.amdhsa_float_round_mode_16_64 0
		.amdhsa_float_denorm_mode_32 3
		.amdhsa_float_denorm_mode_16_64 3
		.amdhsa_fp16_overflow 0
		.amdhsa_memory_ordered 1
		.amdhsa_forward_progress 1
		.amdhsa_inst_pref_size 44
		.amdhsa_round_robin_scheduling 0
		.amdhsa_exception_fp_ieee_invalid_op 0
		.amdhsa_exception_fp_denorm_src 0
		.amdhsa_exception_fp_ieee_div_zero 0
		.amdhsa_exception_fp_ieee_overflow 0
		.amdhsa_exception_fp_ieee_underflow 0
		.amdhsa_exception_fp_ieee_inexact 0
		.amdhsa_exception_int_div_zero 0
	.end_amdhsa_kernel
	.section	.text._ZN2at6native12_GLOBAL__N_135GammaBetaBackwardCUDAKernelTemplateIN3c108BFloat16EfLj64ELj1ELj8ELb1ELb0ELb1EEEvllPKT_S7_PKT0_SA_PS5_SB_,"axG",@progbits,_ZN2at6native12_GLOBAL__N_135GammaBetaBackwardCUDAKernelTemplateIN3c108BFloat16EfLj64ELj1ELj8ELb1ELb0ELb1EEEvllPKT_S7_PKT0_SA_PS5_SB_,comdat
.Lfunc_end191:
	.size	_ZN2at6native12_GLOBAL__N_135GammaBetaBackwardCUDAKernelTemplateIN3c108BFloat16EfLj64ELj1ELj8ELb1ELb0ELb1EEEvllPKT_S7_PKT0_SA_PS5_SB_, .Lfunc_end191-_ZN2at6native12_GLOBAL__N_135GammaBetaBackwardCUDAKernelTemplateIN3c108BFloat16EfLj64ELj1ELj8ELb1ELb0ELb1EEEvllPKT_S7_PKT0_SA_PS5_SB_
                                        ; -- End function
	.set _ZN2at6native12_GLOBAL__N_135GammaBetaBackwardCUDAKernelTemplateIN3c108BFloat16EfLj64ELj1ELj8ELb1ELb0ELb1EEEvllPKT_S7_PKT0_SA_PS5_SB_.num_vgpr, 98
	.set _ZN2at6native12_GLOBAL__N_135GammaBetaBackwardCUDAKernelTemplateIN3c108BFloat16EfLj64ELj1ELj8ELb1ELb0ELb1EEEvllPKT_S7_PKT0_SA_PS5_SB_.num_agpr, 0
	.set _ZN2at6native12_GLOBAL__N_135GammaBetaBackwardCUDAKernelTemplateIN3c108BFloat16EfLj64ELj1ELj8ELb1ELb0ELb1EEEvllPKT_S7_PKT0_SA_PS5_SB_.numbered_sgpr, 36
	.set _ZN2at6native12_GLOBAL__N_135GammaBetaBackwardCUDAKernelTemplateIN3c108BFloat16EfLj64ELj1ELj8ELb1ELb0ELb1EEEvllPKT_S7_PKT0_SA_PS5_SB_.num_named_barrier, 0
	.set _ZN2at6native12_GLOBAL__N_135GammaBetaBackwardCUDAKernelTemplateIN3c108BFloat16EfLj64ELj1ELj8ELb1ELb0ELb1EEEvllPKT_S7_PKT0_SA_PS5_SB_.private_seg_size, 0
	.set _ZN2at6native12_GLOBAL__N_135GammaBetaBackwardCUDAKernelTemplateIN3c108BFloat16EfLj64ELj1ELj8ELb1ELb0ELb1EEEvllPKT_S7_PKT0_SA_PS5_SB_.uses_vcc, 1
	.set _ZN2at6native12_GLOBAL__N_135GammaBetaBackwardCUDAKernelTemplateIN3c108BFloat16EfLj64ELj1ELj8ELb1ELb0ELb1EEEvllPKT_S7_PKT0_SA_PS5_SB_.uses_flat_scratch, 0
	.set _ZN2at6native12_GLOBAL__N_135GammaBetaBackwardCUDAKernelTemplateIN3c108BFloat16EfLj64ELj1ELj8ELb1ELb0ELb1EEEvllPKT_S7_PKT0_SA_PS5_SB_.has_dyn_sized_stack, 0
	.set _ZN2at6native12_GLOBAL__N_135GammaBetaBackwardCUDAKernelTemplateIN3c108BFloat16EfLj64ELj1ELj8ELb1ELb0ELb1EEEvllPKT_S7_PKT0_SA_PS5_SB_.has_recursion, 0
	.set _ZN2at6native12_GLOBAL__N_135GammaBetaBackwardCUDAKernelTemplateIN3c108BFloat16EfLj64ELj1ELj8ELb1ELb0ELb1EEEvllPKT_S7_PKT0_SA_PS5_SB_.has_indirect_call, 0
	.section	.AMDGPU.csdata,"",@progbits
; Kernel info:
; codeLenInByte = 5568
; TotalNumSgprs: 38
; NumVgprs: 98
; ScratchSize: 0
; MemoryBound: 0
; FloatMode: 240
; IeeeMode: 1
; LDSByteSize: 0 bytes/workgroup (compile time only)
; SGPRBlocks: 0
; VGPRBlocks: 6
; NumSGPRsForWavesPerEU: 38
; NumVGPRsForWavesPerEU: 98
; NamedBarCnt: 0
; Occupancy: 9
; WaveLimiterHint : 0
; COMPUTE_PGM_RSRC2:SCRATCH_EN: 0
; COMPUTE_PGM_RSRC2:USER_SGPR: 2
; COMPUTE_PGM_RSRC2:TRAP_HANDLER: 0
; COMPUTE_PGM_RSRC2:TGID_X_EN: 1
; COMPUTE_PGM_RSRC2:TGID_Y_EN: 1
; COMPUTE_PGM_RSRC2:TGID_Z_EN: 0
; COMPUTE_PGM_RSRC2:TIDIG_COMP_CNT: 1
	.section	.text._ZN2at6native12_GLOBAL__N_135GammaBetaBackwardCUDAKernelTemplateIN3c108BFloat16EfLj64ELj8ELj64ELb0ELb1ELb1EEEvllPKT_S7_PKT0_SA_PS5_SB_,"axG",@progbits,_ZN2at6native12_GLOBAL__N_135GammaBetaBackwardCUDAKernelTemplateIN3c108BFloat16EfLj64ELj8ELj64ELb0ELb1ELb1EEEvllPKT_S7_PKT0_SA_PS5_SB_,comdat
	.globl	_ZN2at6native12_GLOBAL__N_135GammaBetaBackwardCUDAKernelTemplateIN3c108BFloat16EfLj64ELj8ELj64ELb0ELb1ELb1EEEvllPKT_S7_PKT0_SA_PS5_SB_ ; -- Begin function _ZN2at6native12_GLOBAL__N_135GammaBetaBackwardCUDAKernelTemplateIN3c108BFloat16EfLj64ELj8ELj64ELb0ELb1ELb1EEEvllPKT_S7_PKT0_SA_PS5_SB_
	.p2align	8
	.type	_ZN2at6native12_GLOBAL__N_135GammaBetaBackwardCUDAKernelTemplateIN3c108BFloat16EfLj64ELj8ELj64ELb0ELb1ELb1EEEvllPKT_S7_PKT0_SA_PS5_SB_,@function
_ZN2at6native12_GLOBAL__N_135GammaBetaBackwardCUDAKernelTemplateIN3c108BFloat16EfLj64ELj8ELj64ELb0ELb1ELb1EEEvllPKT_S7_PKT0_SA_PS5_SB_: ; @_ZN2at6native12_GLOBAL__N_135GammaBetaBackwardCUDAKernelTemplateIN3c108BFloat16EfLj64ELj8ELj64ELb0ELb1ELb1EEEvllPKT_S7_PKT0_SA_PS5_SB_
; %bb.0:
	s_load_b128 s[4:7], s[0:1], 0x0
	s_bfe_u32 s2, ttmp6, 0x40010
	s_bfe_u32 s3, ttmp6, 0x40004
	s_add_co_i32 s2, s2, 1
	s_getreg_b32 s20, hwreg(HW_REG_IB_STS2, 6, 4)
	s_mul_i32 s2, ttmp7, s2
	s_mov_b32 s13, 0
	s_add_co_i32 s3, s3, s2
	s_cmp_eq_u32 s20, 0
	v_bfe_u32 v9, v0, 10, 10
	s_cselect_b32 s2, ttmp7, s3
	s_delay_alu instid0(SALU_CYCLE_1)
	s_lshl_b32 s12, s2, 6
	s_wait_kmcnt 0x0
	v_cmp_gt_i64_e64 s2, s[4:5], s[12:13]
	s_and_b32 vcc_lo, exec_lo, s2
	s_cbranch_vccnz .LBB192_2
; %bb.1:
	v_bfe_u32 v1, v0, 10, 10
	s_mov_b32 s2, s13
	v_and_b32_e32 v8, 0x3ff, v0
	v_mov_b32_e32 v16, 0
	s_and_not1_b32 vcc_lo, exec_lo, s2
	s_cbranch_vccz .LBB192_3
	s_branch .LBB192_10
.LBB192_2:
                                        ; implicit-def: $vgpr1
	v_and_b32_e32 v8, 0x3ff, v0
	v_mov_b32_e32 v16, 0
.LBB192_3:
	v_dual_mov_b32 v1, 0 :: v_dual_lshlrev_b32 v0, 3, v9
	s_load_b32 s2, s[0:1], 0x4c
	s_bfe_u32 s14, ttmp6, 0x4000c
	s_clause 0x2
	s_load_b32 s3, s[0:1], 0x44
	s_load_b128 s[8:11], s[0:1], 0x10
	s_load_b64 s[16:17], s[0:1], 0x28
	s_add_co_i32 s14, s14, 1
	v_add_nc_u64_e32 v[2:3], s[12:13], v[0:1]
	s_and_b32 s18, ttmp6, 15
	s_mul_i32 s14, ttmp9, s14
	v_dual_mov_b32 v5, v1 :: v_dual_mov_b32 v15, v1
	s_add_co_i32 s18, s18, s14
	s_mov_b32 s15, 0
	s_delay_alu instid0(VALU_DEP_2)
	v_mul_u64_e32 v[6:7], s[6:7], v[2:3]
	v_dual_mov_b32 v0, 8 :: v_dual_mov_b32 v10, 4
	v_dual_mov_b32 v12, 16 :: v_dual_mov_b32 v13, 20
	v_mov_b32_e32 v11, 12
	s_wait_kmcnt 0x0
	s_and_b32 s2, s2, 0xffff
	s_cmp_eq_u32 s20, 0
	v_mad_u32_u24 v4, v9, s2, v8
	s_cselect_b32 s2, ttmp9, s18
	s_lshl_b32 s14, s3, 6
	v_lshl_add_u32 v14, s2, 6, v8
	s_mul_u64 s[18:19], s[6:7], s[14:15]
	v_and_b32_e32 v4, 31, v4
	s_lshl_b64 s[18:19], s[18:19], 1
	s_lshl_b64 s[6:7], s[6:7], 1
	v_lshlrev_b64_e32 v[16:17], 1, v[14:15]
	v_dual_mov_b32 v14, 24 :: v_dual_mov_b32 v15, 28
	v_add_nc_u64_e32 v[2:3], v[2:3], v[4:5]
	v_cmp_gt_u32_e64 s2, 8, v4
	s_delay_alu instid0(VALU_DEP_2)
	v_lshl_add_u64 v[4:5], v[2:3], 2, s[16:17]
	s_lshl_b64 s[16:17], s[14:15], 2
	v_lshl_add_u64 v[6:7], v[6:7], 1, v[16:17]
	v_mov_b32_e32 v16, 0
	s_branch .LBB192_6
.LBB192_4:                              ;   in Loop: Header=BB192_6 Depth=1
	s_wait_xcnt 0x0
	s_or_b32 exec_lo, exec_lo, s21
.LBB192_5:                              ;   in Loop: Header=BB192_6 Depth=1
	s_delay_alu instid0(SALU_CYCLE_1)
	s_or_b32 exec_lo, exec_lo, s3
	v_add_nc_u64_e32 v[18:19], s[8:9], v[6:7]
	v_add_nc_u64_e32 v[20:21], s[10:11], v[6:7]
	s_add_nc_u64 s[12:13], s[12:13], s[14:15]
	v_add_nc_u64_e32 v[4:5], s[16:17], v[4:5]
	v_cmp_lt_i64_e64 s3, s[12:13], s[4:5]
	v_add_nc_u64_e32 v[2:3], s[14:15], v[2:3]
	v_add_nc_u64_e32 v[6:7], s[18:19], v[6:7]
	;; [unrolled: 1-line block ×4, first 2 shown]
	global_load_u16 v30, v[18:19], off
	global_load_u16 v31, v[20:21], off
	;; [unrolled: 1-line block ×4, first 2 shown]
	s_and_b32 vcc_lo, exec_lo, s3
	v_add_nc_u64_e32 v[26:27], s[6:7], v[22:23]
	v_add_nc_u64_e32 v[28:29], s[6:7], v[24:25]
	global_load_u16 v34, v[26:27], off
	global_load_u16 v35, v[28:29], off
	s_wait_xcnt 0x5
	v_add_nc_u64_e32 v[18:19], s[6:7], v[26:27]
	s_wait_xcnt 0x4
	v_add_nc_u64_e32 v[20:21], s[6:7], v[28:29]
	global_load_u16 v27, v[18:19], off
	global_load_u16 v28, v[20:21], off
	v_add_nc_u64_e32 v[22:23], s[6:7], v[18:19]
	v_add_nc_u64_e32 v[24:25], s[6:7], v[20:21]
	global_load_u16 v29, v[22:23], off
	global_load_u16 v36, v[24:25], off
	s_wait_xcnt 0x3
	v_add_nc_u64_e32 v[18:19], s[6:7], v[22:23]
	s_wait_xcnt 0x2
	v_add_nc_u64_e32 v[20:21], s[6:7], v[24:25]
	global_load_u16 v37, v[18:19], off
	global_load_u16 v38, v[20:21], off
	s_wait_xcnt 0x3
	v_add_nc_u64_e32 v[22:23], s[6:7], v[18:19]
	s_wait_xcnt 0x2
	v_add_nc_u64_e32 v[24:25], s[6:7], v[20:21]
	s_wait_xcnt 0x1
	s_delay_alu instid0(VALU_DEP_2) | instskip(SKIP_1) | instid1(VALU_DEP_2)
	v_add_nc_u64_e32 v[18:19], s[6:7], v[22:23]
	s_wait_xcnt 0x0
	v_add_nc_u64_e32 v[20:21], s[6:7], v[24:25]
	global_load_u16 v39, v[22:23], off
	global_load_u16 v40, v[24:25], off
	;; [unrolled: 1-line block ×4, first 2 shown]
	s_wait_loadcnt 0x10
	s_wait_xcnt 0x1
	ds_bpermute_b32 v18, v1, v17
	ds_bpermute_b32 v19, v10, v17
	;; [unrolled: 1-line block ×4, first 2 shown]
	s_wait_loadcnt 0xe
	s_wait_xcnt 0x0
	v_dual_lshlrev_b32 v20, 16, v30 :: v_dual_lshlrev_b32 v22, 16, v31
	s_wait_loadcnt 0xc
	v_dual_lshlrev_b32 v21, 16, v32 :: v_dual_lshlrev_b32 v23, 16, v33
	s_delay_alu instid0(VALU_DEP_1) | instskip(SKIP_3) | instid1(VALU_DEP_2)
	v_pk_mul_f32 v[20:21], v[20:21], v[22:23]
	s_wait_loadcnt 0xa
	v_dual_lshlrev_b32 v22, 16, v34 :: v_dual_lshlrev_b32 v26, 16, v35
	s_wait_dscnt 0x2
	v_pk_mul_f32 v[18:19], v[20:21], v[18:19]
	ds_bpermute_b32 v20, v12, v17
	ds_bpermute_b32 v21, v13, v17
	s_wait_loadcnt 0x9
	v_dual_add_f32 v18, v16, v18 :: v_dual_lshlrev_b32 v23, 16, v27
	s_wait_loadcnt 0x8
	v_lshlrev_b32_e32 v27, 16, v28
	ds_bpermute_b32 v16, v14, v17
	ds_bpermute_b32 v17, v15, v17
	v_pk_mul_f32 v[22:23], v[22:23], v[26:27]
	s_wait_dscnt 0x4
	s_delay_alu instid0(VALU_DEP_1)
	v_pk_mul_f32 v[22:23], v[22:23], v[24:25]
	s_wait_loadcnt 0x6
	v_dual_lshlrev_b32 v24, 16, v36 :: v_dual_add_f32 v26, v18, v19
	v_lshlrev_b32_e32 v18, 16, v29
	s_wait_loadcnt 0x4
	v_dual_lshlrev_b32 v19, 16, v37 :: v_dual_lshlrev_b32 v25, 16, v38
	s_delay_alu instid0(VALU_DEP_3) | instskip(NEXT) | instid1(VALU_DEP_2)
	v_add_f32_e32 v22, v26, v22
	v_pk_mul_f32 v[18:19], v[18:19], v[24:25]
	s_wait_dscnt 0x2
	s_delay_alu instid0(VALU_DEP_1)
	v_pk_mul_f32 v[18:19], v[18:19], v[20:21]
	s_wait_loadcnt 0x2
	v_dual_lshlrev_b32 v24, 16, v40 :: v_dual_add_f32 v26, v22, v23
	s_wait_loadcnt 0x1
	v_dual_lshlrev_b32 v23, 16, v41 :: v_dual_lshlrev_b32 v22, 16, v39
	s_wait_loadcnt 0x0
	v_lshlrev_b32_e32 v25, 16, v42
	s_delay_alu instid0(VALU_DEP_1) | instskip(SKIP_1) | instid1(VALU_DEP_1)
	v_pk_mul_f32 v[20:21], v[22:23], v[24:25]
	s_wait_dscnt 0x0
	v_pk_mul_f32 v[16:17], v[20:21], v[16:17]
	v_add_f32_e32 v18, v26, v18
	s_delay_alu instid0(VALU_DEP_1) | instskip(NEXT) | instid1(VALU_DEP_1)
	v_add_f32_e32 v18, v18, v19
	v_add_f32_e32 v16, v18, v16
	s_delay_alu instid0(VALU_DEP_1)
	v_add_f32_e32 v16, v16, v17
	s_cbranch_vccz .LBB192_9
.LBB192_6:                              ; =>This Inner Loop Header: Depth=1
	v_mov_b32_e32 v17, 0
	s_and_saveexec_b32 s3, s2
	s_cbranch_execz .LBB192_5
; %bb.7:                                ;   in Loop: Header=BB192_6 Depth=1
	v_mov_b32_e32 v17, 0
	s_mov_b32 s21, exec_lo
	v_cmpx_gt_i64_e64 s[4:5], v[2:3]
	s_cbranch_execz .LBB192_4
; %bb.8:                                ;   in Loop: Header=BB192_6 Depth=1
	global_load_b32 v17, v[4:5], off
	s_branch .LBB192_4
.LBB192_9:
	v_mov_b32_e32 v1, v9
.LBB192_10:
	s_load_b64 s[2:3], s[0:1], 0x30
	s_delay_alu instid0(VALU_DEP_1) | instskip(SKIP_3) | instid1(VALU_DEP_2)
	v_mad_u32_u24 v0, 0x41, v1, v8
	v_mov_b32_e32 v3, 0
	s_wait_xcnt 0x0
	s_mov_b32 s0, exec_lo
	v_lshl_add_u32 v2, v0, 2, 0
	v_sub_nc_u32_e32 v1, v0, v1
	ds_store_b32 v2, v16
	ds_store_b32 v2, v3 offset:2080
	s_wait_dscnt 0x0
	s_barrier_signal -1
	s_barrier_wait -1
	v_cmpx_gt_u32_e32 0x800, v1
	s_cbranch_execz .LBB192_30
; %bb.11:
	v_dual_lshrrev_b32 v0, 5, v1 :: v_dual_bitop2_b32 v2, 31, v8 bitop3:0x40
                                        ; implicit-def: $vgpr5
	s_delay_alu instid0(VALU_DEP_1)
	v_cmp_gt_u32_e32 vcc_lo, 8, v2
	v_mul_u32_u24_e32 v2, 0x41, v2
	s_and_saveexec_b32 s0, vcc_lo
; %bb.12:
	s_delay_alu instid0(VALU_DEP_1) | instskip(NEXT) | instid1(VALU_DEP_1)
	v_dual_lshlrev_b32 v3, 2, v0 :: v_dual_lshlrev_b32 v4, 2, v2
	v_add3_u32 v3, 0, v3, v4
	ds_load_b32 v5, v3
; %bb.13:
	s_or_b32 exec_lo, exec_lo, s0
	v_mbcnt_lo_u32_b32 v6, -1, 0
	s_wait_kmcnt 0x0
	s_cmp_lg_u64 s[2:3], 0
	s_cselect_b32 s1, -1, 0
	s_bfe_u32 s4, ttmp6, 0x4000c
	v_xor_b32_e32 v4, 2, v6
	v_xor_b32_e32 v3, 4, v6
	s_add_co_i32 s4, s4, 1
	s_and_b32 s5, ttmp6, 15
	s_mul_i32 s4, ttmp9, s4
	v_xor_b32_e32 v9, 1, v6
	v_cmp_gt_i32_e64 s0, 32, v3
	s_delay_alu instid0(VALU_DEP_1) | instskip(SKIP_1) | instid1(VALU_DEP_1)
	v_cndmask_b32_e64 v3, v6, v3, s0
	v_cmp_gt_i32_e64 s0, 32, v4
	v_cndmask_b32_e64 v4, v6, v4, s0
	v_cmp_gt_i32_e64 s0, 32, v9
	s_delay_alu instid0(VALU_DEP_2)
	v_dual_lshlrev_b32 v4, 2, v4 :: v_dual_lshlrev_b32 v3, 2, v3
	s_wait_dscnt 0x0
	ds_bpermute_b32 v7, v3, v5
	s_wait_dscnt 0x0
	v_add_f32_e32 v5, v5, v7
	ds_bpermute_b32 v7, v4, v5
	v_cndmask_b32_e64 v6, v6, v9, s0
	v_cmp_eq_u32_e64 s0, 0, v8
	s_and_b32 s1, s0, s1
	s_add_co_i32 s0, s5, s4
	s_cmp_eq_u32 s20, 0
	s_mov_b32 s5, 0
	s_cselect_b32 s4, ttmp9, s0
	s_delay_alu instid0(SALU_CYCLE_1) | instskip(NEXT) | instid1(SALU_CYCLE_1)
	s_lshl_b64 s[4:5], s[4:5], 7
	s_add_nc_u64 s[2:3], s[2:3], s[4:5]
	s_wait_dscnt 0x0
	v_dual_add_f32 v7, v5, v7 :: v_dual_lshlrev_b32 v5, 2, v6
	ds_bpermute_b32 v6, v5, v7
	s_wait_dscnt 0x0
	v_add_f32_e32 v6, v7, v6
	s_and_saveexec_b32 s4, s1
	s_cbranch_execz .LBB192_15
; %bb.14:
	s_delay_alu instid0(VALU_DEP_1) | instskip(SKIP_1) | instid1(VALU_DEP_2)
	v_bfe_u32 v7, v6, 16, 1
	v_cmp_o_f32_e64 s0, v6, v6
	v_add3_u32 v7, v6, v7, 0x7fff
	s_delay_alu instid0(VALU_DEP_1) | instskip(NEXT) | instid1(VALU_DEP_1)
	v_lshrrev_b32_e32 v7, 16, v7
	v_cndmask_b32_e64 v7, 0x7fc0, v7, s0
	global_store_b16 v0, v7, s[2:3] scale_offset
.LBB192_15:
	s_wait_xcnt 0x0
	s_or_b32 exec_lo, exec_lo, s4
	v_cmp_gt_u32_e64 s0, 0x600, v1
	s_and_b32 exec_lo, exec_lo, s0
	s_cbranch_execz .LBB192_30
; %bb.16:
	s_and_saveexec_b32 s0, vcc_lo
; %bb.17:
	v_dual_lshlrev_b32 v6, 2, v0 :: v_dual_lshlrev_b32 v7, 2, v2
	s_delay_alu instid0(VALU_DEP_1)
	v_add3_u32 v6, 0, v6, v7
	ds_load_b32 v6, v6 offset:64
; %bb.18:
	s_or_b32 exec_lo, exec_lo, s0
	s_wait_dscnt 0x0
	ds_bpermute_b32 v7, v3, v6
	s_wait_dscnt 0x0
	v_add_f32_e32 v6, v6, v7
	ds_bpermute_b32 v7, v4, v6
	s_wait_dscnt 0x0
	v_add_f32_e32 v6, v6, v7
	;; [unrolled: 3-line block ×3, first 2 shown]
	s_and_saveexec_b32 s4, s1
	s_cbranch_execz .LBB192_20
; %bb.19:
	s_delay_alu instid0(VALU_DEP_1) | instskip(SKIP_1) | instid1(VALU_DEP_2)
	v_bfe_u32 v7, v6, 16, 1
	v_cmp_o_f32_e64 s0, v6, v6
	v_add3_u32 v7, v6, v7, 0x7fff
	s_delay_alu instid0(VALU_DEP_1) | instskip(NEXT) | instid1(VALU_DEP_1)
	v_lshrrev_b32_e32 v7, 16, v7
	v_cndmask_b32_e64 v7, 0x7fc0, v7, s0
	global_store_b16 v0, v7, s[2:3] offset:32 scale_offset
.LBB192_20:
	s_wait_xcnt 0x0
	s_or_b32 exec_lo, exec_lo, s4
	v_cmp_gt_u32_e64 s0, 0x400, v1
	s_and_b32 exec_lo, exec_lo, s0
	s_cbranch_execz .LBB192_30
; %bb.21:
	s_and_saveexec_b32 s0, vcc_lo
; %bb.22:
	v_dual_lshlrev_b32 v6, 2, v0 :: v_dual_lshlrev_b32 v7, 2, v2
	s_delay_alu instid0(VALU_DEP_1)
	v_add3_u32 v6, 0, v6, v7
	ds_load_b32 v6, v6 offset:128
; %bb.23:
	s_or_b32 exec_lo, exec_lo, s0
	s_wait_dscnt 0x0
	ds_bpermute_b32 v7, v3, v6
	s_wait_dscnt 0x0
	v_add_f32_e32 v6, v6, v7
	ds_bpermute_b32 v7, v4, v6
	s_wait_dscnt 0x0
	v_add_f32_e32 v6, v6, v7
	;; [unrolled: 3-line block ×3, first 2 shown]
	s_and_saveexec_b32 s4, s1
	s_cbranch_execz .LBB192_25
; %bb.24:
	s_delay_alu instid0(VALU_DEP_1) | instskip(SKIP_1) | instid1(VALU_DEP_2)
	v_bfe_u32 v7, v6, 16, 1
	v_cmp_o_f32_e64 s0, v6, v6
	v_add3_u32 v7, v6, v7, 0x7fff
	s_delay_alu instid0(VALU_DEP_1) | instskip(NEXT) | instid1(VALU_DEP_1)
	v_lshrrev_b32_e32 v7, 16, v7
	v_cndmask_b32_e64 v7, 0x7fc0, v7, s0
	global_store_b16 v0, v7, s[2:3] offset:64 scale_offset
.LBB192_25:
	s_wait_xcnt 0x0
	s_or_b32 exec_lo, exec_lo, s4
	v_cmp_gt_u32_e64 s0, 0x200, v1
	s_and_b32 exec_lo, exec_lo, s0
	s_cbranch_execz .LBB192_30
; %bb.26:
	s_and_saveexec_b32 s0, vcc_lo
; %bb.27:
	v_dual_lshlrev_b32 v1, 2, v0 :: v_dual_lshlrev_b32 v2, 2, v2
	s_delay_alu instid0(VALU_DEP_1)
	v_add3_u32 v1, 0, v1, v2
	ds_load_b32 v6, v1 offset:192
; %bb.28:
	s_or_b32 exec_lo, exec_lo, s0
	s_wait_dscnt 0x0
	ds_bpermute_b32 v1, v3, v6
	s_wait_dscnt 0x0
	v_add_f32_e32 v1, v6, v1
	ds_bpermute_b32 v2, v4, v1
	s_wait_dscnt 0x0
	v_add_f32_e32 v1, v1, v2
	ds_bpermute_b32 v2, v5, v1
	s_and_saveexec_b32 s0, s1
	s_delay_alu instid0(SALU_CYCLE_1)
	s_xor_b32 s0, exec_lo, s0
	s_cbranch_execz .LBB192_30
; %bb.29:
	s_wait_dscnt 0x0
	v_add_f32_e32 v1, v1, v2
	s_delay_alu instid0(VALU_DEP_1) | instskip(NEXT) | instid1(VALU_DEP_1)
	v_bfe_u32 v2, v1, 16, 1
	v_add3_u32 v2, v1, v2, 0x7fff
	s_delay_alu instid0(VALU_DEP_1) | instskip(SKIP_1) | instid1(VALU_DEP_2)
	v_lshrrev_b32_e32 v2, 16, v2
	v_cmp_o_f32_e32 vcc_lo, v1, v1
	v_cndmask_b32_e32 v1, 0x7fc0, v2, vcc_lo
	global_store_b16 v0, v1, s[2:3] offset:96 scale_offset
.LBB192_30:
	s_endpgm
	.section	.rodata,"a",@progbits
	.p2align	6, 0x0
	.amdhsa_kernel _ZN2at6native12_GLOBAL__N_135GammaBetaBackwardCUDAKernelTemplateIN3c108BFloat16EfLj64ELj8ELj64ELb0ELb1ELb1EEEvllPKT_S7_PKT0_SA_PS5_SB_
		.amdhsa_group_segment_fixed_size 0
		.amdhsa_private_segment_fixed_size 0
		.amdhsa_kernarg_size 320
		.amdhsa_user_sgpr_count 2
		.amdhsa_user_sgpr_dispatch_ptr 0
		.amdhsa_user_sgpr_queue_ptr 0
		.amdhsa_user_sgpr_kernarg_segment_ptr 1
		.amdhsa_user_sgpr_dispatch_id 0
		.amdhsa_user_sgpr_kernarg_preload_length 0
		.amdhsa_user_sgpr_kernarg_preload_offset 0
		.amdhsa_user_sgpr_private_segment_size 0
		.amdhsa_wavefront_size32 1
		.amdhsa_uses_dynamic_stack 0
		.amdhsa_enable_private_segment 0
		.amdhsa_system_sgpr_workgroup_id_x 1
		.amdhsa_system_sgpr_workgroup_id_y 1
		.amdhsa_system_sgpr_workgroup_id_z 0
		.amdhsa_system_sgpr_workgroup_info 0
		.amdhsa_system_vgpr_workitem_id 1
		.amdhsa_next_free_vgpr 43
		.amdhsa_next_free_sgpr 22
		.amdhsa_named_barrier_count 0
		.amdhsa_reserve_vcc 1
		.amdhsa_float_round_mode_32 0
		.amdhsa_float_round_mode_16_64 0
		.amdhsa_float_denorm_mode_32 3
		.amdhsa_float_denorm_mode_16_64 3
		.amdhsa_fp16_overflow 0
		.amdhsa_memory_ordered 1
		.amdhsa_forward_progress 1
		.amdhsa_inst_pref_size 17
		.amdhsa_round_robin_scheduling 0
		.amdhsa_exception_fp_ieee_invalid_op 0
		.amdhsa_exception_fp_denorm_src 0
		.amdhsa_exception_fp_ieee_div_zero 0
		.amdhsa_exception_fp_ieee_overflow 0
		.amdhsa_exception_fp_ieee_underflow 0
		.amdhsa_exception_fp_ieee_inexact 0
		.amdhsa_exception_int_div_zero 0
	.end_amdhsa_kernel
	.section	.text._ZN2at6native12_GLOBAL__N_135GammaBetaBackwardCUDAKernelTemplateIN3c108BFloat16EfLj64ELj8ELj64ELb0ELb1ELb1EEEvllPKT_S7_PKT0_SA_PS5_SB_,"axG",@progbits,_ZN2at6native12_GLOBAL__N_135GammaBetaBackwardCUDAKernelTemplateIN3c108BFloat16EfLj64ELj8ELj64ELb0ELb1ELb1EEEvllPKT_S7_PKT0_SA_PS5_SB_,comdat
.Lfunc_end192:
	.size	_ZN2at6native12_GLOBAL__N_135GammaBetaBackwardCUDAKernelTemplateIN3c108BFloat16EfLj64ELj8ELj64ELb0ELb1ELb1EEEvllPKT_S7_PKT0_SA_PS5_SB_, .Lfunc_end192-_ZN2at6native12_GLOBAL__N_135GammaBetaBackwardCUDAKernelTemplateIN3c108BFloat16EfLj64ELj8ELj64ELb0ELb1ELb1EEEvllPKT_S7_PKT0_SA_PS5_SB_
                                        ; -- End function
	.set _ZN2at6native12_GLOBAL__N_135GammaBetaBackwardCUDAKernelTemplateIN3c108BFloat16EfLj64ELj8ELj64ELb0ELb1ELb1EEEvllPKT_S7_PKT0_SA_PS5_SB_.num_vgpr, 43
	.set _ZN2at6native12_GLOBAL__N_135GammaBetaBackwardCUDAKernelTemplateIN3c108BFloat16EfLj64ELj8ELj64ELb0ELb1ELb1EEEvllPKT_S7_PKT0_SA_PS5_SB_.num_agpr, 0
	.set _ZN2at6native12_GLOBAL__N_135GammaBetaBackwardCUDAKernelTemplateIN3c108BFloat16EfLj64ELj8ELj64ELb0ELb1ELb1EEEvllPKT_S7_PKT0_SA_PS5_SB_.numbered_sgpr, 22
	.set _ZN2at6native12_GLOBAL__N_135GammaBetaBackwardCUDAKernelTemplateIN3c108BFloat16EfLj64ELj8ELj64ELb0ELb1ELb1EEEvllPKT_S7_PKT0_SA_PS5_SB_.num_named_barrier, 0
	.set _ZN2at6native12_GLOBAL__N_135GammaBetaBackwardCUDAKernelTemplateIN3c108BFloat16EfLj64ELj8ELj64ELb0ELb1ELb1EEEvllPKT_S7_PKT0_SA_PS5_SB_.private_seg_size, 0
	.set _ZN2at6native12_GLOBAL__N_135GammaBetaBackwardCUDAKernelTemplateIN3c108BFloat16EfLj64ELj8ELj64ELb0ELb1ELb1EEEvllPKT_S7_PKT0_SA_PS5_SB_.uses_vcc, 1
	.set _ZN2at6native12_GLOBAL__N_135GammaBetaBackwardCUDAKernelTemplateIN3c108BFloat16EfLj64ELj8ELj64ELb0ELb1ELb1EEEvllPKT_S7_PKT0_SA_PS5_SB_.uses_flat_scratch, 0
	.set _ZN2at6native12_GLOBAL__N_135GammaBetaBackwardCUDAKernelTemplateIN3c108BFloat16EfLj64ELj8ELj64ELb0ELb1ELb1EEEvllPKT_S7_PKT0_SA_PS5_SB_.has_dyn_sized_stack, 0
	.set _ZN2at6native12_GLOBAL__N_135GammaBetaBackwardCUDAKernelTemplateIN3c108BFloat16EfLj64ELj8ELj64ELb0ELb1ELb1EEEvllPKT_S7_PKT0_SA_PS5_SB_.has_recursion, 0
	.set _ZN2at6native12_GLOBAL__N_135GammaBetaBackwardCUDAKernelTemplateIN3c108BFloat16EfLj64ELj8ELj64ELb0ELb1ELb1EEEvllPKT_S7_PKT0_SA_PS5_SB_.has_indirect_call, 0
	.section	.AMDGPU.csdata,"",@progbits
; Kernel info:
; codeLenInByte = 2136
; TotalNumSgprs: 24
; NumVgprs: 43
; ScratchSize: 0
; MemoryBound: 0
; FloatMode: 240
; IeeeMode: 1
; LDSByteSize: 0 bytes/workgroup (compile time only)
; SGPRBlocks: 0
; VGPRBlocks: 2
; NumSGPRsForWavesPerEU: 24
; NumVGPRsForWavesPerEU: 43
; NamedBarCnt: 0
; Occupancy: 16
; WaveLimiterHint : 0
; COMPUTE_PGM_RSRC2:SCRATCH_EN: 0
; COMPUTE_PGM_RSRC2:USER_SGPR: 2
; COMPUTE_PGM_RSRC2:TRAP_HANDLER: 0
; COMPUTE_PGM_RSRC2:TGID_X_EN: 1
; COMPUTE_PGM_RSRC2:TGID_Y_EN: 1
; COMPUTE_PGM_RSRC2:TGID_Z_EN: 0
; COMPUTE_PGM_RSRC2:TIDIG_COMP_CNT: 1
	.section	.text._ZN2at6native12_GLOBAL__N_135GammaBetaBackwardCUDAKernelTemplateIN3c108BFloat16EfLj64ELj8ELj64ELb0ELb0ELb1EEEvllPKT_S7_PKT0_SA_PS5_SB_,"axG",@progbits,_ZN2at6native12_GLOBAL__N_135GammaBetaBackwardCUDAKernelTemplateIN3c108BFloat16EfLj64ELj8ELj64ELb0ELb0ELb1EEEvllPKT_S7_PKT0_SA_PS5_SB_,comdat
	.globl	_ZN2at6native12_GLOBAL__N_135GammaBetaBackwardCUDAKernelTemplateIN3c108BFloat16EfLj64ELj8ELj64ELb0ELb0ELb1EEEvllPKT_S7_PKT0_SA_PS5_SB_ ; -- Begin function _ZN2at6native12_GLOBAL__N_135GammaBetaBackwardCUDAKernelTemplateIN3c108BFloat16EfLj64ELj8ELj64ELb0ELb0ELb1EEEvllPKT_S7_PKT0_SA_PS5_SB_
	.p2align	8
	.type	_ZN2at6native12_GLOBAL__N_135GammaBetaBackwardCUDAKernelTemplateIN3c108BFloat16EfLj64ELj8ELj64ELb0ELb0ELb1EEEvllPKT_S7_PKT0_SA_PS5_SB_,@function
_ZN2at6native12_GLOBAL__N_135GammaBetaBackwardCUDAKernelTemplateIN3c108BFloat16EfLj64ELj8ELj64ELb0ELb0ELb1EEEvllPKT_S7_PKT0_SA_PS5_SB_: ; @_ZN2at6native12_GLOBAL__N_135GammaBetaBackwardCUDAKernelTemplateIN3c108BFloat16EfLj64ELj8ELj64ELb0ELb0ELb1EEEvllPKT_S7_PKT0_SA_PS5_SB_
; %bb.0:
	s_load_b256 s[4:11], s[0:1], 0x0
	s_bfe_u32 s3, ttmp6, 0x4000c
	s_bfe_u32 s12, ttmp6, 0x40010
	s_add_co_i32 s3, s3, 1
	s_add_co_i32 s12, s12, 1
	s_and_b32 s2, ttmp6, 15
	s_bfe_u32 s13, ttmp6, 0x40004
	s_mul_i32 s3, ttmp9, s3
	s_mul_i32 s12, ttmp7, s12
	s_getreg_b32 s14, hwreg(HW_REG_IB_STS2, 6, 4)
	s_add_co_i32 s2, s2, s3
	s_add_co_i32 s13, s13, s12
	s_cmp_eq_u32 s14, 0
	s_mov_b32 s17, 0
	s_cselect_b32 s12, ttmp9, s2
	s_cselect_b32 s2, ttmp7, s13
	s_lshl_b32 s3, s12, 6
	s_load_b64 s[14:15], s[0:1], 0x28
	s_or_b32 s16, s3, 63
	s_wait_kmcnt 0x0
	v_cmp_le_i64_e64 s18, s[6:7], s[16:17]
	s_lshl_b32 s16, s2, 6
	s_delay_alu instid0(SALU_CYCLE_1) | instskip(SKIP_2) | instid1(VALU_DEP_1)
	v_cmp_gt_i64_e64 s13, s[4:5], s[16:17]
	s_and_b32 vcc_lo, exec_lo, s18
	v_cndmask_b32_e64 v1, 0, 1, s13
	v_cmp_ne_u32_e64 s2, 1, v1
	s_cbranch_vccz .LBB193_49
; %bb.1:
	v_mov_b32_e32 v3, 0
	s_and_b32 vcc_lo, exec_lo, s2
	s_cbranch_vccnz .LBB193_50
; %bb.2:
	v_bfe_u32 v1, v0, 10, 10
	v_mov_b32_e32 v2, 0
	v_and_b32_e32 v58, 0x3ff, v0
	s_load_b32 s18, s[0:1], 0x44
	s_mov_b32 s19, 0
	s_delay_alu instid0(VALU_DEP_2) | instskip(NEXT) | instid1(VALU_DEP_2)
	v_dual_mov_b32 v21, v2 :: v_dual_lshlrev_b32 v20, 3, v1
	v_dual_mov_b32 v19, v2 :: v_dual_add_nc_u32 v18, s3, v58
	v_mov_b32_e32 v59, 0
	s_mov_b32 s35, s19
	s_delay_alu instid0(VALU_DEP_3)
	v_add_nc_u64_e32 v[4:5], s[16:17], v[20:21]
	s_add_nc_u64 s[20:21], s[0:1], 64
	v_cmp_gt_i64_e64 s2, s[6:7], v[18:19]
	v_lshlrev_b64_e32 v[22:23], 1, v[18:19]
	s_mov_b64 s[22:23], 0xffffffffffffffc1
	s_mov_b64 s[24:25], 0xffffffffffffffc2
	;; [unrolled: 1-line block ×3, first 2 shown]
	v_mul_u64_e32 v[6:7], s[6:7], v[4:5]
	v_add_nc_u64_e32 v[8:9], 7, v[4:5]
	v_add_nc_u64_e32 v[10:11], 6, v[4:5]
	;; [unrolled: 1-line block ×6, first 2 shown]
	s_wait_kmcnt 0x0
	s_lshl_b32 s34, s18, 6
	v_mul_u64_e32 v[8:9], s[6:7], v[8:9]
	v_mul_u64_e32 v[10:11], s[6:7], v[10:11]
	;; [unrolled: 1-line block ×6, first 2 shown]
	s_mul_u64 s[42:43], s[6:7], s[34:35]
	s_mov_b64 s[28:29], 0xffffffffffffffc4
	s_mov_b64 s[30:31], 0xffffffffffffffc5
	;; [unrolled: 1-line block ×5, first 2 shown]
	s_lshl_b64 s[42:43], s[42:43], 1
	s_add_nc_u64 s[44:45], s[16:17], 63
	s_mov_b64 s[46:47], s[16:17]
	v_lshlrev_b64_e32 v[26:27], 1, v[6:7]
	v_add_nc_u64_e32 v[6:7], s[6:7], v[6:7]
	s_delay_alu instid0(VALU_DEP_2)
	v_add_nc_u64_e32 v[24:25], s[8:9], v[26:27]
	v_lshlrev_b64_e32 v[8:9], 1, v[8:9]
	v_lshlrev_b64_e32 v[10:11], 1, v[10:11]
	;; [unrolled: 1-line block ×7, first 2 shown]
	v_add_nc_u64_e32 v[26:27], s[10:11], v[26:27]
	v_add_nc_u64_e32 v[28:29], s[8:9], v[8:9]
	;; [unrolled: 1-line block ×15, first 2 shown]
.LBB193_3:                              ; =>This Inner Loop Header: Depth=1
	v_cmp_ge_i64_e64 s18, s[44:45], s[4:5]
	v_add_nc_u64_e32 v[56:57], s[44:45], v[20:21]
                                        ; implicit-def: $vgpr4_vgpr5_vgpr6_vgpr7_vgpr8_vgpr9_vgpr10_vgpr11
                                        ; implicit-def: $vgpr3
                                        ; implicit-def: $vgpr12_vgpr13_vgpr14_vgpr15_vgpr16_vgpr17_vgpr18_vgpr19
                                        ; implicit-def: $vgpr4
	s_and_b32 vcc_lo, exec_lo, s18
	s_mov_b32 s18, -1
	s_cbranch_vccz .LBB193_25
; %bb.4:                                ;   in Loop: Header=BB193_3 Depth=1
	s_load_b32 s18, s[20:21], 0xc
	v_mov_b32_e32 v60, 0
	s_wait_kmcnt 0x0
	s_and_b32 s18, s18, 0xffff
	s_delay_alu instid0(SALU_CYCLE_1) | instskip(SKIP_1) | instid1(VALU_DEP_1)
	v_mad_u32_u24 v3, v1, s18, v58
	s_mov_b32 s18, exec_lo
	v_and_b32_e32 v4, 31, v3
	s_delay_alu instid0(VALU_DEP_1)
	v_cmpx_gt_u32_e32 8, v4
	s_cbranch_execz .LBB193_8
; %bb.5:                                ;   in Loop: Header=BB193_3 Depth=1
	v_dual_mov_b32 v5, v2 :: v_dual_mov_b32 v60, 0
	s_mov_b32 s33, exec_lo
	s_delay_alu instid0(VALU_DEP_1) | instskip(NEXT) | instid1(VALU_DEP_1)
	v_add_nc_u64_e32 v[4:5], v[56:57], v[4:5]
	v_add_nc_u64_e32 v[4:5], s[22:23], v[4:5]
	s_delay_alu instid0(VALU_DEP_1)
	v_cmpx_gt_i64_e64 s[4:5], v[4:5]
	s_cbranch_execz .LBB193_7
; %bb.6:                                ;   in Loop: Header=BB193_3 Depth=1
	v_lshl_add_u64 v[4:5], v[4:5], 2, s[14:15]
	global_load_b32 v60, v[4:5], off
.LBB193_7:                              ;   in Loop: Header=BB193_3 Depth=1
	s_wait_xcnt 0x0
	s_or_b32 exec_lo, exec_lo, s33
.LBB193_8:                              ;   in Loop: Header=BB193_3 Depth=1
	s_delay_alu instid0(SALU_CYCLE_1)
	s_or_b32 exec_lo, exec_lo, s18
	v_add_nc_u64_e32 v[10:11], s[22:23], v[56:57]
	v_dual_mov_b32 v7, v2 :: v_dual_mov_b32 v8, v2
	v_dual_mov_b32 v9, v2 :: v_dual_mov_b32 v3, v2
	;; [unrolled: 1-line block ×3, first 2 shown]
	v_mov_b32_e32 v6, v2
	v_cmp_gt_i64_e32 vcc_lo, s[4:5], v[10:11]
	s_delay_alu instid0(VALU_DEP_4)
	v_mov_b64_e32 v[18:19], v[8:9]
	v_mov_b64_e32 v[12:13], v[2:3]
	;; [unrolled: 1-line block ×8, first 2 shown]
	s_and_b32 s33, s2, vcc_lo
	s_delay_alu instid0(SALU_CYCLE_1)
	s_and_saveexec_b32 s18, s33
	s_cbranch_execz .LBB193_10
; %bb.9:                                ;   in Loop: Header=BB193_3 Depth=1
	v_add_nc_u64_e32 v[4:5], v[24:25], v[22:23]
	v_add_nc_u64_e32 v[6:7], v[26:27], v[22:23]
	v_dual_mov_b32 v9, v2 :: v_dual_mov_b32 v10, v2
	v_dual_mov_b32 v11, v2 :: v_dual_mov_b32 v13, v2
	v_dual_mov_b32 v14, v2 :: v_dual_mov_b32 v15, v2
	global_load_u16 v3, v[4:5], off
	global_load_u16 v12, v[6:7], off
	s_wait_xcnt 0x0
	v_dual_mov_b32 v5, v2 :: v_dual_mov_b32 v6, v2
	v_dual_mov_b32 v7, v2 :: v_dual_mov_b32 v8, v2
	;; [unrolled: 1-line block ×4, first 2 shown]
	s_wait_loadcnt 0x0
	v_dual_lshlrev_b32 v4, 16, v3 :: v_dual_lshlrev_b32 v12, 16, v12
.LBB193_10:                             ;   in Loop: Header=BB193_3 Depth=1
	s_or_b32 exec_lo, exec_lo, s18
	v_add_nc_u64_e32 v[62:63], s[24:25], v[56:57]
	s_delay_alu instid0(VALU_DEP_1) | instskip(SKIP_1) | instid1(SALU_CYCLE_1)
	v_cmp_gt_i64_e32 vcc_lo, s[4:5], v[62:63]
	s_and_b32 s33, s2, vcc_lo
	s_and_saveexec_b32 s18, s33
	s_cbranch_execz .LBB193_12
; %bb.11:                               ;   in Loop: Header=BB193_3 Depth=1
	v_add_nc_u64_e32 v[62:63], v[52:53], v[22:23]
	v_add_nc_u64_e32 v[64:65], v[54:55], v[22:23]
	global_load_u16 v3, v[62:63], off
	global_load_u16 v13, v[64:65], off
	s_wait_loadcnt 0x0
	v_dual_lshlrev_b32 v5, 16, v3 :: v_dual_lshlrev_b32 v13, 16, v13
.LBB193_12:                             ;   in Loop: Header=BB193_3 Depth=1
	s_or_b32 exec_lo, exec_lo, s18
	v_add_nc_u64_e32 v[62:63], s[26:27], v[56:57]
	s_delay_alu instid0(VALU_DEP_1) | instskip(SKIP_1) | instid1(SALU_CYCLE_1)
	v_cmp_gt_i64_e32 vcc_lo, s[4:5], v[62:63]
	s_and_b32 s33, s2, vcc_lo
	s_and_saveexec_b32 s18, s33
	s_cbranch_execz .LBB193_14
; %bb.13:                               ;   in Loop: Header=BB193_3 Depth=1
	v_add_nc_u64_e32 v[62:63], v[48:49], v[22:23]
	v_add_nc_u64_e32 v[64:65], v[50:51], v[22:23]
	global_load_u16 v3, v[62:63], off
	global_load_u16 v14, v[64:65], off
	s_wait_loadcnt 0x0
	v_dual_lshlrev_b32 v6, 16, v3 :: v_dual_lshlrev_b32 v14, 16, v14
.LBB193_14:                             ;   in Loop: Header=BB193_3 Depth=1
	s_or_b32 exec_lo, exec_lo, s18
	v_add_nc_u64_e32 v[62:63], s[28:29], v[56:57]
	s_delay_alu instid0(VALU_DEP_1) | instskip(SKIP_1) | instid1(SALU_CYCLE_1)
	v_cmp_gt_i64_e32 vcc_lo, s[4:5], v[62:63]
	s_and_b32 s33, s2, vcc_lo
	s_and_saveexec_b32 s18, s33
	s_cbranch_execz .LBB193_16
; %bb.15:                               ;   in Loop: Header=BB193_3 Depth=1
	v_add_nc_u64_e32 v[62:63], v[44:45], v[22:23]
	v_add_nc_u64_e32 v[64:65], v[46:47], v[22:23]
	global_load_u16 v3, v[62:63], off
	global_load_u16 v15, v[64:65], off
	s_wait_loadcnt 0x1
	v_lshlrev_b32_e32 v7, 16, v3
	s_wait_loadcnt 0x0
	v_lshlrev_b32_e32 v15, 16, v15
.LBB193_16:                             ;   in Loop: Header=BB193_3 Depth=1
	s_or_b32 exec_lo, exec_lo, s18
	v_add_nc_u64_e32 v[62:63], s[30:31], v[56:57]
	s_delay_alu instid0(VALU_DEP_1) | instskip(SKIP_1) | instid1(SALU_CYCLE_1)
	v_cmp_gt_i64_e32 vcc_lo, s[4:5], v[62:63]
	s_and_b32 s33, s2, vcc_lo
	s_and_saveexec_b32 s18, s33
	s_cbranch_execz .LBB193_18
; %bb.17:                               ;   in Loop: Header=BB193_3 Depth=1
	v_add_nc_u64_e32 v[62:63], v[40:41], v[22:23]
	v_add_nc_u64_e32 v[64:65], v[42:43], v[22:23]
	global_load_u16 v3, v[62:63], off
	global_load_u16 v16, v[64:65], off
	s_wait_loadcnt 0x0
	v_dual_lshlrev_b32 v8, 16, v3 :: v_dual_lshlrev_b32 v16, 16, v16
.LBB193_18:                             ;   in Loop: Header=BB193_3 Depth=1
	s_or_b32 exec_lo, exec_lo, s18
	v_add_nc_u64_e32 v[62:63], s[36:37], v[56:57]
	s_delay_alu instid0(VALU_DEP_1) | instskip(SKIP_1) | instid1(SALU_CYCLE_1)
	v_cmp_gt_i64_e32 vcc_lo, s[4:5], v[62:63]
	s_and_b32 s33, s2, vcc_lo
	s_and_saveexec_b32 s18, s33
	s_cbranch_execz .LBB193_20
; %bb.19:                               ;   in Loop: Header=BB193_3 Depth=1
	v_add_nc_u64_e32 v[62:63], v[36:37], v[22:23]
	v_add_nc_u64_e32 v[64:65], v[38:39], v[22:23]
	global_load_u16 v3, v[62:63], off
	global_load_u16 v17, v[64:65], off
	s_wait_loadcnt 0x0
	v_dual_lshlrev_b32 v9, 16, v3 :: v_dual_lshlrev_b32 v17, 16, v17
.LBB193_20:                             ;   in Loop: Header=BB193_3 Depth=1
	;; [unrolled: 15-line block ×3, first 2 shown]
	s_or_b32 exec_lo, exec_lo, s18
	v_add_nc_u64_e32 v[62:63], s[40:41], v[56:57]
	s_delay_alu instid0(VALU_DEP_1) | instskip(SKIP_1) | instid1(SALU_CYCLE_1)
	v_cmp_gt_i64_e32 vcc_lo, s[4:5], v[62:63]
	s_and_b32 s33, s2, vcc_lo
	s_and_saveexec_b32 s18, s33
	s_cbranch_execz .LBB193_24
; %bb.23:                               ;   in Loop: Header=BB193_3 Depth=1
	v_add_nc_u64_e32 v[62:63], v[28:29], v[22:23]
	v_add_nc_u64_e32 v[64:65], v[30:31], v[22:23]
	global_load_u16 v3, v[62:63], off
	global_load_u16 v19, v[64:65], off
	s_wait_loadcnt 0x1
	v_lshlrev_b32_e32 v11, 16, v3
	s_wait_loadcnt 0x0
	v_lshlrev_b32_e32 v19, 16, v19
.LBB193_24:                             ;   in Loop: Header=BB193_3 Depth=1
	s_or_b32 exec_lo, exec_lo, s18
	s_wait_loadcnt 0x0
	ds_bpermute_b32 v3, v2, v60
	ds_bpermute_b32 v62, v2, v60 offset:4
	ds_bpermute_b32 v63, v2, v60 offset:8
	ds_bpermute_b32 v64, v2, v60 offset:12
	ds_bpermute_b32 v65, v2, v60 offset:16
	v_pk_mul_f32 v[6:7], v[14:15], v[6:7]
	v_dual_mul_f32 v14, v12, v4 :: v_dual_mul_f32 v4, v13, v5
	v_pk_mul_f32 v[8:9], v[16:17], v[8:9]
	ds_bpermute_b32 v12, v2, v60 offset:20
	v_dual_mov_b32 v5, v6 :: v_dual_mov_b32 v6, v7
	ds_bpermute_b32 v13, v2, v60 offset:24
	s_mov_b32 s18, 0
	v_dual_mov_b32 v7, v8 :: v_dual_mul_f32 v15, v18, v10
	s_wait_dscnt 0x6
	v_dual_fma_f32 v3, v14, v3, v59 :: v_dual_mov_b32 v14, v9
	s_wait_dscnt 0x4
	v_pk_mul_f32 v[4:5], v[4:5], v[62:63]
	s_wait_dscnt 0x2
	v_pk_mul_f32 v[6:7], v[6:7], v[64:65]
	s_delay_alu instid0(VALU_DEP_2) | instskip(SKIP_2) | instid1(VALU_DEP_1)
	v_add_f32_e32 v3, v3, v4
	ds_bpermute_b32 v4, v2, v60 offset:28
	v_add_f32_e32 v3, v3, v5
	v_add_f32_e32 v3, v3, v6
	s_delay_alu instid0(VALU_DEP_1) | instskip(SKIP_2) | instid1(VALU_DEP_1)
	v_add_f32_e32 v3, v3, v7
	s_wait_dscnt 0x1
	v_pk_mul_f32 v[6:7], v[14:15], v[12:13]
	v_add_f32_e32 v3, v3, v6
	s_delay_alu instid0(VALU_DEP_1)
	v_add_f32_e32 v3, v3, v7
.LBB193_25:                             ;   in Loop: Header=BB193_3 Depth=1
	s_and_b32 vcc_lo, exec_lo, s18
	s_cbranch_vccz .LBB193_40
; %bb.26:                               ;   in Loop: Header=BB193_3 Depth=1
	s_load_b32 s18, s[20:21], 0x0
	v_mov_b32_e32 v60, 0
	s_wait_kmcnt 0x0
	s_cmp_lt_u32 s12, s18
	s_cselect_b32 s18, 12, 18
	s_delay_alu instid0(SALU_CYCLE_1)
	s_add_nc_u64 s[48:49], s[20:21], s[18:19]
	s_load_u16 s18, s[48:49], 0x0
	s_wait_kmcnt 0x0
	v_mad_u32_u24 v3, v1, s18, v58
	s_mov_b32 s18, exec_lo
	s_wait_dscnt 0x0
	s_delay_alu instid0(VALU_DEP_1) | instskip(NEXT) | instid1(VALU_DEP_1)
	v_and_b32_e32 v4, 31, v3
	v_cmpx_gt_u32_e32 8, v4
	s_cbranch_execz .LBB193_30
; %bb.27:                               ;   in Loop: Header=BB193_3 Depth=1
	v_dual_mov_b32 v5, v2 :: v_dual_mov_b32 v60, 0
	s_mov_b32 s33, exec_lo
	s_delay_alu instid0(VALU_DEP_1) | instskip(NEXT) | instid1(VALU_DEP_1)
	v_add_nc_u64_e32 v[4:5], v[56:57], v[4:5]
	v_add_nc_u64_e32 v[4:5], s[22:23], v[4:5]
	s_delay_alu instid0(VALU_DEP_1)
	v_cmpx_gt_i64_e64 s[4:5], v[4:5]
	s_cbranch_execz .LBB193_29
; %bb.28:                               ;   in Loop: Header=BB193_3 Depth=1
	v_lshl_add_u64 v[4:5], v[4:5], 2, s[14:15]
	global_load_b32 v60, v[4:5], off
.LBB193_29:                             ;   in Loop: Header=BB193_3 Depth=1
	s_wait_xcnt 0x0
	s_or_b32 exec_lo, exec_lo, s33
.LBB193_30:                             ;   in Loop: Header=BB193_3 Depth=1
	s_delay_alu instid0(SALU_CYCLE_1) | instskip(SKIP_4) | instid1(VALU_DEP_3)
	s_or_b32 exec_lo, exec_lo, s18
	v_dual_mov_b32 v7, v2 :: v_dual_mov_b32 v8, v2
	v_dual_mov_b32 v9, v2 :: v_dual_mov_b32 v3, v2
	;; [unrolled: 1-line block ×3, first 2 shown]
	v_mov_b32_e32 v6, v2
	v_mov_b64_e32 v[18:19], v[8:9]
	s_delay_alu instid0(VALU_DEP_4) | instskip(NEXT) | instid1(VALU_DEP_4)
	v_mov_b64_e32 v[12:13], v[2:3]
	v_mov_b64_e32 v[14:15], v[4:5]
	s_delay_alu instid0(VALU_DEP_4)
	v_mov_b64_e32 v[16:17], v[6:7]
	v_mov_b64_e32 v[10:11], v[8:9]
	;; [unrolled: 1-line block ×5, first 2 shown]
	s_and_saveexec_b32 s18, s2
	s_cbranch_execnz .LBB193_42
; %bb.31:                               ;   in Loop: Header=BB193_3 Depth=1
	s_or_b32 exec_lo, exec_lo, s18
	s_and_saveexec_b32 s18, s2
	s_cbranch_execnz .LBB193_43
.LBB193_32:                             ;   in Loop: Header=BB193_3 Depth=1
	s_or_b32 exec_lo, exec_lo, s18
	s_and_saveexec_b32 s18, s2
	s_cbranch_execnz .LBB193_44
.LBB193_33:                             ;   in Loop: Header=BB193_3 Depth=1
	s_or_b32 exec_lo, exec_lo, s18
	s_and_saveexec_b32 s18, s2
	s_cbranch_execnz .LBB193_45
.LBB193_34:                             ;   in Loop: Header=BB193_3 Depth=1
	s_or_b32 exec_lo, exec_lo, s18
	s_and_saveexec_b32 s18, s2
	s_cbranch_execnz .LBB193_46
.LBB193_35:                             ;   in Loop: Header=BB193_3 Depth=1
	s_or_b32 exec_lo, exec_lo, s18
	s_and_saveexec_b32 s18, s2
	s_cbranch_execnz .LBB193_47
.LBB193_36:                             ;   in Loop: Header=BB193_3 Depth=1
	s_or_b32 exec_lo, exec_lo, s18
	s_and_saveexec_b32 s18, s2
	s_cbranch_execnz .LBB193_48
.LBB193_37:                             ;   in Loop: Header=BB193_3 Depth=1
	s_or_b32 exec_lo, exec_lo, s18
	s_and_saveexec_b32 s18, s2
	s_cbranch_execz .LBB193_39
.LBB193_38:                             ;   in Loop: Header=BB193_3 Depth=1
	v_add_nc_u64_e32 v[56:57], v[28:29], v[22:23]
	v_add_nc_u64_e32 v[62:63], v[30:31], v[22:23]
	global_load_u16 v3, v[56:57], off
	global_load_u16 v19, v[62:63], off
	s_wait_loadcnt 0x1
	v_lshlrev_b32_e32 v11, 16, v3
	s_wait_loadcnt 0x0
	v_lshlrev_b32_e32 v19, 16, v19
.LBB193_39:                             ;   in Loop: Header=BB193_3 Depth=1
	s_or_b32 exec_lo, exec_lo, s18
	s_wait_loadcnt 0x0
	ds_bpermute_b32 v3, v2, v60
	ds_bpermute_b32 v56, v2, v60 offset:4
	ds_bpermute_b32 v57, v2, v60 offset:8
	ds_bpermute_b32 v62, v2, v60 offset:12
	ds_bpermute_b32 v63, v2, v60 offset:16
	v_pk_mul_f32 v[6:7], v[14:15], v[6:7]
	v_dual_mul_f32 v14, v12, v4 :: v_dual_mul_f32 v4, v13, v5
	v_pk_mul_f32 v[8:9], v[16:17], v[8:9]
	ds_bpermute_b32 v12, v2, v60 offset:20
	v_dual_mov_b32 v5, v6 :: v_dual_mov_b32 v6, v7
	ds_bpermute_b32 v13, v2, v60 offset:24
	v_dual_mov_b32 v7, v8 :: v_dual_mul_f32 v15, v18, v10
	s_wait_dscnt 0x6
	v_dual_fmac_f32 v59, v14, v3 :: v_dual_mov_b32 v14, v9
	s_wait_dscnt 0x4
	v_pk_mul_f32 v[4:5], v[4:5], v[56:57]
	s_wait_dscnt 0x2
	v_pk_mul_f32 v[6:7], v[6:7], v[62:63]
	s_delay_alu instid0(VALU_DEP_2) | instskip(SKIP_2) | instid1(VALU_DEP_1)
	v_add_f32_e32 v3, v59, v4
	ds_bpermute_b32 v4, v2, v60 offset:28
	v_add_f32_e32 v3, v3, v5
	v_add_f32_e32 v3, v3, v6
	s_delay_alu instid0(VALU_DEP_1) | instskip(SKIP_2) | instid1(VALU_DEP_1)
	v_add_f32_e32 v3, v3, v7
	s_wait_dscnt 0x1
	v_pk_mul_f32 v[6:7], v[14:15], v[12:13]
	v_add_f32_e32 v3, v3, v6
	s_delay_alu instid0(VALU_DEP_1)
	v_add_f32_e32 v3, v3, v7
.LBB193_40:                             ;   in Loop: Header=BB193_3 Depth=1
	s_add_nc_u64 s[46:47], s[46:47], s[34:35]
	v_mul_f32_e32 v5, v11, v19
	v_cmp_lt_i64_e64 s18, s[46:47], s[4:5]
	v_add_nc_u64_e32 v[24:25], s[42:43], v[24:25]
	v_add_nc_u64_e32 v[26:27], s[42:43], v[26:27]
	;; [unrolled: 1-line block ×16, first 2 shown]
	s_wait_dscnt 0x0
	v_fmac_f32_e32 v3, v5, v4
	s_and_b32 vcc_lo, exec_lo, s18
	s_add_nc_u64 s[44:45], s[44:45], s[34:35]
	s_cbranch_vccz .LBB193_50
; %bb.41:                               ;   in Loop: Header=BB193_3 Depth=1
	s_delay_alu instid0(VALU_DEP_1)
	v_mov_b32_e32 v59, v3
	s_branch .LBB193_3
.LBB193_42:                             ;   in Loop: Header=BB193_3 Depth=1
	v_add_nc_u64_e32 v[4:5], v[24:25], v[22:23]
	v_add_nc_u64_e32 v[6:7], v[26:27], v[22:23]
	v_dual_mov_b32 v9, v2 :: v_dual_mov_b32 v10, v2
	v_dual_mov_b32 v11, v2 :: v_dual_mov_b32 v13, v2
	;; [unrolled: 1-line block ×3, first 2 shown]
	global_load_u16 v3, v[4:5], off
	global_load_u16 v12, v[6:7], off
	s_wait_xcnt 0x0
	v_dual_mov_b32 v5, v2 :: v_dual_mov_b32 v6, v2
	v_dual_mov_b32 v7, v2 :: v_dual_mov_b32 v8, v2
	;; [unrolled: 1-line block ×4, first 2 shown]
	s_wait_loadcnt 0x0
	v_dual_lshlrev_b32 v4, 16, v3 :: v_dual_lshlrev_b32 v12, 16, v12
	s_or_b32 exec_lo, exec_lo, s18
	s_and_saveexec_b32 s18, s2
	s_cbranch_execz .LBB193_32
.LBB193_43:                             ;   in Loop: Header=BB193_3 Depth=1
	v_add_nc_u64_e32 v[56:57], v[52:53], v[22:23]
	v_add_nc_u64_e32 v[62:63], v[54:55], v[22:23]
	global_load_u16 v3, v[56:57], off
	global_load_u16 v13, v[62:63], off
	s_wait_loadcnt 0x0
	v_dual_lshlrev_b32 v5, 16, v3 :: v_dual_lshlrev_b32 v13, 16, v13
	s_or_b32 exec_lo, exec_lo, s18
	s_and_saveexec_b32 s18, s2
	s_cbranch_execz .LBB193_33
.LBB193_44:                             ;   in Loop: Header=BB193_3 Depth=1
	v_add_nc_u64_e32 v[56:57], v[48:49], v[22:23]
	v_add_nc_u64_e32 v[62:63], v[50:51], v[22:23]
	global_load_u16 v3, v[56:57], off
	global_load_u16 v14, v[62:63], off
	s_wait_loadcnt 0x0
	v_dual_lshlrev_b32 v6, 16, v3 :: v_dual_lshlrev_b32 v14, 16, v14
	s_or_b32 exec_lo, exec_lo, s18
	s_and_saveexec_b32 s18, s2
	s_cbranch_execz .LBB193_34
.LBB193_45:                             ;   in Loop: Header=BB193_3 Depth=1
	v_add_nc_u64_e32 v[56:57], v[44:45], v[22:23]
	v_add_nc_u64_e32 v[62:63], v[46:47], v[22:23]
	global_load_u16 v3, v[56:57], off
	global_load_u16 v15, v[62:63], off
	s_wait_loadcnt 0x1
	v_lshlrev_b32_e32 v7, 16, v3
	s_wait_loadcnt 0x0
	v_lshlrev_b32_e32 v15, 16, v15
	s_or_b32 exec_lo, exec_lo, s18
	s_and_saveexec_b32 s18, s2
	s_cbranch_execz .LBB193_35
.LBB193_46:                             ;   in Loop: Header=BB193_3 Depth=1
	v_add_nc_u64_e32 v[56:57], v[40:41], v[22:23]
	v_add_nc_u64_e32 v[62:63], v[42:43], v[22:23]
	global_load_u16 v3, v[56:57], off
	global_load_u16 v16, v[62:63], off
	s_wait_loadcnt 0x0
	v_dual_lshlrev_b32 v8, 16, v3 :: v_dual_lshlrev_b32 v16, 16, v16
	s_or_b32 exec_lo, exec_lo, s18
	s_and_saveexec_b32 s18, s2
	s_cbranch_execz .LBB193_36
.LBB193_47:                             ;   in Loop: Header=BB193_3 Depth=1
	v_add_nc_u64_e32 v[56:57], v[36:37], v[22:23]
	v_add_nc_u64_e32 v[62:63], v[38:39], v[22:23]
	global_load_u16 v3, v[56:57], off
	global_load_u16 v17, v[62:63], off
	s_wait_loadcnt 0x0
	v_dual_lshlrev_b32 v9, 16, v3 :: v_dual_lshlrev_b32 v17, 16, v17
	s_or_b32 exec_lo, exec_lo, s18
	s_and_saveexec_b32 s18, s2
	s_cbranch_execz .LBB193_37
.LBB193_48:                             ;   in Loop: Header=BB193_3 Depth=1
	v_add_nc_u64_e32 v[56:57], v[32:33], v[22:23]
	v_add_nc_u64_e32 v[62:63], v[34:35], v[22:23]
	global_load_u16 v3, v[56:57], off
	global_load_u16 v18, v[62:63], off
	s_wait_loadcnt 0x0
	v_dual_lshlrev_b32 v10, 16, v3 :: v_dual_lshlrev_b32 v18, 16, v18
	s_or_b32 exec_lo, exec_lo, s18
	s_and_saveexec_b32 s18, s2
	s_cbranch_execnz .LBB193_38
	s_branch .LBB193_39
.LBB193_49:
                                        ; implicit-def: $vgpr3
	s_branch .LBB193_51
.LBB193_50:
	s_cbranch_execnz .LBB193_83
.LBB193_51:
	v_mov_b32_e32 v3, 0
	s_and_not1_b32 vcc_lo, exec_lo, s13
	s_cbranch_vccnz .LBB193_83
; %bb.52:
	v_bfe_u32 v1, v0, 10, 10
	v_mov_b32_e32 v2, 0
	v_and_b32_e32 v86, 0x3ff, v0
	s_load_b32 s2, s[0:1], 0x44
	s_mov_b64 s[20:21], 0xffffffffffffffc3
	s_delay_alu instid0(VALU_DEP_2) | instskip(SKIP_3) | instid1(VALU_DEP_2)
	v_dual_mov_b32 v5, v2 :: v_dual_lshlrev_b32 v4, 4, v1
	v_dual_mov_b32 v21, v2 :: v_dual_lshlrev_b32 v20, 3, v1
	s_mov_b64 s[22:23], 0xffffffffffffffc4
	s_mov_b64 s[24:25], 0xffffffffffffffc5
	v_lshl_add_u64 v[4:5], s[16:17], 1, v[4:5]
	s_mov_b64 s[26:27], 0xffffffffffffffc6
	s_mov_b64 s[28:29], 0xffffffffffffffc7
	;; [unrolled: 1-line block ×3, first 2 shown]
	s_add_nc_u64 s[34:35], s[0:1], 64
	v_add_nc_u64_e32 v[6:7], 2, v[4:5]
	v_add_nc_u64_e32 v[10:11], 4, v[4:5]
	;; [unrolled: 1-line block ×7, first 2 shown]
	v_mad_nc_u64_u32 v[22:23], s6, v6, s[8:9]
	v_mul_lo_u32 v3, s6, v7
	v_mul_lo_u32 v44, s7, v6
	v_mad_nc_u64_u32 v[24:25], s6, v10, s[8:9]
	v_mul_lo_u32 v46, s6, v11
	v_mul_lo_u32 v47, s7, v10
	;; [unrolled: 3-line block ×3, first 2 shown]
	v_mad_nc_u64_u32 v[32:33], s6, v6, s[10:11]
	v_mad_nc_u64_u32 v[34:35], s6, v10, s[10:11]
	;; [unrolled: 1-line block ×4, first 2 shown]
	v_add3_u32 v23, v44, v23, v3
	v_mul_lo_u32 v53, s7, v18
	v_mad_nc_u64_u32 v[28:29], s6, v14, s[8:9]
	v_add3_u32 v25, v47, v25, v46
	v_mul_lo_u32 v50, s6, v15
	v_mul_lo_u32 v51, s7, v14
	v_add3_u32 v27, v49, v27, v48
	v_add3_u32 v33, v44, v33, v3
	v_mad_nc_u64_u32 v[44:45], s6, v18, s[10:11]
	v_add3_u32 v35, v47, v35, v46
	v_add3_u32 v37, v49, v37, v48
	v_mad_nc_u64_u32 v[46:47], s6, v4, s[8:9]
	v_mul_lo_u32 v18, s7, v4
	v_mad_nc_u64_u32 v[48:49], s6, v4, s[10:11]
	v_add_nc_u32_e32 v4, s3, v86
	v_add_nc_u64_e32 v[8:9], s[16:17], v[20:21]
	v_mad_nc_u64_u32 v[40:41], s6, v14, s[10:11]
	v_mul_lo_u32 v3, s6, v5
	v_dual_mov_b32 v5, v2 :: v_dual_mov_b32 v87, 0
	v_mad_nc_u64_u32 v[30:31], s6, v16, s[8:9]
	v_mul_lo_u32 v17, s6, v17
	v_add_nc_u64_e32 v[6:7], 7, v[8:9]
	v_add_nc_u64_e32 v[10:11], 6, v[8:9]
	;; [unrolled: 1-line block ×3, first 2 shown]
	v_mul_u64_e32 v[60:61], s[6:7], v[8:9]
	v_add_nc_u64_e32 v[42:43], 4, v[8:9]
	v_add_nc_u64_e32 v[14:15], 3, v[8:9]
	;; [unrolled: 1-line block ×3, first 2 shown]
	v_mul_u64_e32 v[6:7], s[6:7], v[6:7]
	v_mul_u64_e32 v[10:11], s[6:7], v[10:11]
	;; [unrolled: 1-line block ×3, first 2 shown]
	v_mul_lo_u32 v52, s7, v16
	v_mul_u64_e32 v[62:63], s[6:7], v[42:43]
	v_mul_u64_e32 v[14:15], s[6:7], v[14:15]
	;; [unrolled: 1-line block ×3, first 2 shown]
	v_mad_nc_u64_u32 v[42:43], s6, v16, s[10:11]
	v_add3_u32 v29, v51, v29, v50
	v_add3_u32 v41, v51, v41, v50
	v_lshlrev_b64_e32 v[50:51], 1, v[4:5]
	v_mul_lo_u32 v19, s6, v19
	s_mov_b32 s3, 0
	s_wait_kmcnt 0x0
	s_lshl_b32 s18, s2, 6
	v_add3_u32 v31, v52, v31, v17
	s_mov_b32 s19, s3
	v_add3_u32 v47, v18, v47, v3
	v_add3_u32 v49, v18, v49, v3
	;; [unrolled: 1-line block ×3, first 2 shown]
	s_mul_u64 s[36:37], s[6:7], s[18:19]
	s_add_nc_u64 s[38:39], s[16:17], 63
	s_lshl_b64 s[36:37], s[36:37], 1
	v_add3_u32 v39, v53, v39, v19
	v_add3_u32 v45, v53, v45, v19
	v_lshlrev_b64_e32 v[16:17], 1, v[60:61]
	v_lshlrev_b64_e32 v[6:7], 1, v[6:7]
	;; [unrolled: 1-line block ×3, first 2 shown]
	s_delay_alu instid0(VALU_DEP_3)
	v_add_nc_u64_e32 v[52:53], s[8:9], v[16:17]
	v_lshlrev_b64_e32 v[10:11], 1, v[62:63]
	v_add_nc_u64_e32 v[54:55], s[10:11], v[16:17]
	v_lshlrev_b64_e32 v[8:9], 1, v[8:9]
	v_add_nc_u64_e32 v[56:57], s[8:9], v[6:7]
	v_add_nc_u64_e32 v[58:59], s[10:11], v[6:7]
	v_lshlrev_b64_e32 v[6:7], 1, v[12:13]
	v_add_nc_u64_e32 v[12:13], s[6:7], v[60:61]
	v_add_nc_u64_e32 v[60:61], s[8:9], v[4:5]
	;; [unrolled: 1-line block ×3, first 2 shown]
	v_lshlrev_b64_e32 v[4:5], 1, v[14:15]
	v_add_nc_u64_e32 v[68:69], s[8:9], v[10:11]
	v_add_nc_u64_e32 v[70:71], s[10:11], v[10:11]
	;; [unrolled: 1-line block ×4, first 2 shown]
	v_lshlrev_b64_e32 v[6:7], 1, v[12:13]
	v_add_nc_u64_e32 v[76:77], s[8:9], v[8:9]
	v_add_nc_u64_e32 v[72:73], s[8:9], v[4:5]
	;; [unrolled: 1-line block ×6, first 2 shown]
	s_mov_b64 s[8:9], 0xffffffffffffffc1
	s_mov_b64 s[10:11], 0xffffffffffffffc2
.LBB193_53:                             ; =>This Inner Loop Header: Depth=1
	v_cmp_ge_i64_e64 s2, s[38:39], s[4:5]
	v_add_nc_u64_e32 v[84:85], s[38:39], v[20:21]
                                        ; implicit-def: $vgpr3
	s_and_b32 vcc_lo, exec_lo, s2
	s_mov_b32 s2, -1
	s_cbranch_vccz .LBB193_75
; %bb.54:                               ;   in Loop: Header=BB193_53 Depth=1
	s_load_b32 s2, s[34:35], 0xc
	v_mov_b32_e32 v88, 0
	s_wait_kmcnt 0x0
	s_and_b32 s2, s2, 0xffff
	s_delay_alu instid0(SALU_CYCLE_1) | instskip(SKIP_1) | instid1(VALU_DEP_1)
	v_mad_u32_u24 v3, v1, s2, v86
	s_mov_b32 s2, exec_lo
	v_and_b32_e32 v4, 31, v3
	s_delay_alu instid0(VALU_DEP_1)
	v_cmpx_gt_u32_e32 8, v4
	s_cbranch_execz .LBB193_58
; %bb.55:                               ;   in Loop: Header=BB193_53 Depth=1
	v_dual_mov_b32 v5, v2 :: v_dual_mov_b32 v88, 0
	s_mov_b32 s13, exec_lo
	s_delay_alu instid0(VALU_DEP_1) | instskip(NEXT) | instid1(VALU_DEP_1)
	v_add_nc_u64_e32 v[4:5], v[84:85], v[4:5]
	v_add_nc_u64_e32 v[4:5], s[8:9], v[4:5]
	s_delay_alu instid0(VALU_DEP_1)
	v_cmpx_gt_i64_e64 s[4:5], v[4:5]
	s_cbranch_execz .LBB193_57
; %bb.56:                               ;   in Loop: Header=BB193_53 Depth=1
	v_lshl_add_u64 v[4:5], v[4:5], 2, s[14:15]
	global_load_b32 v88, v[4:5], off
.LBB193_57:                             ;   in Loop: Header=BB193_53 Depth=1
	s_wait_xcnt 0x0
	s_or_b32 exec_lo, exec_lo, s13
.LBB193_58:                             ;   in Loop: Header=BB193_53 Depth=1
	s_delay_alu instid0(SALU_CYCLE_1)
	s_or_b32 exec_lo, exec_lo, s2
	v_add_nc_u64_e32 v[10:11], s[8:9], v[84:85]
	v_dual_mov_b32 v7, v2 :: v_dual_mov_b32 v8, v2
	v_dual_mov_b32 v9, v2 :: v_dual_mov_b32 v3, v2
	;; [unrolled: 1-line block ×3, first 2 shown]
	v_mov_b32_e32 v6, v2
	s_delay_alu instid0(VALU_DEP_3)
	v_mov_b64_e32 v[18:19], v[8:9]
	v_cmp_gt_i64_e32 vcc_lo, s[4:5], v[10:11]
	v_mov_b64_e32 v[12:13], v[2:3]
	v_mov_b64_e32 v[14:15], v[4:5]
	;; [unrolled: 1-line block ×7, first 2 shown]
	s_and_saveexec_b32 s2, vcc_lo
	s_cbranch_execz .LBB193_60
; %bb.59:                               ;   in Loop: Header=BB193_53 Depth=1
	v_add_nc_u64_e32 v[4:5], v[52:53], v[50:51]
	v_add_nc_u64_e32 v[6:7], v[54:55], v[50:51]
	v_dual_mov_b32 v9, v2 :: v_dual_mov_b32 v10, v2
	v_dual_mov_b32 v11, v2 :: v_dual_mov_b32 v13, v2
	;; [unrolled: 1-line block ×3, first 2 shown]
	global_load_u16 v3, v[4:5], off
	global_load_u16 v12, v[6:7], off
	s_wait_xcnt 0x0
	v_dual_mov_b32 v5, v2 :: v_dual_mov_b32 v6, v2
	v_dual_mov_b32 v7, v2 :: v_dual_mov_b32 v8, v2
	;; [unrolled: 1-line block ×4, first 2 shown]
	s_wait_loadcnt 0x0
	v_dual_lshlrev_b32 v4, 16, v3 :: v_dual_lshlrev_b32 v12, 16, v12
.LBB193_60:                             ;   in Loop: Header=BB193_53 Depth=1
	s_or_b32 exec_lo, exec_lo, s2
	v_add_nc_u64_e32 v[90:91], s[10:11], v[84:85]
	s_mov_b32 s2, exec_lo
	s_delay_alu instid0(VALU_DEP_1)
	v_cmpx_gt_i64_e64 s[4:5], v[90:91]
	s_cbranch_execz .LBB193_62
; %bb.61:                               ;   in Loop: Header=BB193_53 Depth=1
	v_add_nc_u64_e32 v[90:91], v[80:81], v[50:51]
	v_add_nc_u64_e32 v[92:93], v[82:83], v[50:51]
	global_load_u16 v3, v[90:91], off
	global_load_u16 v13, v[92:93], off
	s_wait_loadcnt 0x0
	v_dual_lshlrev_b32 v5, 16, v3 :: v_dual_lshlrev_b32 v13, 16, v13
.LBB193_62:                             ;   in Loop: Header=BB193_53 Depth=1
	s_or_b32 exec_lo, exec_lo, s2
	v_add_nc_u64_e32 v[90:91], s[20:21], v[84:85]
	s_mov_b32 s2, exec_lo
	s_delay_alu instid0(VALU_DEP_1)
	v_cmpx_gt_i64_e64 s[4:5], v[90:91]
	s_cbranch_execz .LBB193_64
; %bb.63:                               ;   in Loop: Header=BB193_53 Depth=1
	v_add_nc_u64_e32 v[90:91], v[76:77], v[50:51]
	v_add_nc_u64_e32 v[92:93], v[78:79], v[50:51]
	global_load_u16 v3, v[90:91], off
	global_load_u16 v14, v[92:93], off
	s_wait_loadcnt 0x0
	v_dual_lshlrev_b32 v6, 16, v3 :: v_dual_lshlrev_b32 v14, 16, v14
.LBB193_64:                             ;   in Loop: Header=BB193_53 Depth=1
	s_or_b32 exec_lo, exec_lo, s2
	v_add_nc_u64_e32 v[90:91], s[22:23], v[84:85]
	s_mov_b32 s2, exec_lo
	s_delay_alu instid0(VALU_DEP_1)
	v_cmpx_gt_i64_e64 s[4:5], v[90:91]
	s_cbranch_execz .LBB193_66
; %bb.65:                               ;   in Loop: Header=BB193_53 Depth=1
	v_add_nc_u64_e32 v[90:91], v[72:73], v[50:51]
	v_add_nc_u64_e32 v[92:93], v[74:75], v[50:51]
	global_load_u16 v3, v[90:91], off
	global_load_u16 v15, v[92:93], off
	s_wait_loadcnt 0x1
	v_lshlrev_b32_e32 v7, 16, v3
	s_wait_loadcnt 0x0
	v_lshlrev_b32_e32 v15, 16, v15
.LBB193_66:                             ;   in Loop: Header=BB193_53 Depth=1
	s_or_b32 exec_lo, exec_lo, s2
	v_add_nc_u64_e32 v[90:91], s[24:25], v[84:85]
	s_mov_b32 s2, exec_lo
	s_delay_alu instid0(VALU_DEP_1)
	v_cmpx_gt_i64_e64 s[4:5], v[90:91]
	s_cbranch_execz .LBB193_68
; %bb.67:                               ;   in Loop: Header=BB193_53 Depth=1
	v_add_nc_u64_e32 v[90:91], v[68:69], v[50:51]
	v_add_nc_u64_e32 v[92:93], v[70:71], v[50:51]
	global_load_u16 v3, v[90:91], off
	global_load_u16 v16, v[92:93], off
	s_wait_loadcnt 0x0
	v_dual_lshlrev_b32 v8, 16, v3 :: v_dual_lshlrev_b32 v16, 16, v16
.LBB193_68:                             ;   in Loop: Header=BB193_53 Depth=1
	s_or_b32 exec_lo, exec_lo, s2
	v_add_nc_u64_e32 v[90:91], s[26:27], v[84:85]
	s_mov_b32 s2, exec_lo
	s_delay_alu instid0(VALU_DEP_1)
	v_cmpx_gt_i64_e64 s[4:5], v[90:91]
	s_cbranch_execz .LBB193_70
; %bb.69:                               ;   in Loop: Header=BB193_53 Depth=1
	v_add_nc_u64_e32 v[90:91], v[64:65], v[50:51]
	v_add_nc_u64_e32 v[92:93], v[66:67], v[50:51]
	global_load_u16 v3, v[90:91], off
	global_load_u16 v17, v[92:93], off
	s_wait_loadcnt 0x0
	v_dual_lshlrev_b32 v9, 16, v3 :: v_dual_lshlrev_b32 v17, 16, v17
.LBB193_70:                             ;   in Loop: Header=BB193_53 Depth=1
	;; [unrolled: 14-line block ×3, first 2 shown]
	s_or_b32 exec_lo, exec_lo, s2
	v_add_nc_u64_e32 v[90:91], s[30:31], v[84:85]
	s_mov_b32 s2, exec_lo
	s_delay_alu instid0(VALU_DEP_1)
	v_cmpx_gt_i64_e64 s[4:5], v[90:91]
	s_cbranch_execz .LBB193_74
; %bb.73:                               ;   in Loop: Header=BB193_53 Depth=1
	v_add_nc_u64_e32 v[90:91], v[56:57], v[50:51]
	v_add_nc_u64_e32 v[92:93], v[58:59], v[50:51]
	global_load_u16 v3, v[90:91], off
	global_load_u16 v19, v[92:93], off
	s_wait_loadcnt 0x1
	v_lshlrev_b32_e32 v11, 16, v3
	s_wait_loadcnt 0x0
	v_lshlrev_b32_e32 v19, 16, v19
.LBB193_74:                             ;   in Loop: Header=BB193_53 Depth=1
	s_or_b32 exec_lo, exec_lo, s2
	s_wait_loadcnt 0x0
	ds_bpermute_b32 v90, v2, v88
	ds_bpermute_b32 v91, v2, v88 offset:4
	ds_bpermute_b32 v92, v2, v88 offset:8
	;; [unrolled: 1-line block ×3, first 2 shown]
	v_pk_mul_f32 v[4:5], v[12:13], v[4:5]
	ds_bpermute_b32 v12, v2, v88 offset:16
	ds_bpermute_b32 v13, v2, v88 offset:20
	v_pk_mul_f32 v[6:7], v[14:15], v[6:7]
	v_pk_mul_f32 v[8:9], v[16:17], v[8:9]
	s_mov_b32 s2, 0
	s_wait_dscnt 0x4
	v_pk_mul_f32 v[4:5], v[4:5], v[90:91]
	s_wait_dscnt 0x2
	v_pk_mul_f32 v[6:7], v[6:7], v[92:93]
	;; [unrolled: 2-line block ×3, first 2 shown]
	v_add_f32_e32 v3, v87, v4
	ds_bpermute_b32 v4, v2, v88 offset:24
	v_add_f32_e32 v3, v3, v5
	ds_bpermute_b32 v5, v2, v88 offset:28
	v_add_f32_e32 v3, v3, v6
	s_delay_alu instid0(VALU_DEP_1) | instskip(SKIP_1) | instid1(VALU_DEP_2)
	v_add_f32_e32 v3, v3, v7
	v_pk_mul_f32 v[6:7], v[18:19], v[10:11]
	v_add_f32_e32 v3, v3, v8
	s_delay_alu instid0(VALU_DEP_1) | instskip(SKIP_1) | instid1(VALU_DEP_3)
	v_add_f32_e32 v3, v3, v9
	s_wait_dscnt 0x0
	v_pk_mul_f32 v[4:5], v[6:7], v[4:5]
	s_delay_alu instid0(VALU_DEP_1) | instskip(NEXT) | instid1(VALU_DEP_1)
	v_add_f32_e32 v3, v3, v4
	v_add_f32_e32 v3, v3, v5
.LBB193_75:                             ;   in Loop: Header=BB193_53 Depth=1
	s_and_b32 vcc_lo, exec_lo, s2
	s_cbranch_vccz .LBB193_81
; %bb.76:                               ;   in Loop: Header=BB193_53 Depth=1
	s_load_b32 s2, s[34:35], 0x0
	s_wait_kmcnt 0x0
	s_cmp_lt_u32 s12, s2
	s_cselect_b32 s2, 12, 18
	s_delay_alu instid0(SALU_CYCLE_1) | instskip(SKIP_4) | instid1(VALU_DEP_1)
	s_add_nc_u64 s[40:41], s[34:35], s[2:3]
	s_load_u16 s2, s[40:41], 0x0
	s_wait_kmcnt 0x0
	v_mad_u32_u24 v3, v1, s2, v86
	s_mov_b32 s2, exec_lo
	v_dual_mov_b32 v3, 0 :: v_dual_bitop2_b32 v4, 31, v3 bitop3:0x40
	s_delay_alu instid0(VALU_DEP_1)
	v_cmpx_gt_u32_e32 8, v4
	s_cbranch_execz .LBB193_80
; %bb.77:                               ;   in Loop: Header=BB193_53 Depth=1
	v_dual_mov_b32 v5, v2 :: v_dual_mov_b32 v3, 0
	s_mov_b32 s13, exec_lo
	s_delay_alu instid0(VALU_DEP_1) | instskip(NEXT) | instid1(VALU_DEP_1)
	v_add_nc_u64_e32 v[4:5], v[84:85], v[4:5]
	v_add_nc_u64_e32 v[4:5], s[8:9], v[4:5]
	s_delay_alu instid0(VALU_DEP_1)
	v_cmpx_gt_i64_e64 s[4:5], v[4:5]
	s_cbranch_execz .LBB193_79
; %bb.78:                               ;   in Loop: Header=BB193_53 Depth=1
	v_lshl_add_u64 v[4:5], v[4:5], 2, s[14:15]
	global_load_b32 v3, v[4:5], off
.LBB193_79:                             ;   in Loop: Header=BB193_53 Depth=1
	s_wait_xcnt 0x0
	s_or_b32 exec_lo, exec_lo, s13
.LBB193_80:                             ;   in Loop: Header=BB193_53 Depth=1
	s_delay_alu instid0(SALU_CYCLE_1)
	s_or_b32 exec_lo, exec_lo, s2
	v_add_nc_u64_e32 v[4:5], v[22:23], v[50:51]
	v_add_nc_u64_e32 v[6:7], v[52:53], v[50:51]
	v_add_nc_u64_e32 v[8:9], v[32:33], v[50:51]
	v_add_nc_u64_e32 v[10:11], v[54:55], v[50:51]
	v_add_nc_u64_e32 v[14:15], v[26:27], v[50:51]
	v_add_nc_u64_e32 v[12:13], v[24:25], v[50:51]
	global_load_u16 v16, v[4:5], off
	global_load_u16 v17, v[6:7], off
	;; [unrolled: 1-line block ×4, first 2 shown]
	s_wait_xcnt 0x3
	v_add_nc_u64_e32 v[4:5], v[36:37], v[50:51]
	s_wait_xcnt 0x2
	v_add_nc_u64_e32 v[6:7], v[34:35], v[50:51]
	;; [unrolled: 2-line block ×3, first 2 shown]
	v_add_nc_u64_e32 v[8:9], v[28:29], v[50:51]
	global_load_u16 v84, v[14:15], off
	global_load_u16 v85, v[12:13], off
	;; [unrolled: 1-line block ×4, first 2 shown]
	s_wait_xcnt 0x1
	v_add_nc_u64_e32 v[4:5], v[42:43], v[50:51]
	s_wait_xcnt 0x0
	v_add_nc_u64_e32 v[6:7], v[40:41], v[50:51]
	s_wait_loadcnt 0x8
	ds_bpermute_b32 v12, v2, v3 offset:16
	global_load_u16 v90, v[10:11], off
	global_load_u16 v91, v[8:9], off
	;; [unrolled: 1-line block ×4, first 2 shown]
	s_wait_xcnt 0x1
	v_add_nc_u64_e32 v[4:5], v[46:47], v[50:51]
	s_wait_xcnt 0x0
	v_add_nc_u64_e32 v[6:7], v[38:39], v[50:51]
	v_add_nc_u64_e32 v[8:9], v[48:49], v[50:51]
	;; [unrolled: 1-line block ×3, first 2 shown]
	global_load_u16 v94, v[4:5], off
	global_load_u16 v95, v[6:7], off
	;; [unrolled: 1-line block ×4, first 2 shown]
	s_wait_xcnt 0x3
	ds_bpermute_b32 v4, v2, v3
	ds_bpermute_b32 v5, v2, v3 offset:4
	s_wait_xcnt 0x2
	ds_bpermute_b32 v6, v2, v3 offset:8
	ds_bpermute_b32 v7, v2, v3 offset:12
	ds_bpermute_b32 v13, v2, v3 offset:20
	s_wait_loadcnt 0xe
	s_wait_xcnt 0x1
	v_dual_lshlrev_b32 v9, 16, v16 :: v_dual_lshlrev_b32 v8, 16, v17
	s_wait_loadcnt 0xc
	s_wait_xcnt 0x0
	v_dual_lshlrev_b32 v11, 16, v18 :: v_dual_lshlrev_b32 v10, 16, v19
	s_wait_loadcnt 0x8
	v_dual_lshlrev_b32 v15, 16, v88 :: v_dual_lshlrev_b32 v14, 16, v89
	s_delay_alu instid0(VALU_DEP_2)
	v_pk_mul_f32 v[8:9], v[8:9], v[10:11]
	v_dual_lshlrev_b32 v11, 16, v84 :: v_dual_lshlrev_b32 v10, 16, v85
	s_wait_loadcnt 0x6
	v_lshlrev_b32_e32 v16, 16, v91
	s_wait_dscnt 0x3
	v_pk_mul_f32 v[4:5], v[8:9], v[4:5]
	v_lshlrev_b32_e32 v17, 16, v90
	v_pk_mul_f32 v[10:11], v[10:11], v[14:15]
	ds_bpermute_b32 v8, v2, v3 offset:24
	s_wait_loadcnt 0x5
	v_lshlrev_b32_e32 v15, 16, v92
	v_add_f32_e32 v4, v87, v4
	ds_bpermute_b32 v9, v2, v3 offset:28
	s_wait_dscnt 0x3
	v_pk_mul_f32 v[6:7], v[10:11], v[6:7]
	s_wait_loadcnt 0x3
	v_dual_add_f32 v10, v4, v5 :: v_dual_lshlrev_b32 v11, 16, v94
	s_delay_alu instid0(VALU_DEP_1) | instskip(NEXT) | instid1(VALU_DEP_1)
	v_dual_add_f32 v3, v10, v6 :: v_dual_lshlrev_b32 v14, 16, v93
	v_pk_mul_f32 v[4:5], v[16:17], v[14:15]
	s_wait_loadcnt 0x1
	v_dual_lshlrev_b32 v10, 16, v95 :: v_dual_lshlrev_b32 v15, 16, v96
	s_wait_loadcnt 0x0
	v_dual_add_f32 v3, v3, v7 :: v_dual_lshlrev_b32 v14, 16, v97
	s_wait_dscnt 0x2
	v_pk_mul_f32 v[4:5], v[4:5], v[12:13]
	s_delay_alu instid0(VALU_DEP_2) | instskip(NEXT) | instid1(VALU_DEP_2)
	v_pk_mul_f32 v[6:7], v[10:11], v[14:15]
	v_add_f32_e32 v3, v3, v4
	s_delay_alu instid0(VALU_DEP_1) | instskip(SKIP_1) | instid1(VALU_DEP_3)
	v_add_f32_e32 v3, v3, v5
	s_wait_dscnt 0x0
	v_pk_mul_f32 v[4:5], v[6:7], v[8:9]
	s_delay_alu instid0(VALU_DEP_1) | instskip(NEXT) | instid1(VALU_DEP_1)
	v_add_f32_e32 v3, v3, v4
	v_add_f32_e32 v3, v3, v5
.LBB193_81:                             ;   in Loop: Header=BB193_53 Depth=1
	s_add_nc_u64 s[16:17], s[16:17], s[18:19]
	v_add_nc_u64_e32 v[52:53], s[36:37], v[52:53]
	v_cmp_ge_i64_e64 s2, s[16:17], s[4:5]
	v_add_nc_u64_e32 v[54:55], s[36:37], v[54:55]
	v_add_nc_u64_e32 v[22:23], s[36:37], v[22:23]
	;; [unrolled: 1-line block ×29, first 2 shown]
	s_and_b32 vcc_lo, exec_lo, s2
	s_add_nc_u64 s[38:39], s[38:39], s[18:19]
	s_cbranch_vccnz .LBB193_83
; %bb.82:                               ;   in Loop: Header=BB193_53 Depth=1
	v_mov_b32_e32 v87, v3
	s_branch .LBB193_53
.LBB193_83:
	v_and_b32_e32 v1, 0x3ff, v0
	v_bfe_u32 v0, v0, 10, 10
	s_mov_b32 s2, exec_lo
	s_delay_alu instid0(VALU_DEP_1) | instskip(NEXT) | instid1(VALU_DEP_1)
	v_mad_u32_u24 v2, 0x41, v0, v1
	v_dual_mov_b32 v6, 0 :: v_dual_sub_nc_u32 v4, v2, v0
	v_lshl_add_u32 v5, v2, 2, 0
	ds_store_b32 v5, v3
	ds_store_b32 v5, v6 offset:2080
	s_wait_dscnt 0x0
	s_barrier_signal -1
	s_barrier_wait -1
	v_cmpx_gt_u32_e32 0x800, v4
	s_cbranch_execz .LBB193_103
; %bb.84:
	s_load_b64 s[2:3], s[0:1], 0x30
	v_dual_lshrrev_b32 v0, 5, v4 :: v_dual_bitop2_b32 v2, 31, v1 bitop3:0x40
	s_delay_alu instid0(VALU_DEP_1)
	v_cmp_gt_u32_e32 vcc_lo, 8, v2
	v_mul_u32_u24_e32 v5, 0x41, v2
                                        ; implicit-def: $vgpr2
	s_wait_xcnt 0x0
	s_and_saveexec_b32 s0, vcc_lo
; %bb.85:
	s_delay_alu instid0(VALU_DEP_1) | instskip(NEXT) | instid1(VALU_DEP_1)
	v_dual_lshlrev_b32 v2, 2, v0 :: v_dual_lshlrev_b32 v3, 2, v5
	v_add3_u32 v2, 0, v2, v3
	ds_load_b32 v2, v2
; %bb.86:
	s_or_b32 exec_lo, exec_lo, s0
	v_mbcnt_lo_u32_b32 v3, -1, 0
	s_mov_b32 s13, 0
	s_delay_alu instid0(SALU_CYCLE_1)
	s_lshl_b64 s[4:5], s[12:13], 6
	s_wait_kmcnt 0x0
	s_cmp_eq_u64 s[2:3], 0
	v_xor_b32_e32 v6, 4, v3
	v_xor_b32_e32 v9, 1, v3
	s_cselect_b32 s8, -1, 0
	v_xor_b32_e32 v7, 2, v3
	s_delay_alu instid0(VALU_DEP_3) | instskip(NEXT) | instid1(VALU_DEP_1)
	v_cmp_gt_i32_e64 s0, 32, v6
	v_cndmask_b32_e64 v6, v3, v6, s0
	s_delay_alu instid0(VALU_DEP_3) | instskip(NEXT) | instid1(VALU_DEP_1)
	v_cmp_gt_i32_e64 s0, 32, v7
	v_dual_lshlrev_b32 v6, 2, v6 :: v_dual_cndmask_b32 v7, v3, v7, s0
	v_cmp_gt_i32_e64 s0, 32, v9
	s_wait_dscnt 0x0
	ds_bpermute_b32 v8, v6, v2
	v_dual_lshlrev_b32 v7, 2, v7 :: v_dual_cndmask_b32 v3, v3, v9, s0
	v_cmp_ne_u32_e64 s0, 0, v1
	s_wait_dscnt 0x0
	v_add_f32_e32 v2, v2, v8
	ds_bpermute_b32 v8, v7, v2
	s_wait_dscnt 0x0
	v_dual_add_f32 v9, v2, v8 :: v_dual_lshlrev_b32 v8, 2, v3
	v_mov_b32_e32 v3, s5
	ds_bpermute_b32 v10, v8, v9
	s_wait_dscnt 0x0
	v_dual_add_f32 v9, v9, v10 :: v_dual_bitop2_b32 v2, s4, v0 bitop3:0x54
	s_delay_alu instid0(VALU_DEP_1) | instskip(SKIP_1) | instid1(SALU_CYCLE_1)
	v_cmp_le_i64_e64 s1, s[6:7], v[2:3]
	s_or_b32 s1, s0, s1
	s_nor_b32 s1, s8, s1
	s_delay_alu instid0(SALU_CYCLE_1)
	s_and_saveexec_b32 s9, s1
	s_cbranch_execz .LBB193_88
; %bb.87:
	v_bfe_u32 v1, v9, 16, 1
	v_cmp_o_f32_e64 s1, v9, v9
	v_lshl_add_u64 v[2:3], v[2:3], 1, s[2:3]
	s_delay_alu instid0(VALU_DEP_3) | instskip(NEXT) | instid1(VALU_DEP_1)
	v_add3_u32 v1, v9, v1, 0x7fff
	v_lshrrev_b32_e32 v1, 16, v1
	s_delay_alu instid0(VALU_DEP_1)
	v_cndmask_b32_e64 v1, 0x7fc0, v1, s1
	global_store_b16 v[2:3], v1, off
.LBB193_88:
	s_wait_xcnt 0x0
	s_or_b32 exec_lo, exec_lo, s9
	v_cmp_gt_u32_e64 s1, 0x600, v4
	s_and_b32 exec_lo, exec_lo, s1
	s_cbranch_execz .LBB193_103
; %bb.89:
	v_mov_b32_e32 v1, 0
	s_and_saveexec_b32 s1, vcc_lo
; %bb.90:
	v_dual_lshlrev_b32 v2, 2, v0 :: v_dual_lshlrev_b32 v3, 2, v5
	s_delay_alu instid0(VALU_DEP_1)
	v_add3_u32 v2, 0, v2, v3
	ds_load_b32 v9, v2 offset:64
; %bb.91:
	s_or_b32 exec_lo, exec_lo, s1
	s_wait_dscnt 0x0
	ds_bpermute_b32 v2, v6, v9
	s_wait_dscnt 0x0
	v_add_f32_e32 v2, v9, v2
	ds_bpermute_b32 v3, v7, v2
	s_wait_dscnt 0x0
	v_dual_add_f32 v9, v2, v3 :: v_dual_add_nc_u32 v2, 16, v0
	v_mov_b32_e32 v3, v1
	ds_bpermute_b32 v10, v8, v9
	v_add_nc_u64_e32 v[2:3], s[4:5], v[2:3]
	s_delay_alu instid0(VALU_DEP_1) | instskip(SKIP_1) | instid1(SALU_CYCLE_1)
	v_cmp_le_i64_e64 s1, s[6:7], v[2:3]
	s_or_b32 s1, s0, s1
	s_nor_b32 s1, s8, s1
	s_wait_dscnt 0x0
	v_add_f32_e32 v2, v9, v10
	s_and_saveexec_b32 s9, s1
	s_cbranch_execz .LBB193_93
; %bb.92:
	s_delay_alu instid0(VALU_DEP_1) | instskip(SKIP_2) | instid1(VALU_DEP_3)
	v_bfe_u32 v3, v2, 16, 1
	v_add_nc_u64_e32 v[10:11], s[4:5], v[0:1]
	v_cmp_o_f32_e64 s1, v2, v2
	v_add3_u32 v3, v2, v3, 0x7fff
	s_delay_alu instid0(VALU_DEP_3) | instskip(NEXT) | instid1(VALU_DEP_2)
	v_lshl_add_u64 v[10:11], v[10:11], 1, s[2:3]
	v_lshrrev_b32_e32 v3, 16, v3
	s_delay_alu instid0(VALU_DEP_1)
	v_cndmask_b32_e64 v3, 0x7fc0, v3, s1
	global_store_b16 v[10:11], v3, off offset:32
.LBB193_93:
	s_wait_xcnt 0x0
	s_or_b32 exec_lo, exec_lo, s9
	v_cmp_gt_u32_e64 s1, 0x400, v4
	s_and_b32 exec_lo, exec_lo, s1
	s_cbranch_execz .LBB193_103
; %bb.94:
	s_and_saveexec_b32 s1, vcc_lo
; %bb.95:
	v_dual_lshlrev_b32 v2, 2, v0 :: v_dual_lshlrev_b32 v3, 2, v5
	s_delay_alu instid0(VALU_DEP_1)
	v_add3_u32 v2, 0, v2, v3
	ds_load_b32 v2, v2 offset:128
; %bb.96:
	s_or_b32 exec_lo, exec_lo, s1
	s_wait_dscnt 0x0
	ds_bpermute_b32 v3, v6, v2
	s_wait_dscnt 0x0
	v_add_f32_e32 v2, v2, v3
	ds_bpermute_b32 v3, v7, v2
	s_wait_dscnt 0x0
	v_dual_add_f32 v9, v2, v3 :: v_dual_add_nc_u32 v2, 32, v0
	v_mov_b32_e32 v3, s5
	ds_bpermute_b32 v10, v8, v9
	v_or_b32_e32 v2, s4, v2
	s_delay_alu instid0(VALU_DEP_1) | instskip(SKIP_1) | instid1(SALU_CYCLE_1)
	v_cmp_le_i64_e64 s1, s[6:7], v[2:3]
	s_or_b32 s1, s0, s1
	s_nor_b32 s1, s8, s1
	s_wait_dscnt 0x0
	v_add_f32_e32 v2, v9, v10
	s_and_saveexec_b32 s9, s1
	s_cbranch_execz .LBB193_98
; %bb.97:
	s_delay_alu instid0(VALU_DEP_1) | instskip(SKIP_2) | instid1(VALU_DEP_3)
	v_bfe_u32 v3, v2, 16, 1
	v_add_nc_u64_e32 v[10:11], s[4:5], v[0:1]
	v_cmp_o_f32_e64 s1, v2, v2
	v_add3_u32 v3, v2, v3, 0x7fff
	s_delay_alu instid0(VALU_DEP_3) | instskip(NEXT) | instid1(VALU_DEP_2)
	v_lshl_add_u64 v[10:11], v[10:11], 1, s[2:3]
	v_lshrrev_b32_e32 v3, 16, v3
	s_delay_alu instid0(VALU_DEP_1)
	v_cndmask_b32_e64 v3, 0x7fc0, v3, s1
	global_store_b16 v[10:11], v3, off offset:64
.LBB193_98:
	s_wait_xcnt 0x0
	s_or_b32 exec_lo, exec_lo, s9
	v_cmp_gt_u32_e64 s1, 0x200, v4
	s_and_b32 exec_lo, exec_lo, s1
	s_cbranch_execz .LBB193_103
; %bb.99:
	s_and_saveexec_b32 s1, vcc_lo
; %bb.100:
	v_dual_lshlrev_b32 v2, 2, v0 :: v_dual_lshlrev_b32 v3, 2, v5
	s_delay_alu instid0(VALU_DEP_1)
	v_add3_u32 v2, 0, v2, v3
	ds_load_b32 v2, v2 offset:192
; %bb.101:
	s_or_b32 exec_lo, exec_lo, s1
	s_wait_dscnt 0x0
	ds_bpermute_b32 v3, v6, v2
	v_dual_mov_b32 v5, s5 :: v_dual_add_nc_u32 v4, 48, v0
	s_delay_alu instid0(VALU_DEP_1) | instskip(NEXT) | instid1(VALU_DEP_1)
	v_or_b32_e32 v4, s4, v4
	v_cmp_le_i64_e32 vcc_lo, s[6:7], v[4:5]
	s_or_b32 s0, s0, vcc_lo
	s_wait_dscnt 0x0
	v_add_f32_e32 v2, v2, v3
	s_nor_b32 s0, s8, s0
	ds_bpermute_b32 v3, v7, v2
	s_wait_dscnt 0x0
	v_add_f32_e32 v2, v2, v3
	ds_bpermute_b32 v3, v8, v2
	s_and_saveexec_b32 s1, s0
	s_delay_alu instid0(SALU_CYCLE_1)
	s_xor_b32 s1, exec_lo, s1
	s_cbranch_execz .LBB193_103
; %bb.102:
	s_wait_dscnt 0x0
	v_add_f32_e32 v2, v2, v3
	v_add_nc_u64_e32 v[0:1], s[4:5], v[0:1]
	s_delay_alu instid0(VALU_DEP_2) | instskip(NEXT) | instid1(VALU_DEP_2)
	v_bfe_u32 v3, v2, 16, 1
	v_lshl_add_u64 v[0:1], v[0:1], 1, s[2:3]
	s_delay_alu instid0(VALU_DEP_2) | instskip(NEXT) | instid1(VALU_DEP_1)
	v_add3_u32 v3, v2, v3, 0x7fff
	v_lshrrev_b32_e32 v3, 16, v3
	v_cmp_o_f32_e32 vcc_lo, v2, v2
	s_delay_alu instid0(VALU_DEP_2)
	v_cndmask_b32_e32 v2, 0x7fc0, v3, vcc_lo
	global_store_b16 v[0:1], v2, off offset:96
.LBB193_103:
	s_sendmsg sendmsg(MSG_DEALLOC_VGPRS)
	s_endpgm
	.section	.rodata,"a",@progbits
	.p2align	6, 0x0
	.amdhsa_kernel _ZN2at6native12_GLOBAL__N_135GammaBetaBackwardCUDAKernelTemplateIN3c108BFloat16EfLj64ELj8ELj64ELb0ELb0ELb1EEEvllPKT_S7_PKT0_SA_PS5_SB_
		.amdhsa_group_segment_fixed_size 0
		.amdhsa_private_segment_fixed_size 0
		.amdhsa_kernarg_size 320
		.amdhsa_user_sgpr_count 2
		.amdhsa_user_sgpr_dispatch_ptr 0
		.amdhsa_user_sgpr_queue_ptr 0
		.amdhsa_user_sgpr_kernarg_segment_ptr 1
		.amdhsa_user_sgpr_dispatch_id 0
		.amdhsa_user_sgpr_kernarg_preload_length 0
		.amdhsa_user_sgpr_kernarg_preload_offset 0
		.amdhsa_user_sgpr_private_segment_size 0
		.amdhsa_wavefront_size32 1
		.amdhsa_uses_dynamic_stack 0
		.amdhsa_enable_private_segment 0
		.amdhsa_system_sgpr_workgroup_id_x 1
		.amdhsa_system_sgpr_workgroup_id_y 1
		.amdhsa_system_sgpr_workgroup_id_z 0
		.amdhsa_system_sgpr_workgroup_info 0
		.amdhsa_system_vgpr_workitem_id 1
		.amdhsa_next_free_vgpr 98
		.amdhsa_next_free_sgpr 50
		.amdhsa_named_barrier_count 0
		.amdhsa_reserve_vcc 1
		.amdhsa_float_round_mode_32 0
		.amdhsa_float_round_mode_16_64 0
		.amdhsa_float_denorm_mode_32 3
		.amdhsa_float_denorm_mode_16_64 3
		.amdhsa_fp16_overflow 0
		.amdhsa_memory_ordered 1
		.amdhsa_forward_progress 1
		.amdhsa_inst_pref_size 53
		.amdhsa_round_robin_scheduling 0
		.amdhsa_exception_fp_ieee_invalid_op 0
		.amdhsa_exception_fp_denorm_src 0
		.amdhsa_exception_fp_ieee_div_zero 0
		.amdhsa_exception_fp_ieee_overflow 0
		.amdhsa_exception_fp_ieee_underflow 0
		.amdhsa_exception_fp_ieee_inexact 0
		.amdhsa_exception_int_div_zero 0
	.end_amdhsa_kernel
	.section	.text._ZN2at6native12_GLOBAL__N_135GammaBetaBackwardCUDAKernelTemplateIN3c108BFloat16EfLj64ELj8ELj64ELb0ELb0ELb1EEEvllPKT_S7_PKT0_SA_PS5_SB_,"axG",@progbits,_ZN2at6native12_GLOBAL__N_135GammaBetaBackwardCUDAKernelTemplateIN3c108BFloat16EfLj64ELj8ELj64ELb0ELb0ELb1EEEvllPKT_S7_PKT0_SA_PS5_SB_,comdat
.Lfunc_end193:
	.size	_ZN2at6native12_GLOBAL__N_135GammaBetaBackwardCUDAKernelTemplateIN3c108BFloat16EfLj64ELj8ELj64ELb0ELb0ELb1EEEvllPKT_S7_PKT0_SA_PS5_SB_, .Lfunc_end193-_ZN2at6native12_GLOBAL__N_135GammaBetaBackwardCUDAKernelTemplateIN3c108BFloat16EfLj64ELj8ELj64ELb0ELb0ELb1EEEvllPKT_S7_PKT0_SA_PS5_SB_
                                        ; -- End function
	.set _ZN2at6native12_GLOBAL__N_135GammaBetaBackwardCUDAKernelTemplateIN3c108BFloat16EfLj64ELj8ELj64ELb0ELb0ELb1EEEvllPKT_S7_PKT0_SA_PS5_SB_.num_vgpr, 98
	.set _ZN2at6native12_GLOBAL__N_135GammaBetaBackwardCUDAKernelTemplateIN3c108BFloat16EfLj64ELj8ELj64ELb0ELb0ELb1EEEvllPKT_S7_PKT0_SA_PS5_SB_.num_agpr, 0
	.set _ZN2at6native12_GLOBAL__N_135GammaBetaBackwardCUDAKernelTemplateIN3c108BFloat16EfLj64ELj8ELj64ELb0ELb0ELb1EEEvllPKT_S7_PKT0_SA_PS5_SB_.numbered_sgpr, 50
	.set _ZN2at6native12_GLOBAL__N_135GammaBetaBackwardCUDAKernelTemplateIN3c108BFloat16EfLj64ELj8ELj64ELb0ELb0ELb1EEEvllPKT_S7_PKT0_SA_PS5_SB_.num_named_barrier, 0
	.set _ZN2at6native12_GLOBAL__N_135GammaBetaBackwardCUDAKernelTemplateIN3c108BFloat16EfLj64ELj8ELj64ELb0ELb0ELb1EEEvllPKT_S7_PKT0_SA_PS5_SB_.private_seg_size, 0
	.set _ZN2at6native12_GLOBAL__N_135GammaBetaBackwardCUDAKernelTemplateIN3c108BFloat16EfLj64ELj8ELj64ELb0ELb0ELb1EEEvllPKT_S7_PKT0_SA_PS5_SB_.uses_vcc, 1
	.set _ZN2at6native12_GLOBAL__N_135GammaBetaBackwardCUDAKernelTemplateIN3c108BFloat16EfLj64ELj8ELj64ELb0ELb0ELb1EEEvllPKT_S7_PKT0_SA_PS5_SB_.uses_flat_scratch, 0
	.set _ZN2at6native12_GLOBAL__N_135GammaBetaBackwardCUDAKernelTemplateIN3c108BFloat16EfLj64ELj8ELj64ELb0ELb0ELb1EEEvllPKT_S7_PKT0_SA_PS5_SB_.has_dyn_sized_stack, 0
	.set _ZN2at6native12_GLOBAL__N_135GammaBetaBackwardCUDAKernelTemplateIN3c108BFloat16EfLj64ELj8ELj64ELb0ELb0ELb1EEEvllPKT_S7_PKT0_SA_PS5_SB_.has_recursion, 0
	.set _ZN2at6native12_GLOBAL__N_135GammaBetaBackwardCUDAKernelTemplateIN3c108BFloat16EfLj64ELj8ELj64ELb0ELb0ELb1EEEvllPKT_S7_PKT0_SA_PS5_SB_.has_indirect_call, 0
	.section	.AMDGPU.csdata,"",@progbits
; Kernel info:
; codeLenInByte = 6692
; TotalNumSgprs: 52
; NumVgprs: 98
; ScratchSize: 0
; MemoryBound: 0
; FloatMode: 240
; IeeeMode: 1
; LDSByteSize: 0 bytes/workgroup (compile time only)
; SGPRBlocks: 0
; VGPRBlocks: 6
; NumSGPRsForWavesPerEU: 52
; NumVGPRsForWavesPerEU: 98
; NamedBarCnt: 0
; Occupancy: 9
; WaveLimiterHint : 0
; COMPUTE_PGM_RSRC2:SCRATCH_EN: 0
; COMPUTE_PGM_RSRC2:USER_SGPR: 2
; COMPUTE_PGM_RSRC2:TRAP_HANDLER: 0
; COMPUTE_PGM_RSRC2:TGID_X_EN: 1
; COMPUTE_PGM_RSRC2:TGID_Y_EN: 1
; COMPUTE_PGM_RSRC2:TGID_Z_EN: 0
; COMPUTE_PGM_RSRC2:TIDIG_COMP_CNT: 1
	.section	.text._ZN2at6native12_GLOBAL__N_135GammaBetaBackwardCUDAKernelTemplateIN3c108BFloat16EfLj64ELj16ELj128ELb0ELb1ELb1EEEvllPKT_S7_PKT0_SA_PS5_SB_,"axG",@progbits,_ZN2at6native12_GLOBAL__N_135GammaBetaBackwardCUDAKernelTemplateIN3c108BFloat16EfLj64ELj16ELj128ELb0ELb1ELb1EEEvllPKT_S7_PKT0_SA_PS5_SB_,comdat
	.globl	_ZN2at6native12_GLOBAL__N_135GammaBetaBackwardCUDAKernelTemplateIN3c108BFloat16EfLj64ELj16ELj128ELb0ELb1ELb1EEEvllPKT_S7_PKT0_SA_PS5_SB_ ; -- Begin function _ZN2at6native12_GLOBAL__N_135GammaBetaBackwardCUDAKernelTemplateIN3c108BFloat16EfLj64ELj16ELj128ELb0ELb1ELb1EEEvllPKT_S7_PKT0_SA_PS5_SB_
	.p2align	8
	.type	_ZN2at6native12_GLOBAL__N_135GammaBetaBackwardCUDAKernelTemplateIN3c108BFloat16EfLj64ELj16ELj128ELb0ELb1ELb1EEEvllPKT_S7_PKT0_SA_PS5_SB_,@function
_ZN2at6native12_GLOBAL__N_135GammaBetaBackwardCUDAKernelTemplateIN3c108BFloat16EfLj64ELj16ELj128ELb0ELb1ELb1EEEvllPKT_S7_PKT0_SA_PS5_SB_: ; @_ZN2at6native12_GLOBAL__N_135GammaBetaBackwardCUDAKernelTemplateIN3c108BFloat16EfLj64ELj16ELj128ELb0ELb1ELb1EEEvllPKT_S7_PKT0_SA_PS5_SB_
; %bb.0:
	s_load_b128 s[4:7], s[0:1], 0x0
	s_bfe_u32 s2, ttmp6, 0x40010
	s_bfe_u32 s3, ttmp6, 0x40004
	s_add_co_i32 s2, s2, 1
	s_getreg_b32 s20, hwreg(HW_REG_IB_STS2, 6, 4)
	s_mul_i32 s2, ttmp7, s2
	s_mov_b32 s13, 0
	s_add_co_i32 s3, s3, s2
	s_cmp_eq_u32 s20, 0
	v_bfe_u32 v9, v0, 10, 10
	s_cselect_b32 s2, ttmp7, s3
	s_delay_alu instid0(SALU_CYCLE_1)
	s_lshl_b32 s12, s2, 7
	s_wait_kmcnt 0x0
	v_cmp_gt_i64_e64 s2, s[4:5], s[12:13]
	s_and_b32 vcc_lo, exec_lo, s2
	s_cbranch_vccnz .LBB194_2
; %bb.1:
	v_bfe_u32 v1, v0, 10, 10
	s_mov_b32 s2, s13
	v_and_b32_e32 v8, 0x3ff, v0
	v_mov_b32_e32 v16, 0
	s_and_not1_b32 vcc_lo, exec_lo, s2
	s_cbranch_vccz .LBB194_3
	s_branch .LBB194_10
.LBB194_2:
                                        ; implicit-def: $vgpr1
	v_and_b32_e32 v8, 0x3ff, v0
	v_mov_b32_e32 v16, 0
.LBB194_3:
	v_dual_mov_b32 v1, 0 :: v_dual_lshlrev_b32 v0, 3, v9
	s_load_b32 s2, s[0:1], 0x4c
	s_bfe_u32 s14, ttmp6, 0x4000c
	s_clause 0x2
	s_load_b32 s3, s[0:1], 0x44
	s_load_b128 s[8:11], s[0:1], 0x10
	s_load_b64 s[16:17], s[0:1], 0x28
	s_add_co_i32 s14, s14, 1
	v_add_nc_u64_e32 v[2:3], s[12:13], v[0:1]
	s_and_b32 s18, ttmp6, 15
	s_mul_i32 s14, ttmp9, s14
	v_dual_mov_b32 v5, v1 :: v_dual_mov_b32 v15, v1
	s_add_co_i32 s18, s18, s14
	s_mov_b32 s15, 0
	s_delay_alu instid0(VALU_DEP_2)
	v_mul_u64_e32 v[6:7], s[6:7], v[2:3]
	v_dual_mov_b32 v0, 8 :: v_dual_mov_b32 v10, 4
	v_dual_mov_b32 v12, 16 :: v_dual_mov_b32 v13, 20
	v_mov_b32_e32 v11, 12
	s_wait_kmcnt 0x0
	s_and_b32 s2, s2, 0xffff
	s_cmp_eq_u32 s20, 0
	v_mad_u32_u24 v4, v9, s2, v8
	s_cselect_b32 s2, ttmp9, s18
	s_lshl_b32 s14, s3, 7
	v_lshl_add_u32 v14, s2, 6, v8
	s_mul_u64 s[18:19], s[6:7], s[14:15]
	v_and_b32_e32 v4, 31, v4
	s_lshl_b64 s[18:19], s[18:19], 1
	s_lshl_b64 s[6:7], s[6:7], 1
	v_lshlrev_b64_e32 v[16:17], 1, v[14:15]
	v_dual_mov_b32 v14, 24 :: v_dual_mov_b32 v15, 28
	v_add_nc_u64_e32 v[2:3], v[2:3], v[4:5]
	v_cmp_gt_u32_e64 s2, 8, v4
	s_delay_alu instid0(VALU_DEP_2)
	v_lshl_add_u64 v[4:5], v[2:3], 2, s[16:17]
	s_lshl_b64 s[16:17], s[14:15], 2
	v_lshl_add_u64 v[6:7], v[6:7], 1, v[16:17]
	v_mov_b32_e32 v16, 0
	s_branch .LBB194_6
.LBB194_4:                              ;   in Loop: Header=BB194_6 Depth=1
	s_wait_xcnt 0x0
	s_or_b32 exec_lo, exec_lo, s21
.LBB194_5:                              ;   in Loop: Header=BB194_6 Depth=1
	s_delay_alu instid0(SALU_CYCLE_1)
	s_or_b32 exec_lo, exec_lo, s3
	v_add_nc_u64_e32 v[18:19], s[8:9], v[6:7]
	v_add_nc_u64_e32 v[20:21], s[10:11], v[6:7]
	s_add_nc_u64 s[12:13], s[12:13], s[14:15]
	v_add_nc_u64_e32 v[4:5], s[16:17], v[4:5]
	v_cmp_lt_i64_e64 s3, s[12:13], s[4:5]
	v_add_nc_u64_e32 v[2:3], s[14:15], v[2:3]
	v_add_nc_u64_e32 v[6:7], s[18:19], v[6:7]
	;; [unrolled: 1-line block ×4, first 2 shown]
	global_load_u16 v30, v[18:19], off
	global_load_u16 v31, v[20:21], off
	;; [unrolled: 1-line block ×4, first 2 shown]
	s_and_b32 vcc_lo, exec_lo, s3
	v_add_nc_u64_e32 v[26:27], s[6:7], v[22:23]
	v_add_nc_u64_e32 v[28:29], s[6:7], v[24:25]
	global_load_u16 v34, v[26:27], off
	global_load_u16 v35, v[28:29], off
	s_wait_xcnt 0x5
	v_add_nc_u64_e32 v[18:19], s[6:7], v[26:27]
	s_wait_xcnt 0x4
	v_add_nc_u64_e32 v[20:21], s[6:7], v[28:29]
	global_load_u16 v27, v[18:19], off
	global_load_u16 v28, v[20:21], off
	v_add_nc_u64_e32 v[22:23], s[6:7], v[18:19]
	v_add_nc_u64_e32 v[24:25], s[6:7], v[20:21]
	global_load_u16 v29, v[22:23], off
	global_load_u16 v36, v[24:25], off
	s_wait_xcnt 0x3
	v_add_nc_u64_e32 v[18:19], s[6:7], v[22:23]
	s_wait_xcnt 0x2
	v_add_nc_u64_e32 v[20:21], s[6:7], v[24:25]
	global_load_u16 v37, v[18:19], off
	global_load_u16 v38, v[20:21], off
	s_wait_xcnt 0x3
	v_add_nc_u64_e32 v[22:23], s[6:7], v[18:19]
	s_wait_xcnt 0x2
	v_add_nc_u64_e32 v[24:25], s[6:7], v[20:21]
	s_wait_xcnt 0x1
	s_delay_alu instid0(VALU_DEP_2) | instskip(SKIP_1) | instid1(VALU_DEP_2)
	v_add_nc_u64_e32 v[18:19], s[6:7], v[22:23]
	s_wait_xcnt 0x0
	v_add_nc_u64_e32 v[20:21], s[6:7], v[24:25]
	global_load_u16 v39, v[22:23], off
	global_load_u16 v40, v[24:25], off
	;; [unrolled: 1-line block ×4, first 2 shown]
	s_wait_loadcnt 0x10
	s_wait_xcnt 0x1
	ds_bpermute_b32 v18, v1, v17
	ds_bpermute_b32 v19, v10, v17
	;; [unrolled: 1-line block ×4, first 2 shown]
	s_wait_loadcnt 0xe
	s_wait_xcnt 0x0
	v_dual_lshlrev_b32 v20, 16, v30 :: v_dual_lshlrev_b32 v22, 16, v31
	s_wait_loadcnt 0xc
	v_dual_lshlrev_b32 v21, 16, v32 :: v_dual_lshlrev_b32 v23, 16, v33
	s_delay_alu instid0(VALU_DEP_1) | instskip(SKIP_3) | instid1(VALU_DEP_2)
	v_pk_mul_f32 v[20:21], v[20:21], v[22:23]
	s_wait_loadcnt 0xa
	v_dual_lshlrev_b32 v22, 16, v34 :: v_dual_lshlrev_b32 v26, 16, v35
	s_wait_dscnt 0x2
	v_pk_mul_f32 v[18:19], v[20:21], v[18:19]
	ds_bpermute_b32 v20, v12, v17
	ds_bpermute_b32 v21, v13, v17
	s_wait_loadcnt 0x9
	v_dual_add_f32 v18, v16, v18 :: v_dual_lshlrev_b32 v23, 16, v27
	s_wait_loadcnt 0x8
	v_lshlrev_b32_e32 v27, 16, v28
	ds_bpermute_b32 v16, v14, v17
	ds_bpermute_b32 v17, v15, v17
	v_pk_mul_f32 v[22:23], v[22:23], v[26:27]
	s_wait_dscnt 0x4
	s_delay_alu instid0(VALU_DEP_1)
	v_pk_mul_f32 v[22:23], v[22:23], v[24:25]
	s_wait_loadcnt 0x6
	v_dual_lshlrev_b32 v24, 16, v36 :: v_dual_add_f32 v26, v18, v19
	v_lshlrev_b32_e32 v18, 16, v29
	s_wait_loadcnt 0x4
	v_dual_lshlrev_b32 v19, 16, v37 :: v_dual_lshlrev_b32 v25, 16, v38
	s_delay_alu instid0(VALU_DEP_3) | instskip(NEXT) | instid1(VALU_DEP_2)
	v_add_f32_e32 v22, v26, v22
	v_pk_mul_f32 v[18:19], v[18:19], v[24:25]
	s_wait_dscnt 0x2
	s_delay_alu instid0(VALU_DEP_1)
	v_pk_mul_f32 v[18:19], v[18:19], v[20:21]
	s_wait_loadcnt 0x2
	v_dual_lshlrev_b32 v24, 16, v40 :: v_dual_add_f32 v26, v22, v23
	s_wait_loadcnt 0x1
	v_dual_lshlrev_b32 v23, 16, v41 :: v_dual_lshlrev_b32 v22, 16, v39
	s_wait_loadcnt 0x0
	v_lshlrev_b32_e32 v25, 16, v42
	s_delay_alu instid0(VALU_DEP_1) | instskip(SKIP_1) | instid1(VALU_DEP_1)
	v_pk_mul_f32 v[20:21], v[22:23], v[24:25]
	s_wait_dscnt 0x0
	v_pk_mul_f32 v[16:17], v[20:21], v[16:17]
	v_add_f32_e32 v18, v26, v18
	s_delay_alu instid0(VALU_DEP_1) | instskip(NEXT) | instid1(VALU_DEP_1)
	v_add_f32_e32 v18, v18, v19
	v_add_f32_e32 v16, v18, v16
	s_delay_alu instid0(VALU_DEP_1)
	v_add_f32_e32 v16, v16, v17
	s_cbranch_vccz .LBB194_9
.LBB194_6:                              ; =>This Inner Loop Header: Depth=1
	v_mov_b32_e32 v17, 0
	s_and_saveexec_b32 s3, s2
	s_cbranch_execz .LBB194_5
; %bb.7:                                ;   in Loop: Header=BB194_6 Depth=1
	v_mov_b32_e32 v17, 0
	s_mov_b32 s21, exec_lo
	v_cmpx_gt_i64_e64 s[4:5], v[2:3]
	s_cbranch_execz .LBB194_4
; %bb.8:                                ;   in Loop: Header=BB194_6 Depth=1
	global_load_b32 v17, v[4:5], off
	s_branch .LBB194_4
.LBB194_9:
	v_mov_b32_e32 v1, v9
.LBB194_10:
	s_load_b64 s[2:3], s[0:1], 0x30
	s_delay_alu instid0(VALU_DEP_1) | instskip(SKIP_3) | instid1(VALU_DEP_2)
	v_mad_u32_u24 v0, 0x41, v1, v8
	v_mov_b32_e32 v3, 0
	s_wait_xcnt 0x0
	s_mov_b32 s0, exec_lo
	v_lshl_add_u32 v2, v0, 2, 0
	v_sub_nc_u32_e32 v1, v0, v1
	ds_store_b32 v2, v16
	ds_store_b32 v2, v3 offset:4160
	s_wait_dscnt 0x0
	s_barrier_signal -1
	s_barrier_wait -1
	v_cmpx_gt_u32_e32 0x800, v1
	s_cbranch_execz .LBB194_20
; %bb.11:
	v_dual_lshrrev_b32 v0, 5, v1 :: v_dual_bitop2_b32 v2, 31, v8 bitop3:0x40
                                        ; implicit-def: $vgpr5
	s_delay_alu instid0(VALU_DEP_1)
	v_cmp_gt_u32_e32 vcc_lo, 16, v2
	v_mul_u32_u24_e32 v2, 0x41, v2
	s_and_saveexec_b32 s0, vcc_lo
; %bb.12:
	s_delay_alu instid0(VALU_DEP_1) | instskip(NEXT) | instid1(VALU_DEP_1)
	v_dual_lshlrev_b32 v3, 2, v0 :: v_dual_lshlrev_b32 v4, 2, v2
	v_add3_u32 v3, 0, v3, v4
	ds_load_b32 v5, v3
; %bb.13:
	s_or_b32 exec_lo, exec_lo, s0
	v_mbcnt_lo_u32_b32 v6, -1, 0
	s_wait_kmcnt 0x0
	s_cmp_lg_u64 s[2:3], 0
	s_cselect_b32 s1, -1, 0
	s_bfe_u32 s4, ttmp6, 0x4000c
	v_xor_b32_e32 v4, 4, v6
	v_xor_b32_e32 v3, 8, v6
	s_add_co_i32 s4, s4, 1
	s_and_b32 s5, ttmp6, 15
	s_mul_i32 s4, ttmp9, s4
	v_xor_b32_e32 v10, 1, v6
	v_cmp_gt_i32_e64 s0, 32, v3
	s_delay_alu instid0(VALU_DEP_1) | instskip(SKIP_1) | instid1(VALU_DEP_1)
	v_cndmask_b32_e64 v3, v6, v3, s0
	v_cmp_gt_i32_e64 s0, 32, v4
	v_cndmask_b32_e64 v4, v6, v4, s0
	s_delay_alu instid0(VALU_DEP_1)
	v_dual_lshlrev_b32 v4, 2, v4 :: v_dual_lshlrev_b32 v3, 2, v3
	s_wait_dscnt 0x0
	ds_bpermute_b32 v7, v3, v5
	s_wait_dscnt 0x0
	v_dual_add_f32 v7, v5, v7 :: v_dual_bitop2_b32 v5, 2, v6 bitop3:0x14
	ds_bpermute_b32 v9, v4, v7
	v_cmp_gt_i32_e64 s0, 32, v5
	s_delay_alu instid0(VALU_DEP_1) | instskip(SKIP_1) | instid1(VALU_DEP_1)
	v_cndmask_b32_e64 v5, v6, v5, s0
	v_cmp_gt_i32_e64 s0, 32, v10
	v_dual_lshlrev_b32 v5, 2, v5 :: v_dual_cndmask_b32 v6, v6, v10, s0
	v_cmp_eq_u32_e64 s0, 0, v8
	s_delay_alu instid0(VALU_DEP_2)
	v_lshlrev_b32_e32 v6, 2, v6
	s_and_b32 s1, s0, s1
	s_add_co_i32 s0, s5, s4
	s_wait_dscnt 0x0
	v_add_f32_e32 v7, v7, v9
	s_cmp_eq_u32 s20, 0
	s_mov_b32 s5, 0
	s_cselect_b32 s4, ttmp9, s0
	ds_bpermute_b32 v9, v5, v7
	s_lshl_b64 s[4:5], s[4:5], 7
	s_delay_alu instid0(SALU_CYCLE_1)
	s_add_nc_u64 s[2:3], s[2:3], s[4:5]
	s_wait_dscnt 0x0
	v_add_f32_e32 v7, v7, v9
	ds_bpermute_b32 v9, v6, v7
	s_wait_dscnt 0x0
	v_add_f32_e32 v7, v7, v9
	s_and_saveexec_b32 s4, s1
	s_cbranch_execz .LBB194_15
; %bb.14:
	s_delay_alu instid0(VALU_DEP_1) | instskip(SKIP_1) | instid1(VALU_DEP_2)
	v_bfe_u32 v8, v7, 16, 1
	v_cmp_o_f32_e64 s0, v7, v7
	v_add3_u32 v8, v7, v8, 0x7fff
	s_delay_alu instid0(VALU_DEP_1) | instskip(NEXT) | instid1(VALU_DEP_1)
	v_lshrrev_b32_e32 v8, 16, v8
	v_cndmask_b32_e64 v8, 0x7fc0, v8, s0
	global_store_b16 v0, v8, s[2:3] scale_offset
.LBB194_15:
	s_wait_xcnt 0x0
	s_or_b32 exec_lo, exec_lo, s4
	v_cmp_gt_u32_e64 s0, 0x400, v1
	s_and_b32 exec_lo, exec_lo, s0
	s_cbranch_execz .LBB194_20
; %bb.16:
	s_and_saveexec_b32 s0, vcc_lo
; %bb.17:
	v_dual_lshlrev_b32 v1, 2, v0 :: v_dual_lshlrev_b32 v2, 2, v2
	s_delay_alu instid0(VALU_DEP_1)
	v_add3_u32 v1, 0, v1, v2
	ds_load_b32 v7, v1 offset:128
; %bb.18:
	s_or_b32 exec_lo, exec_lo, s0
	s_wait_dscnt 0x0
	ds_bpermute_b32 v1, v3, v7
	s_wait_dscnt 0x0
	v_add_f32_e32 v1, v7, v1
	ds_bpermute_b32 v2, v4, v1
	s_wait_dscnt 0x0
	v_add_f32_e32 v1, v1, v2
	;; [unrolled: 3-line block ×3, first 2 shown]
	ds_bpermute_b32 v2, v6, v1
	s_and_saveexec_b32 s0, s1
	s_delay_alu instid0(SALU_CYCLE_1)
	s_xor_b32 s0, exec_lo, s0
	s_cbranch_execz .LBB194_20
; %bb.19:
	s_wait_dscnt 0x0
	v_add_f32_e32 v1, v1, v2
	s_delay_alu instid0(VALU_DEP_1) | instskip(NEXT) | instid1(VALU_DEP_1)
	v_bfe_u32 v2, v1, 16, 1
	v_add3_u32 v2, v1, v2, 0x7fff
	s_delay_alu instid0(VALU_DEP_1) | instskip(SKIP_1) | instid1(VALU_DEP_2)
	v_lshrrev_b32_e32 v2, 16, v2
	v_cmp_o_f32_e32 vcc_lo, v1, v1
	v_cndmask_b32_e32 v1, 0x7fc0, v2, vcc_lo
	global_store_b16 v0, v1, s[2:3] offset:64 scale_offset
.LBB194_20:
	s_endpgm
	.section	.rodata,"a",@progbits
	.p2align	6, 0x0
	.amdhsa_kernel _ZN2at6native12_GLOBAL__N_135GammaBetaBackwardCUDAKernelTemplateIN3c108BFloat16EfLj64ELj16ELj128ELb0ELb1ELb1EEEvllPKT_S7_PKT0_SA_PS5_SB_
		.amdhsa_group_segment_fixed_size 0
		.amdhsa_private_segment_fixed_size 0
		.amdhsa_kernarg_size 320
		.amdhsa_user_sgpr_count 2
		.amdhsa_user_sgpr_dispatch_ptr 0
		.amdhsa_user_sgpr_queue_ptr 0
		.amdhsa_user_sgpr_kernarg_segment_ptr 1
		.amdhsa_user_sgpr_dispatch_id 0
		.amdhsa_user_sgpr_kernarg_preload_length 0
		.amdhsa_user_sgpr_kernarg_preload_offset 0
		.amdhsa_user_sgpr_private_segment_size 0
		.amdhsa_wavefront_size32 1
		.amdhsa_uses_dynamic_stack 0
		.amdhsa_enable_private_segment 0
		.amdhsa_system_sgpr_workgroup_id_x 1
		.amdhsa_system_sgpr_workgroup_id_y 1
		.amdhsa_system_sgpr_workgroup_id_z 0
		.amdhsa_system_sgpr_workgroup_info 0
		.amdhsa_system_vgpr_workitem_id 1
		.amdhsa_next_free_vgpr 43
		.amdhsa_next_free_sgpr 22
		.amdhsa_named_barrier_count 0
		.amdhsa_reserve_vcc 1
		.amdhsa_float_round_mode_32 0
		.amdhsa_float_round_mode_16_64 0
		.amdhsa_float_denorm_mode_32 3
		.amdhsa_float_denorm_mode_16_64 3
		.amdhsa_fp16_overflow 0
		.amdhsa_memory_ordered 1
		.amdhsa_forward_progress 1
		.amdhsa_inst_pref_size 15
		.amdhsa_round_robin_scheduling 0
		.amdhsa_exception_fp_ieee_invalid_op 0
		.amdhsa_exception_fp_denorm_src 0
		.amdhsa_exception_fp_ieee_div_zero 0
		.amdhsa_exception_fp_ieee_overflow 0
		.amdhsa_exception_fp_ieee_underflow 0
		.amdhsa_exception_fp_ieee_inexact 0
		.amdhsa_exception_int_div_zero 0
	.end_amdhsa_kernel
	.section	.text._ZN2at6native12_GLOBAL__N_135GammaBetaBackwardCUDAKernelTemplateIN3c108BFloat16EfLj64ELj16ELj128ELb0ELb1ELb1EEEvllPKT_S7_PKT0_SA_PS5_SB_,"axG",@progbits,_ZN2at6native12_GLOBAL__N_135GammaBetaBackwardCUDAKernelTemplateIN3c108BFloat16EfLj64ELj16ELj128ELb0ELb1ELb1EEEvllPKT_S7_PKT0_SA_PS5_SB_,comdat
.Lfunc_end194:
	.size	_ZN2at6native12_GLOBAL__N_135GammaBetaBackwardCUDAKernelTemplateIN3c108BFloat16EfLj64ELj16ELj128ELb0ELb1ELb1EEEvllPKT_S7_PKT0_SA_PS5_SB_, .Lfunc_end194-_ZN2at6native12_GLOBAL__N_135GammaBetaBackwardCUDAKernelTemplateIN3c108BFloat16EfLj64ELj16ELj128ELb0ELb1ELb1EEEvllPKT_S7_PKT0_SA_PS5_SB_
                                        ; -- End function
	.set _ZN2at6native12_GLOBAL__N_135GammaBetaBackwardCUDAKernelTemplateIN3c108BFloat16EfLj64ELj16ELj128ELb0ELb1ELb1EEEvllPKT_S7_PKT0_SA_PS5_SB_.num_vgpr, 43
	.set _ZN2at6native12_GLOBAL__N_135GammaBetaBackwardCUDAKernelTemplateIN3c108BFloat16EfLj64ELj16ELj128ELb0ELb1ELb1EEEvllPKT_S7_PKT0_SA_PS5_SB_.num_agpr, 0
	.set _ZN2at6native12_GLOBAL__N_135GammaBetaBackwardCUDAKernelTemplateIN3c108BFloat16EfLj64ELj16ELj128ELb0ELb1ELb1EEEvllPKT_S7_PKT0_SA_PS5_SB_.numbered_sgpr, 22
	.set _ZN2at6native12_GLOBAL__N_135GammaBetaBackwardCUDAKernelTemplateIN3c108BFloat16EfLj64ELj16ELj128ELb0ELb1ELb1EEEvllPKT_S7_PKT0_SA_PS5_SB_.num_named_barrier, 0
	.set _ZN2at6native12_GLOBAL__N_135GammaBetaBackwardCUDAKernelTemplateIN3c108BFloat16EfLj64ELj16ELj128ELb0ELb1ELb1EEEvllPKT_S7_PKT0_SA_PS5_SB_.private_seg_size, 0
	.set _ZN2at6native12_GLOBAL__N_135GammaBetaBackwardCUDAKernelTemplateIN3c108BFloat16EfLj64ELj16ELj128ELb0ELb1ELb1EEEvllPKT_S7_PKT0_SA_PS5_SB_.uses_vcc, 1
	.set _ZN2at6native12_GLOBAL__N_135GammaBetaBackwardCUDAKernelTemplateIN3c108BFloat16EfLj64ELj16ELj128ELb0ELb1ELb1EEEvllPKT_S7_PKT0_SA_PS5_SB_.uses_flat_scratch, 0
	.set _ZN2at6native12_GLOBAL__N_135GammaBetaBackwardCUDAKernelTemplateIN3c108BFloat16EfLj64ELj16ELj128ELb0ELb1ELb1EEEvllPKT_S7_PKT0_SA_PS5_SB_.has_dyn_sized_stack, 0
	.set _ZN2at6native12_GLOBAL__N_135GammaBetaBackwardCUDAKernelTemplateIN3c108BFloat16EfLj64ELj16ELj128ELb0ELb1ELb1EEEvllPKT_S7_PKT0_SA_PS5_SB_.has_recursion, 0
	.set _ZN2at6native12_GLOBAL__N_135GammaBetaBackwardCUDAKernelTemplateIN3c108BFloat16EfLj64ELj16ELj128ELb0ELb1ELb1EEEvllPKT_S7_PKT0_SA_PS5_SB_.has_indirect_call, 0
	.section	.AMDGPU.csdata,"",@progbits
; Kernel info:
; codeLenInByte = 1816
; TotalNumSgprs: 24
; NumVgprs: 43
; ScratchSize: 0
; MemoryBound: 0
; FloatMode: 240
; IeeeMode: 1
; LDSByteSize: 0 bytes/workgroup (compile time only)
; SGPRBlocks: 0
; VGPRBlocks: 2
; NumSGPRsForWavesPerEU: 24
; NumVGPRsForWavesPerEU: 43
; NamedBarCnt: 0
; Occupancy: 16
; WaveLimiterHint : 0
; COMPUTE_PGM_RSRC2:SCRATCH_EN: 0
; COMPUTE_PGM_RSRC2:USER_SGPR: 2
; COMPUTE_PGM_RSRC2:TRAP_HANDLER: 0
; COMPUTE_PGM_RSRC2:TGID_X_EN: 1
; COMPUTE_PGM_RSRC2:TGID_Y_EN: 1
; COMPUTE_PGM_RSRC2:TGID_Z_EN: 0
; COMPUTE_PGM_RSRC2:TIDIG_COMP_CNT: 1
	.section	.text._ZN2at6native12_GLOBAL__N_135GammaBetaBackwardCUDAKernelTemplateIN3c108BFloat16EfLj64ELj16ELj128ELb0ELb0ELb1EEEvllPKT_S7_PKT0_SA_PS5_SB_,"axG",@progbits,_ZN2at6native12_GLOBAL__N_135GammaBetaBackwardCUDAKernelTemplateIN3c108BFloat16EfLj64ELj16ELj128ELb0ELb0ELb1EEEvllPKT_S7_PKT0_SA_PS5_SB_,comdat
	.globl	_ZN2at6native12_GLOBAL__N_135GammaBetaBackwardCUDAKernelTemplateIN3c108BFloat16EfLj64ELj16ELj128ELb0ELb0ELb1EEEvllPKT_S7_PKT0_SA_PS5_SB_ ; -- Begin function _ZN2at6native12_GLOBAL__N_135GammaBetaBackwardCUDAKernelTemplateIN3c108BFloat16EfLj64ELj16ELj128ELb0ELb0ELb1EEEvllPKT_S7_PKT0_SA_PS5_SB_
	.p2align	8
	.type	_ZN2at6native12_GLOBAL__N_135GammaBetaBackwardCUDAKernelTemplateIN3c108BFloat16EfLj64ELj16ELj128ELb0ELb0ELb1EEEvllPKT_S7_PKT0_SA_PS5_SB_,@function
_ZN2at6native12_GLOBAL__N_135GammaBetaBackwardCUDAKernelTemplateIN3c108BFloat16EfLj64ELj16ELj128ELb0ELb0ELb1EEEvllPKT_S7_PKT0_SA_PS5_SB_: ; @_ZN2at6native12_GLOBAL__N_135GammaBetaBackwardCUDAKernelTemplateIN3c108BFloat16EfLj64ELj16ELj128ELb0ELb0ELb1EEEvllPKT_S7_PKT0_SA_PS5_SB_
; %bb.0:
	s_load_b256 s[4:11], s[0:1], 0x0
	s_bfe_u32 s3, ttmp6, 0x4000c
	s_bfe_u32 s12, ttmp6, 0x40010
	s_add_co_i32 s3, s3, 1
	s_add_co_i32 s12, s12, 1
	s_and_b32 s2, ttmp6, 15
	s_bfe_u32 s13, ttmp6, 0x40004
	s_mul_i32 s3, ttmp9, s3
	s_mul_i32 s12, ttmp7, s12
	s_getreg_b32 s14, hwreg(HW_REG_IB_STS2, 6, 4)
	s_add_co_i32 s2, s2, s3
	s_add_co_i32 s13, s13, s12
	s_cmp_eq_u32 s14, 0
	s_mov_b32 s17, 0
	s_cselect_b32 s12, ttmp9, s2
	s_cselect_b32 s2, ttmp7, s13
	s_lshl_b32 s3, s12, 6
	s_load_b64 s[14:15], s[0:1], 0x28
	s_or_b32 s16, s3, 63
	s_wait_kmcnt 0x0
	v_cmp_le_i64_e64 s18, s[6:7], s[16:17]
	s_lshl_b32 s16, s2, 7
	s_delay_alu instid0(SALU_CYCLE_1) | instskip(SKIP_2) | instid1(VALU_DEP_1)
	v_cmp_gt_i64_e64 s13, s[4:5], s[16:17]
	s_and_b32 vcc_lo, exec_lo, s18
	v_cndmask_b32_e64 v1, 0, 1, s13
	v_cmp_ne_u32_e64 s2, 1, v1
	s_cbranch_vccz .LBB195_49
; %bb.1:
	v_mov_b32_e32 v3, 0
	s_and_b32 vcc_lo, exec_lo, s2
	s_cbranch_vccnz .LBB195_50
; %bb.2:
	v_bfe_u32 v1, v0, 10, 10
	v_mov_b32_e32 v2, 0
	v_and_b32_e32 v58, 0x3ff, v0
	s_load_b32 s18, s[0:1], 0x44
	s_mov_b32 s19, 0
	s_delay_alu instid0(VALU_DEP_2) | instskip(NEXT) | instid1(VALU_DEP_2)
	v_dual_mov_b32 v21, v2 :: v_dual_lshlrev_b32 v20, 3, v1
	v_dual_mov_b32 v19, v2 :: v_dual_add_nc_u32 v18, s3, v58
	v_mov_b32_e32 v59, 0
	s_mov_b32 s35, s19
	s_delay_alu instid0(VALU_DEP_3)
	v_add_nc_u64_e32 v[4:5], s[16:17], v[20:21]
	s_add_nc_u64 s[20:21], s[0:1], 64
	v_cmp_gt_i64_e64 s2, s[6:7], v[18:19]
	v_lshlrev_b64_e32 v[22:23], 1, v[18:19]
	s_mov_b64 s[22:23], 0xffffffffffffff81
	s_mov_b64 s[24:25], 0xffffffffffffff82
	s_mov_b64 s[26:27], 0xffffffffffffff83
	v_mul_u64_e32 v[6:7], s[6:7], v[4:5]
	v_add_nc_u64_e32 v[8:9], 7, v[4:5]
	v_add_nc_u64_e32 v[10:11], 6, v[4:5]
	;; [unrolled: 1-line block ×6, first 2 shown]
	s_wait_kmcnt 0x0
	s_lshl_b32 s34, s18, 7
	v_mul_u64_e32 v[8:9], s[6:7], v[8:9]
	v_mul_u64_e32 v[10:11], s[6:7], v[10:11]
	;; [unrolled: 1-line block ×6, first 2 shown]
	s_mul_u64 s[42:43], s[6:7], s[34:35]
	s_mov_b64 s[28:29], 0xffffffffffffff84
	s_mov_b64 s[30:31], 0xffffffffffffff85
	;; [unrolled: 1-line block ×5, first 2 shown]
	s_lshl_b64 s[42:43], s[42:43], 1
	s_add_nc_u64 s[44:45], s[16:17], 0x7f
	s_mov_b64 s[46:47], s[16:17]
	v_lshlrev_b64_e32 v[26:27], 1, v[6:7]
	v_add_nc_u64_e32 v[6:7], s[6:7], v[6:7]
	s_delay_alu instid0(VALU_DEP_2)
	v_add_nc_u64_e32 v[24:25], s[8:9], v[26:27]
	v_lshlrev_b64_e32 v[8:9], 1, v[8:9]
	v_lshlrev_b64_e32 v[10:11], 1, v[10:11]
	;; [unrolled: 1-line block ×7, first 2 shown]
	v_add_nc_u64_e32 v[26:27], s[10:11], v[26:27]
	v_add_nc_u64_e32 v[28:29], s[8:9], v[8:9]
	;; [unrolled: 1-line block ×15, first 2 shown]
.LBB195_3:                              ; =>This Inner Loop Header: Depth=1
	v_cmp_ge_i64_e64 s18, s[44:45], s[4:5]
	v_add_nc_u64_e32 v[56:57], s[44:45], v[20:21]
                                        ; implicit-def: $vgpr4_vgpr5_vgpr6_vgpr7_vgpr8_vgpr9_vgpr10_vgpr11
                                        ; implicit-def: $vgpr3
                                        ; implicit-def: $vgpr12_vgpr13_vgpr14_vgpr15_vgpr16_vgpr17_vgpr18_vgpr19
                                        ; implicit-def: $vgpr4
	s_and_b32 vcc_lo, exec_lo, s18
	s_mov_b32 s18, -1
	s_cbranch_vccz .LBB195_25
; %bb.4:                                ;   in Loop: Header=BB195_3 Depth=1
	s_load_b32 s18, s[20:21], 0xc
	v_mov_b32_e32 v60, 0
	s_wait_kmcnt 0x0
	s_and_b32 s18, s18, 0xffff
	s_delay_alu instid0(SALU_CYCLE_1) | instskip(SKIP_1) | instid1(VALU_DEP_1)
	v_mad_u32_u24 v3, v1, s18, v58
	s_mov_b32 s18, exec_lo
	v_and_b32_e32 v4, 31, v3
	s_delay_alu instid0(VALU_DEP_1)
	v_cmpx_gt_u32_e32 8, v4
	s_cbranch_execz .LBB195_8
; %bb.5:                                ;   in Loop: Header=BB195_3 Depth=1
	v_dual_mov_b32 v5, v2 :: v_dual_mov_b32 v60, 0
	s_mov_b32 s33, exec_lo
	s_delay_alu instid0(VALU_DEP_1) | instskip(NEXT) | instid1(VALU_DEP_1)
	v_add_nc_u64_e32 v[4:5], v[56:57], v[4:5]
	v_add_nc_u64_e32 v[4:5], s[22:23], v[4:5]
	s_delay_alu instid0(VALU_DEP_1)
	v_cmpx_gt_i64_e64 s[4:5], v[4:5]
	s_cbranch_execz .LBB195_7
; %bb.6:                                ;   in Loop: Header=BB195_3 Depth=1
	v_lshl_add_u64 v[4:5], v[4:5], 2, s[14:15]
	global_load_b32 v60, v[4:5], off
.LBB195_7:                              ;   in Loop: Header=BB195_3 Depth=1
	s_wait_xcnt 0x0
	s_or_b32 exec_lo, exec_lo, s33
.LBB195_8:                              ;   in Loop: Header=BB195_3 Depth=1
	s_delay_alu instid0(SALU_CYCLE_1)
	s_or_b32 exec_lo, exec_lo, s18
	v_add_nc_u64_e32 v[10:11], s[22:23], v[56:57]
	v_dual_mov_b32 v7, v2 :: v_dual_mov_b32 v8, v2
	v_dual_mov_b32 v9, v2 :: v_dual_mov_b32 v3, v2
	v_dual_mov_b32 v4, v2 :: v_dual_mov_b32 v5, v2
	v_mov_b32_e32 v6, v2
	v_cmp_gt_i64_e32 vcc_lo, s[4:5], v[10:11]
	s_delay_alu instid0(VALU_DEP_4)
	v_mov_b64_e32 v[18:19], v[8:9]
	v_mov_b64_e32 v[12:13], v[2:3]
	;; [unrolled: 1-line block ×8, first 2 shown]
	s_and_b32 s33, s2, vcc_lo
	s_delay_alu instid0(SALU_CYCLE_1)
	s_and_saveexec_b32 s18, s33
	s_cbranch_execz .LBB195_10
; %bb.9:                                ;   in Loop: Header=BB195_3 Depth=1
	v_add_nc_u64_e32 v[4:5], v[24:25], v[22:23]
	v_add_nc_u64_e32 v[6:7], v[26:27], v[22:23]
	v_dual_mov_b32 v9, v2 :: v_dual_mov_b32 v10, v2
	v_dual_mov_b32 v11, v2 :: v_dual_mov_b32 v13, v2
	;; [unrolled: 1-line block ×3, first 2 shown]
	global_load_u16 v3, v[4:5], off
	global_load_u16 v12, v[6:7], off
	s_wait_xcnt 0x0
	v_dual_mov_b32 v5, v2 :: v_dual_mov_b32 v6, v2
	v_dual_mov_b32 v7, v2 :: v_dual_mov_b32 v8, v2
	;; [unrolled: 1-line block ×4, first 2 shown]
	s_wait_loadcnt 0x0
	v_dual_lshlrev_b32 v4, 16, v3 :: v_dual_lshlrev_b32 v12, 16, v12
.LBB195_10:                             ;   in Loop: Header=BB195_3 Depth=1
	s_or_b32 exec_lo, exec_lo, s18
	v_add_nc_u64_e32 v[62:63], s[24:25], v[56:57]
	s_delay_alu instid0(VALU_DEP_1) | instskip(SKIP_1) | instid1(SALU_CYCLE_1)
	v_cmp_gt_i64_e32 vcc_lo, s[4:5], v[62:63]
	s_and_b32 s33, s2, vcc_lo
	s_and_saveexec_b32 s18, s33
	s_cbranch_execz .LBB195_12
; %bb.11:                               ;   in Loop: Header=BB195_3 Depth=1
	v_add_nc_u64_e32 v[62:63], v[52:53], v[22:23]
	v_add_nc_u64_e32 v[64:65], v[54:55], v[22:23]
	global_load_u16 v3, v[62:63], off
	global_load_u16 v13, v[64:65], off
	s_wait_loadcnt 0x0
	v_dual_lshlrev_b32 v5, 16, v3 :: v_dual_lshlrev_b32 v13, 16, v13
.LBB195_12:                             ;   in Loop: Header=BB195_3 Depth=1
	s_or_b32 exec_lo, exec_lo, s18
	v_add_nc_u64_e32 v[62:63], s[26:27], v[56:57]
	s_delay_alu instid0(VALU_DEP_1) | instskip(SKIP_1) | instid1(SALU_CYCLE_1)
	v_cmp_gt_i64_e32 vcc_lo, s[4:5], v[62:63]
	s_and_b32 s33, s2, vcc_lo
	s_and_saveexec_b32 s18, s33
	s_cbranch_execz .LBB195_14
; %bb.13:                               ;   in Loop: Header=BB195_3 Depth=1
	v_add_nc_u64_e32 v[62:63], v[48:49], v[22:23]
	v_add_nc_u64_e32 v[64:65], v[50:51], v[22:23]
	global_load_u16 v3, v[62:63], off
	global_load_u16 v14, v[64:65], off
	s_wait_loadcnt 0x0
	v_dual_lshlrev_b32 v6, 16, v3 :: v_dual_lshlrev_b32 v14, 16, v14
.LBB195_14:                             ;   in Loop: Header=BB195_3 Depth=1
	s_or_b32 exec_lo, exec_lo, s18
	v_add_nc_u64_e32 v[62:63], s[28:29], v[56:57]
	s_delay_alu instid0(VALU_DEP_1) | instskip(SKIP_1) | instid1(SALU_CYCLE_1)
	v_cmp_gt_i64_e32 vcc_lo, s[4:5], v[62:63]
	s_and_b32 s33, s2, vcc_lo
	s_and_saveexec_b32 s18, s33
	s_cbranch_execz .LBB195_16
; %bb.15:                               ;   in Loop: Header=BB195_3 Depth=1
	v_add_nc_u64_e32 v[62:63], v[44:45], v[22:23]
	v_add_nc_u64_e32 v[64:65], v[46:47], v[22:23]
	global_load_u16 v3, v[62:63], off
	global_load_u16 v15, v[64:65], off
	s_wait_loadcnt 0x1
	v_lshlrev_b32_e32 v7, 16, v3
	s_wait_loadcnt 0x0
	v_lshlrev_b32_e32 v15, 16, v15
.LBB195_16:                             ;   in Loop: Header=BB195_3 Depth=1
	s_or_b32 exec_lo, exec_lo, s18
	v_add_nc_u64_e32 v[62:63], s[30:31], v[56:57]
	s_delay_alu instid0(VALU_DEP_1) | instskip(SKIP_1) | instid1(SALU_CYCLE_1)
	v_cmp_gt_i64_e32 vcc_lo, s[4:5], v[62:63]
	s_and_b32 s33, s2, vcc_lo
	s_and_saveexec_b32 s18, s33
	s_cbranch_execz .LBB195_18
; %bb.17:                               ;   in Loop: Header=BB195_3 Depth=1
	v_add_nc_u64_e32 v[62:63], v[40:41], v[22:23]
	v_add_nc_u64_e32 v[64:65], v[42:43], v[22:23]
	global_load_u16 v3, v[62:63], off
	global_load_u16 v16, v[64:65], off
	s_wait_loadcnt 0x0
	v_dual_lshlrev_b32 v8, 16, v3 :: v_dual_lshlrev_b32 v16, 16, v16
.LBB195_18:                             ;   in Loop: Header=BB195_3 Depth=1
	s_or_b32 exec_lo, exec_lo, s18
	v_add_nc_u64_e32 v[62:63], s[36:37], v[56:57]
	s_delay_alu instid0(VALU_DEP_1) | instskip(SKIP_1) | instid1(SALU_CYCLE_1)
	v_cmp_gt_i64_e32 vcc_lo, s[4:5], v[62:63]
	s_and_b32 s33, s2, vcc_lo
	s_and_saveexec_b32 s18, s33
	s_cbranch_execz .LBB195_20
; %bb.19:                               ;   in Loop: Header=BB195_3 Depth=1
	v_add_nc_u64_e32 v[62:63], v[36:37], v[22:23]
	v_add_nc_u64_e32 v[64:65], v[38:39], v[22:23]
	global_load_u16 v3, v[62:63], off
	global_load_u16 v17, v[64:65], off
	s_wait_loadcnt 0x0
	v_dual_lshlrev_b32 v9, 16, v3 :: v_dual_lshlrev_b32 v17, 16, v17
.LBB195_20:                             ;   in Loop: Header=BB195_3 Depth=1
	;; [unrolled: 15-line block ×3, first 2 shown]
	s_or_b32 exec_lo, exec_lo, s18
	v_add_nc_u64_e32 v[62:63], s[40:41], v[56:57]
	s_delay_alu instid0(VALU_DEP_1) | instskip(SKIP_1) | instid1(SALU_CYCLE_1)
	v_cmp_gt_i64_e32 vcc_lo, s[4:5], v[62:63]
	s_and_b32 s33, s2, vcc_lo
	s_and_saveexec_b32 s18, s33
	s_cbranch_execz .LBB195_24
; %bb.23:                               ;   in Loop: Header=BB195_3 Depth=1
	v_add_nc_u64_e32 v[62:63], v[28:29], v[22:23]
	v_add_nc_u64_e32 v[64:65], v[30:31], v[22:23]
	global_load_u16 v3, v[62:63], off
	global_load_u16 v19, v[64:65], off
	s_wait_loadcnt 0x1
	v_lshlrev_b32_e32 v11, 16, v3
	s_wait_loadcnt 0x0
	v_lshlrev_b32_e32 v19, 16, v19
.LBB195_24:                             ;   in Loop: Header=BB195_3 Depth=1
	s_or_b32 exec_lo, exec_lo, s18
	s_wait_loadcnt 0x0
	ds_bpermute_b32 v3, v2, v60
	ds_bpermute_b32 v62, v2, v60 offset:4
	ds_bpermute_b32 v63, v2, v60 offset:8
	;; [unrolled: 1-line block ×4, first 2 shown]
	v_pk_mul_f32 v[6:7], v[14:15], v[6:7]
	v_dual_mul_f32 v14, v12, v4 :: v_dual_mul_f32 v4, v13, v5
	v_pk_mul_f32 v[8:9], v[16:17], v[8:9]
	ds_bpermute_b32 v12, v2, v60 offset:20
	v_dual_mov_b32 v5, v6 :: v_dual_mov_b32 v6, v7
	ds_bpermute_b32 v13, v2, v60 offset:24
	s_mov_b32 s18, 0
	v_dual_mov_b32 v7, v8 :: v_dual_mul_f32 v15, v18, v10
	s_wait_dscnt 0x6
	v_dual_fma_f32 v3, v14, v3, v59 :: v_dual_mov_b32 v14, v9
	s_wait_dscnt 0x4
	v_pk_mul_f32 v[4:5], v[4:5], v[62:63]
	s_wait_dscnt 0x2
	v_pk_mul_f32 v[6:7], v[6:7], v[64:65]
	s_delay_alu instid0(VALU_DEP_2) | instskip(SKIP_2) | instid1(VALU_DEP_1)
	v_add_f32_e32 v3, v3, v4
	ds_bpermute_b32 v4, v2, v60 offset:28
	v_add_f32_e32 v3, v3, v5
	v_add_f32_e32 v3, v3, v6
	s_delay_alu instid0(VALU_DEP_1) | instskip(SKIP_2) | instid1(VALU_DEP_1)
	v_add_f32_e32 v3, v3, v7
	s_wait_dscnt 0x1
	v_pk_mul_f32 v[6:7], v[14:15], v[12:13]
	v_add_f32_e32 v3, v3, v6
	s_delay_alu instid0(VALU_DEP_1)
	v_add_f32_e32 v3, v3, v7
.LBB195_25:                             ;   in Loop: Header=BB195_3 Depth=1
	s_and_b32 vcc_lo, exec_lo, s18
	s_cbranch_vccz .LBB195_40
; %bb.26:                               ;   in Loop: Header=BB195_3 Depth=1
	s_load_b32 s18, s[20:21], 0x0
	v_mov_b32_e32 v60, 0
	s_wait_kmcnt 0x0
	s_cmp_lt_u32 s12, s18
	s_cselect_b32 s18, 12, 18
	s_delay_alu instid0(SALU_CYCLE_1)
	s_add_nc_u64 s[48:49], s[20:21], s[18:19]
	s_load_u16 s18, s[48:49], 0x0
	s_wait_kmcnt 0x0
	v_mad_u32_u24 v3, v1, s18, v58
	s_mov_b32 s18, exec_lo
	s_wait_dscnt 0x0
	s_delay_alu instid0(VALU_DEP_1) | instskip(NEXT) | instid1(VALU_DEP_1)
	v_and_b32_e32 v4, 31, v3
	v_cmpx_gt_u32_e32 8, v4
	s_cbranch_execz .LBB195_30
; %bb.27:                               ;   in Loop: Header=BB195_3 Depth=1
	v_dual_mov_b32 v5, v2 :: v_dual_mov_b32 v60, 0
	s_mov_b32 s33, exec_lo
	s_delay_alu instid0(VALU_DEP_1) | instskip(NEXT) | instid1(VALU_DEP_1)
	v_add_nc_u64_e32 v[4:5], v[56:57], v[4:5]
	v_add_nc_u64_e32 v[4:5], s[22:23], v[4:5]
	s_delay_alu instid0(VALU_DEP_1)
	v_cmpx_gt_i64_e64 s[4:5], v[4:5]
	s_cbranch_execz .LBB195_29
; %bb.28:                               ;   in Loop: Header=BB195_3 Depth=1
	v_lshl_add_u64 v[4:5], v[4:5], 2, s[14:15]
	global_load_b32 v60, v[4:5], off
.LBB195_29:                             ;   in Loop: Header=BB195_3 Depth=1
	s_wait_xcnt 0x0
	s_or_b32 exec_lo, exec_lo, s33
.LBB195_30:                             ;   in Loop: Header=BB195_3 Depth=1
	s_delay_alu instid0(SALU_CYCLE_1) | instskip(SKIP_4) | instid1(VALU_DEP_3)
	s_or_b32 exec_lo, exec_lo, s18
	v_dual_mov_b32 v7, v2 :: v_dual_mov_b32 v8, v2
	v_dual_mov_b32 v9, v2 :: v_dual_mov_b32 v3, v2
	;; [unrolled: 1-line block ×3, first 2 shown]
	v_mov_b32_e32 v6, v2
	v_mov_b64_e32 v[18:19], v[8:9]
	s_delay_alu instid0(VALU_DEP_4) | instskip(NEXT) | instid1(VALU_DEP_4)
	v_mov_b64_e32 v[12:13], v[2:3]
	v_mov_b64_e32 v[14:15], v[4:5]
	s_delay_alu instid0(VALU_DEP_4)
	v_mov_b64_e32 v[16:17], v[6:7]
	v_mov_b64_e32 v[10:11], v[8:9]
	;; [unrolled: 1-line block ×5, first 2 shown]
	s_and_saveexec_b32 s18, s2
	s_cbranch_execnz .LBB195_42
; %bb.31:                               ;   in Loop: Header=BB195_3 Depth=1
	s_or_b32 exec_lo, exec_lo, s18
	s_and_saveexec_b32 s18, s2
	s_cbranch_execnz .LBB195_43
.LBB195_32:                             ;   in Loop: Header=BB195_3 Depth=1
	s_or_b32 exec_lo, exec_lo, s18
	s_and_saveexec_b32 s18, s2
	s_cbranch_execnz .LBB195_44
.LBB195_33:                             ;   in Loop: Header=BB195_3 Depth=1
	s_or_b32 exec_lo, exec_lo, s18
	s_and_saveexec_b32 s18, s2
	s_cbranch_execnz .LBB195_45
.LBB195_34:                             ;   in Loop: Header=BB195_3 Depth=1
	s_or_b32 exec_lo, exec_lo, s18
	s_and_saveexec_b32 s18, s2
	s_cbranch_execnz .LBB195_46
.LBB195_35:                             ;   in Loop: Header=BB195_3 Depth=1
	s_or_b32 exec_lo, exec_lo, s18
	s_and_saveexec_b32 s18, s2
	s_cbranch_execnz .LBB195_47
.LBB195_36:                             ;   in Loop: Header=BB195_3 Depth=1
	s_or_b32 exec_lo, exec_lo, s18
	s_and_saveexec_b32 s18, s2
	s_cbranch_execnz .LBB195_48
.LBB195_37:                             ;   in Loop: Header=BB195_3 Depth=1
	s_or_b32 exec_lo, exec_lo, s18
	s_and_saveexec_b32 s18, s2
	s_cbranch_execz .LBB195_39
.LBB195_38:                             ;   in Loop: Header=BB195_3 Depth=1
	v_add_nc_u64_e32 v[56:57], v[28:29], v[22:23]
	v_add_nc_u64_e32 v[62:63], v[30:31], v[22:23]
	global_load_u16 v3, v[56:57], off
	global_load_u16 v19, v[62:63], off
	s_wait_loadcnt 0x1
	v_lshlrev_b32_e32 v11, 16, v3
	s_wait_loadcnt 0x0
	v_lshlrev_b32_e32 v19, 16, v19
.LBB195_39:                             ;   in Loop: Header=BB195_3 Depth=1
	s_or_b32 exec_lo, exec_lo, s18
	s_wait_loadcnt 0x0
	ds_bpermute_b32 v3, v2, v60
	ds_bpermute_b32 v56, v2, v60 offset:4
	ds_bpermute_b32 v57, v2, v60 offset:8
	ds_bpermute_b32 v62, v2, v60 offset:12
	ds_bpermute_b32 v63, v2, v60 offset:16
	v_pk_mul_f32 v[6:7], v[14:15], v[6:7]
	v_dual_mul_f32 v14, v12, v4 :: v_dual_mul_f32 v4, v13, v5
	v_pk_mul_f32 v[8:9], v[16:17], v[8:9]
	ds_bpermute_b32 v12, v2, v60 offset:20
	v_dual_mov_b32 v5, v6 :: v_dual_mov_b32 v6, v7
	ds_bpermute_b32 v13, v2, v60 offset:24
	v_dual_mov_b32 v7, v8 :: v_dual_mul_f32 v15, v18, v10
	s_wait_dscnt 0x6
	v_dual_fmac_f32 v59, v14, v3 :: v_dual_mov_b32 v14, v9
	s_wait_dscnt 0x4
	v_pk_mul_f32 v[4:5], v[4:5], v[56:57]
	s_wait_dscnt 0x2
	v_pk_mul_f32 v[6:7], v[6:7], v[62:63]
	s_delay_alu instid0(VALU_DEP_2) | instskip(SKIP_2) | instid1(VALU_DEP_1)
	v_add_f32_e32 v3, v59, v4
	ds_bpermute_b32 v4, v2, v60 offset:28
	v_add_f32_e32 v3, v3, v5
	v_add_f32_e32 v3, v3, v6
	s_delay_alu instid0(VALU_DEP_1) | instskip(SKIP_2) | instid1(VALU_DEP_1)
	v_add_f32_e32 v3, v3, v7
	s_wait_dscnt 0x1
	v_pk_mul_f32 v[6:7], v[14:15], v[12:13]
	v_add_f32_e32 v3, v3, v6
	s_delay_alu instid0(VALU_DEP_1)
	v_add_f32_e32 v3, v3, v7
.LBB195_40:                             ;   in Loop: Header=BB195_3 Depth=1
	s_add_nc_u64 s[46:47], s[46:47], s[34:35]
	v_mul_f32_e32 v5, v11, v19
	v_cmp_lt_i64_e64 s18, s[46:47], s[4:5]
	v_add_nc_u64_e32 v[24:25], s[42:43], v[24:25]
	v_add_nc_u64_e32 v[26:27], s[42:43], v[26:27]
	;; [unrolled: 1-line block ×16, first 2 shown]
	s_wait_dscnt 0x0
	v_fmac_f32_e32 v3, v5, v4
	s_and_b32 vcc_lo, exec_lo, s18
	s_add_nc_u64 s[44:45], s[44:45], s[34:35]
	s_cbranch_vccz .LBB195_50
; %bb.41:                               ;   in Loop: Header=BB195_3 Depth=1
	s_delay_alu instid0(VALU_DEP_1)
	v_mov_b32_e32 v59, v3
	s_branch .LBB195_3
.LBB195_42:                             ;   in Loop: Header=BB195_3 Depth=1
	v_add_nc_u64_e32 v[4:5], v[24:25], v[22:23]
	v_add_nc_u64_e32 v[6:7], v[26:27], v[22:23]
	v_dual_mov_b32 v9, v2 :: v_dual_mov_b32 v10, v2
	v_dual_mov_b32 v11, v2 :: v_dual_mov_b32 v13, v2
	v_dual_mov_b32 v14, v2 :: v_dual_mov_b32 v15, v2
	global_load_u16 v3, v[4:5], off
	global_load_u16 v12, v[6:7], off
	s_wait_xcnt 0x0
	v_dual_mov_b32 v5, v2 :: v_dual_mov_b32 v6, v2
	v_dual_mov_b32 v7, v2 :: v_dual_mov_b32 v8, v2
	;; [unrolled: 1-line block ×4, first 2 shown]
	s_wait_loadcnt 0x0
	v_dual_lshlrev_b32 v4, 16, v3 :: v_dual_lshlrev_b32 v12, 16, v12
	s_or_b32 exec_lo, exec_lo, s18
	s_and_saveexec_b32 s18, s2
	s_cbranch_execz .LBB195_32
.LBB195_43:                             ;   in Loop: Header=BB195_3 Depth=1
	v_add_nc_u64_e32 v[56:57], v[52:53], v[22:23]
	v_add_nc_u64_e32 v[62:63], v[54:55], v[22:23]
	global_load_u16 v3, v[56:57], off
	global_load_u16 v13, v[62:63], off
	s_wait_loadcnt 0x0
	v_dual_lshlrev_b32 v5, 16, v3 :: v_dual_lshlrev_b32 v13, 16, v13
	s_or_b32 exec_lo, exec_lo, s18
	s_and_saveexec_b32 s18, s2
	s_cbranch_execz .LBB195_33
.LBB195_44:                             ;   in Loop: Header=BB195_3 Depth=1
	v_add_nc_u64_e32 v[56:57], v[48:49], v[22:23]
	v_add_nc_u64_e32 v[62:63], v[50:51], v[22:23]
	global_load_u16 v3, v[56:57], off
	global_load_u16 v14, v[62:63], off
	s_wait_loadcnt 0x0
	v_dual_lshlrev_b32 v6, 16, v3 :: v_dual_lshlrev_b32 v14, 16, v14
	s_or_b32 exec_lo, exec_lo, s18
	s_and_saveexec_b32 s18, s2
	s_cbranch_execz .LBB195_34
.LBB195_45:                             ;   in Loop: Header=BB195_3 Depth=1
	v_add_nc_u64_e32 v[56:57], v[44:45], v[22:23]
	v_add_nc_u64_e32 v[62:63], v[46:47], v[22:23]
	global_load_u16 v3, v[56:57], off
	global_load_u16 v15, v[62:63], off
	s_wait_loadcnt 0x1
	v_lshlrev_b32_e32 v7, 16, v3
	s_wait_loadcnt 0x0
	v_lshlrev_b32_e32 v15, 16, v15
	s_or_b32 exec_lo, exec_lo, s18
	s_and_saveexec_b32 s18, s2
	s_cbranch_execz .LBB195_35
.LBB195_46:                             ;   in Loop: Header=BB195_3 Depth=1
	v_add_nc_u64_e32 v[56:57], v[40:41], v[22:23]
	v_add_nc_u64_e32 v[62:63], v[42:43], v[22:23]
	global_load_u16 v3, v[56:57], off
	global_load_u16 v16, v[62:63], off
	s_wait_loadcnt 0x0
	v_dual_lshlrev_b32 v8, 16, v3 :: v_dual_lshlrev_b32 v16, 16, v16
	s_or_b32 exec_lo, exec_lo, s18
	s_and_saveexec_b32 s18, s2
	s_cbranch_execz .LBB195_36
.LBB195_47:                             ;   in Loop: Header=BB195_3 Depth=1
	v_add_nc_u64_e32 v[56:57], v[36:37], v[22:23]
	v_add_nc_u64_e32 v[62:63], v[38:39], v[22:23]
	global_load_u16 v3, v[56:57], off
	global_load_u16 v17, v[62:63], off
	s_wait_loadcnt 0x0
	v_dual_lshlrev_b32 v9, 16, v3 :: v_dual_lshlrev_b32 v17, 16, v17
	s_or_b32 exec_lo, exec_lo, s18
	s_and_saveexec_b32 s18, s2
	s_cbranch_execz .LBB195_37
.LBB195_48:                             ;   in Loop: Header=BB195_3 Depth=1
	v_add_nc_u64_e32 v[56:57], v[32:33], v[22:23]
	v_add_nc_u64_e32 v[62:63], v[34:35], v[22:23]
	global_load_u16 v3, v[56:57], off
	global_load_u16 v18, v[62:63], off
	s_wait_loadcnt 0x0
	v_dual_lshlrev_b32 v10, 16, v3 :: v_dual_lshlrev_b32 v18, 16, v18
	s_or_b32 exec_lo, exec_lo, s18
	s_and_saveexec_b32 s18, s2
	s_cbranch_execnz .LBB195_38
	s_branch .LBB195_39
.LBB195_49:
                                        ; implicit-def: $vgpr3
	s_branch .LBB195_51
.LBB195_50:
	s_cbranch_execnz .LBB195_83
.LBB195_51:
	v_mov_b32_e32 v3, 0
	s_and_not1_b32 vcc_lo, exec_lo, s13
	s_cbranch_vccnz .LBB195_83
; %bb.52:
	v_bfe_u32 v1, v0, 10, 10
	v_mov_b32_e32 v2, 0
	v_and_b32_e32 v86, 0x3ff, v0
	s_load_b32 s2, s[0:1], 0x44
	s_mov_b64 s[20:21], 0xffffffffffffff83
	s_delay_alu instid0(VALU_DEP_2) | instskip(SKIP_3) | instid1(VALU_DEP_2)
	v_dual_mov_b32 v5, v2 :: v_dual_lshlrev_b32 v4, 4, v1
	v_dual_mov_b32 v21, v2 :: v_dual_lshlrev_b32 v20, 3, v1
	s_mov_b64 s[22:23], 0xffffffffffffff84
	s_mov_b64 s[24:25], 0xffffffffffffff85
	v_lshl_add_u64 v[6:7], s[16:17], 1, v[4:5]
	s_mov_b64 s[26:27], 0xffffffffffffff86
	s_mov_b64 s[28:29], 0xffffffffffffff87
	;; [unrolled: 1-line block ×3, first 2 shown]
	s_add_nc_u64 s[34:35], s[0:1], 64
	v_add_nc_u64_e32 v[12:13], 2, v[6:7]
	v_add_nc_u64_e32 v[14:15], 4, v[6:7]
	;; [unrolled: 1-line block ×7, first 2 shown]
	v_mad_nc_u64_u32 v[22:23], s6, v12, s[8:9]
	v_mul_lo_u32 v3, s6, v13
	v_mul_lo_u32 v46, s7, v12
	v_mad_nc_u64_u32 v[24:25], s6, v14, s[8:9]
	v_mul_lo_u32 v47, s6, v15
	v_mul_lo_u32 v48, s7, v14
	;; [unrolled: 3-line block ×3, first 2 shown]
	v_mad_nc_u64_u32 v[32:33], s6, v12, s[10:11]
	v_mad_nc_u64_u32 v[34:35], s6, v14, s[10:11]
	;; [unrolled: 1-line block ×4, first 2 shown]
	v_add3_u32 v23, v46, v23, v3
	v_mul_lo_u32 v51, s6, v19
	v_mul_lo_u32 v52, s7, v18
	v_add3_u32 v25, v48, v25, v47
	v_mad_nc_u64_u32 v[40:41], s6, v18, s[10:11]
	v_mad_nc_u64_u32 v[30:31], s6, v10, s[8:9]
	v_add3_u32 v27, v50, v27, v49
	v_add3_u32 v33, v46, v33, v3
	;; [unrolled: 1-line block ×4, first 2 shown]
	v_mad_nc_u64_u32 v[46:47], s6, v6, s[8:9]
	v_mul_lo_u32 v50, s7, v6
	v_mad_nc_u64_u32 v[48:49], s6, v6, s[10:11]
	v_add_nc_u32_e32 v6, s3, v86
	v_add_nc_u64_e32 v[4:5], s[16:17], v[20:21]
	v_mul_lo_u32 v53, s6, v11
	v_mul_lo_u32 v54, s7, v10
	;; [unrolled: 1-line block ×3, first 2 shown]
	v_dual_mov_b32 v7, v2 :: v_dual_mov_b32 v87, 0
	v_mad_nc_u64_u32 v[38:39], s6, v44, s[8:9]
	v_add_nc_u64_e32 v[12:13], 7, v[4:5]
	v_add_nc_u64_e32 v[14:15], 6, v[4:5]
	v_mul_u64_e32 v[8:9], s[6:7], v[4:5]
	v_add_nc_u64_e32 v[16:17], 5, v[4:5]
	v_add_nc_u64_e32 v[42:43], 4, v[4:5]
	;; [unrolled: 1-line block ×4, first 2 shown]
	v_mul_u64_e32 v[12:13], s[6:7], v[12:13]
	v_mul_u64_e32 v[14:15], s[6:7], v[14:15]
	v_mul_lo_u32 v55, s6, v45
	v_mul_u64_e32 v[16:17], s[6:7], v[16:17]
	v_mul_u64_e32 v[60:61], s[6:7], v[42:43]
	v_mad_nc_u64_u32 v[42:43], s6, v10, s[10:11]
	v_mul_u64_e32 v[10:11], s[6:7], v[18:19]
	v_mul_u64_e32 v[4:5], s[6:7], v[4:5]
	v_mul_lo_u32 v56, s7, v44
	v_mad_nc_u64_u32 v[44:45], s6, v44, s[10:11]
	v_add3_u32 v29, v52, v29, v51
	v_add3_u32 v41, v52, v41, v51
	;; [unrolled: 1-line block ×4, first 2 shown]
	v_lshlrev_b64_e32 v[50:51], 1, v[6:7]
	s_mov_b32 s3, 0
	v_add3_u32 v31, v54, v31, v53
	v_add3_u32 v43, v54, v43, v53
	s_wait_kmcnt 0x0
	s_lshl_b32 s18, s2, 7
	v_add3_u32 v39, v56, v39, v55
	v_add3_u32 v45, v56, v45, v55
	s_mov_b32 s19, s3
	s_add_nc_u64 s[38:39], s[16:17], 0x7f
	s_mul_u64 s[36:37], s[6:7], s[18:19]
	s_delay_alu instid0(SALU_CYCLE_1) | instskip(SKIP_4) | instid1(VALU_DEP_4)
	s_lshl_b64 s[36:37], s[36:37], 1
	v_lshlrev_b64_e32 v[18:19], 1, v[8:9]
	v_add_nc_u64_e32 v[8:9], s[6:7], v[8:9]
	v_lshlrev_b64_e32 v[12:13], 1, v[12:13]
	v_lshlrev_b64_e32 v[6:7], 1, v[14:15]
	v_add_nc_u64_e32 v[52:53], s[8:9], v[18:19]
	s_delay_alu instid0(VALU_DEP_4)
	v_lshlrev_b64_e32 v[8:9], 1, v[8:9]
	v_lshlrev_b64_e32 v[14:15], 1, v[60:61]
	v_add_nc_u64_e32 v[54:55], s[10:11], v[18:19]
	v_add_nc_u64_e32 v[56:57], s[8:9], v[12:13]
	;; [unrolled: 1-line block ×3, first 2 shown]
	v_lshlrev_b64_e32 v[12:13], 1, v[16:17]
	v_add_nc_u64_e32 v[60:61], s[8:9], v[6:7]
	v_add_nc_u64_e32 v[62:63], s[10:11], v[6:7]
	v_lshlrev_b64_e32 v[6:7], 1, v[10:11]
	v_lshlrev_b64_e32 v[4:5], 1, v[4:5]
	v_add_nc_u64_e32 v[68:69], s[8:9], v[14:15]
	v_add_nc_u64_e32 v[70:71], s[10:11], v[14:15]
	;; [unrolled: 1-line block ×10, first 2 shown]
	s_mov_b64 s[8:9], 0xffffffffffffff81
	s_mov_b64 s[10:11], 0xffffffffffffff82
.LBB195_53:                             ; =>This Inner Loop Header: Depth=1
	v_cmp_ge_i64_e64 s2, s[38:39], s[4:5]
	v_add_nc_u64_e32 v[84:85], s[38:39], v[20:21]
                                        ; implicit-def: $vgpr3
	s_and_b32 vcc_lo, exec_lo, s2
	s_mov_b32 s2, -1
	s_cbranch_vccz .LBB195_75
; %bb.54:                               ;   in Loop: Header=BB195_53 Depth=1
	s_load_b32 s2, s[34:35], 0xc
	v_mov_b32_e32 v88, 0
	s_wait_kmcnt 0x0
	s_and_b32 s2, s2, 0xffff
	s_delay_alu instid0(SALU_CYCLE_1) | instskip(SKIP_1) | instid1(VALU_DEP_1)
	v_mad_u32_u24 v3, v1, s2, v86
	s_mov_b32 s2, exec_lo
	v_and_b32_e32 v4, 31, v3
	s_delay_alu instid0(VALU_DEP_1)
	v_cmpx_gt_u32_e32 8, v4
	s_cbranch_execz .LBB195_58
; %bb.55:                               ;   in Loop: Header=BB195_53 Depth=1
	v_dual_mov_b32 v5, v2 :: v_dual_mov_b32 v88, 0
	s_mov_b32 s13, exec_lo
	s_delay_alu instid0(VALU_DEP_1) | instskip(NEXT) | instid1(VALU_DEP_1)
	v_add_nc_u64_e32 v[4:5], v[84:85], v[4:5]
	v_add_nc_u64_e32 v[4:5], s[8:9], v[4:5]
	s_delay_alu instid0(VALU_DEP_1)
	v_cmpx_gt_i64_e64 s[4:5], v[4:5]
	s_cbranch_execz .LBB195_57
; %bb.56:                               ;   in Loop: Header=BB195_53 Depth=1
	v_lshl_add_u64 v[4:5], v[4:5], 2, s[14:15]
	global_load_b32 v88, v[4:5], off
.LBB195_57:                             ;   in Loop: Header=BB195_53 Depth=1
	s_wait_xcnt 0x0
	s_or_b32 exec_lo, exec_lo, s13
.LBB195_58:                             ;   in Loop: Header=BB195_53 Depth=1
	s_delay_alu instid0(SALU_CYCLE_1)
	s_or_b32 exec_lo, exec_lo, s2
	v_add_nc_u64_e32 v[10:11], s[8:9], v[84:85]
	v_dual_mov_b32 v7, v2 :: v_dual_mov_b32 v8, v2
	v_dual_mov_b32 v9, v2 :: v_dual_mov_b32 v3, v2
	;; [unrolled: 1-line block ×3, first 2 shown]
	v_mov_b32_e32 v6, v2
	s_delay_alu instid0(VALU_DEP_3)
	v_mov_b64_e32 v[18:19], v[8:9]
	v_cmp_gt_i64_e32 vcc_lo, s[4:5], v[10:11]
	v_mov_b64_e32 v[12:13], v[2:3]
	v_mov_b64_e32 v[14:15], v[4:5]
	;; [unrolled: 1-line block ×7, first 2 shown]
	s_and_saveexec_b32 s2, vcc_lo
	s_cbranch_execz .LBB195_60
; %bb.59:                               ;   in Loop: Header=BB195_53 Depth=1
	v_add_nc_u64_e32 v[4:5], v[52:53], v[50:51]
	v_add_nc_u64_e32 v[6:7], v[54:55], v[50:51]
	v_dual_mov_b32 v9, v2 :: v_dual_mov_b32 v10, v2
	v_dual_mov_b32 v11, v2 :: v_dual_mov_b32 v13, v2
	;; [unrolled: 1-line block ×3, first 2 shown]
	global_load_u16 v3, v[4:5], off
	global_load_u16 v12, v[6:7], off
	s_wait_xcnt 0x0
	v_dual_mov_b32 v5, v2 :: v_dual_mov_b32 v6, v2
	v_dual_mov_b32 v7, v2 :: v_dual_mov_b32 v8, v2
	v_dual_mov_b32 v16, v2 :: v_dual_mov_b32 v17, v2
	v_dual_mov_b32 v18, v2 :: v_dual_mov_b32 v19, v2
	s_wait_loadcnt 0x0
	v_dual_lshlrev_b32 v4, 16, v3 :: v_dual_lshlrev_b32 v12, 16, v12
.LBB195_60:                             ;   in Loop: Header=BB195_53 Depth=1
	s_or_b32 exec_lo, exec_lo, s2
	v_add_nc_u64_e32 v[90:91], s[10:11], v[84:85]
	s_mov_b32 s2, exec_lo
	s_delay_alu instid0(VALU_DEP_1)
	v_cmpx_gt_i64_e64 s[4:5], v[90:91]
	s_cbranch_execz .LBB195_62
; %bb.61:                               ;   in Loop: Header=BB195_53 Depth=1
	v_add_nc_u64_e32 v[90:91], v[80:81], v[50:51]
	v_add_nc_u64_e32 v[92:93], v[82:83], v[50:51]
	global_load_u16 v3, v[90:91], off
	global_load_u16 v13, v[92:93], off
	s_wait_loadcnt 0x0
	v_dual_lshlrev_b32 v5, 16, v3 :: v_dual_lshlrev_b32 v13, 16, v13
.LBB195_62:                             ;   in Loop: Header=BB195_53 Depth=1
	s_or_b32 exec_lo, exec_lo, s2
	v_add_nc_u64_e32 v[90:91], s[20:21], v[84:85]
	s_mov_b32 s2, exec_lo
	s_delay_alu instid0(VALU_DEP_1)
	v_cmpx_gt_i64_e64 s[4:5], v[90:91]
	s_cbranch_execz .LBB195_64
; %bb.63:                               ;   in Loop: Header=BB195_53 Depth=1
	v_add_nc_u64_e32 v[90:91], v[76:77], v[50:51]
	v_add_nc_u64_e32 v[92:93], v[78:79], v[50:51]
	global_load_u16 v3, v[90:91], off
	global_load_u16 v14, v[92:93], off
	s_wait_loadcnt 0x0
	v_dual_lshlrev_b32 v6, 16, v3 :: v_dual_lshlrev_b32 v14, 16, v14
.LBB195_64:                             ;   in Loop: Header=BB195_53 Depth=1
	s_or_b32 exec_lo, exec_lo, s2
	v_add_nc_u64_e32 v[90:91], s[22:23], v[84:85]
	s_mov_b32 s2, exec_lo
	s_delay_alu instid0(VALU_DEP_1)
	v_cmpx_gt_i64_e64 s[4:5], v[90:91]
	s_cbranch_execz .LBB195_66
; %bb.65:                               ;   in Loop: Header=BB195_53 Depth=1
	v_add_nc_u64_e32 v[90:91], v[72:73], v[50:51]
	v_add_nc_u64_e32 v[92:93], v[74:75], v[50:51]
	global_load_u16 v3, v[90:91], off
	global_load_u16 v15, v[92:93], off
	s_wait_loadcnt 0x1
	v_lshlrev_b32_e32 v7, 16, v3
	s_wait_loadcnt 0x0
	v_lshlrev_b32_e32 v15, 16, v15
.LBB195_66:                             ;   in Loop: Header=BB195_53 Depth=1
	s_or_b32 exec_lo, exec_lo, s2
	v_add_nc_u64_e32 v[90:91], s[24:25], v[84:85]
	s_mov_b32 s2, exec_lo
	s_delay_alu instid0(VALU_DEP_1)
	v_cmpx_gt_i64_e64 s[4:5], v[90:91]
	s_cbranch_execz .LBB195_68
; %bb.67:                               ;   in Loop: Header=BB195_53 Depth=1
	v_add_nc_u64_e32 v[90:91], v[68:69], v[50:51]
	v_add_nc_u64_e32 v[92:93], v[70:71], v[50:51]
	global_load_u16 v3, v[90:91], off
	global_load_u16 v16, v[92:93], off
	s_wait_loadcnt 0x0
	v_dual_lshlrev_b32 v8, 16, v3 :: v_dual_lshlrev_b32 v16, 16, v16
.LBB195_68:                             ;   in Loop: Header=BB195_53 Depth=1
	s_or_b32 exec_lo, exec_lo, s2
	v_add_nc_u64_e32 v[90:91], s[26:27], v[84:85]
	s_mov_b32 s2, exec_lo
	s_delay_alu instid0(VALU_DEP_1)
	v_cmpx_gt_i64_e64 s[4:5], v[90:91]
	s_cbranch_execz .LBB195_70
; %bb.69:                               ;   in Loop: Header=BB195_53 Depth=1
	v_add_nc_u64_e32 v[90:91], v[64:65], v[50:51]
	v_add_nc_u64_e32 v[92:93], v[66:67], v[50:51]
	global_load_u16 v3, v[90:91], off
	global_load_u16 v17, v[92:93], off
	s_wait_loadcnt 0x0
	v_dual_lshlrev_b32 v9, 16, v3 :: v_dual_lshlrev_b32 v17, 16, v17
.LBB195_70:                             ;   in Loop: Header=BB195_53 Depth=1
	;; [unrolled: 14-line block ×3, first 2 shown]
	s_or_b32 exec_lo, exec_lo, s2
	v_add_nc_u64_e32 v[90:91], s[30:31], v[84:85]
	s_mov_b32 s2, exec_lo
	s_delay_alu instid0(VALU_DEP_1)
	v_cmpx_gt_i64_e64 s[4:5], v[90:91]
	s_cbranch_execz .LBB195_74
; %bb.73:                               ;   in Loop: Header=BB195_53 Depth=1
	v_add_nc_u64_e32 v[90:91], v[56:57], v[50:51]
	v_add_nc_u64_e32 v[92:93], v[58:59], v[50:51]
	global_load_u16 v3, v[90:91], off
	global_load_u16 v19, v[92:93], off
	s_wait_loadcnt 0x1
	v_lshlrev_b32_e32 v11, 16, v3
	s_wait_loadcnt 0x0
	v_lshlrev_b32_e32 v19, 16, v19
.LBB195_74:                             ;   in Loop: Header=BB195_53 Depth=1
	s_or_b32 exec_lo, exec_lo, s2
	s_wait_loadcnt 0x0
	ds_bpermute_b32 v90, v2, v88
	ds_bpermute_b32 v91, v2, v88 offset:4
	ds_bpermute_b32 v92, v2, v88 offset:8
	;; [unrolled: 1-line block ×3, first 2 shown]
	v_pk_mul_f32 v[4:5], v[12:13], v[4:5]
	ds_bpermute_b32 v12, v2, v88 offset:16
	ds_bpermute_b32 v13, v2, v88 offset:20
	v_pk_mul_f32 v[6:7], v[14:15], v[6:7]
	v_pk_mul_f32 v[8:9], v[16:17], v[8:9]
	s_mov_b32 s2, 0
	s_wait_dscnt 0x4
	v_pk_mul_f32 v[4:5], v[4:5], v[90:91]
	s_wait_dscnt 0x2
	v_pk_mul_f32 v[6:7], v[6:7], v[92:93]
	;; [unrolled: 2-line block ×3, first 2 shown]
	v_add_f32_e32 v3, v87, v4
	ds_bpermute_b32 v4, v2, v88 offset:24
	v_add_f32_e32 v3, v3, v5
	ds_bpermute_b32 v5, v2, v88 offset:28
	v_add_f32_e32 v3, v3, v6
	s_delay_alu instid0(VALU_DEP_1) | instskip(SKIP_1) | instid1(VALU_DEP_2)
	v_add_f32_e32 v3, v3, v7
	v_pk_mul_f32 v[6:7], v[18:19], v[10:11]
	v_add_f32_e32 v3, v3, v8
	s_delay_alu instid0(VALU_DEP_1) | instskip(SKIP_1) | instid1(VALU_DEP_3)
	v_add_f32_e32 v3, v3, v9
	s_wait_dscnt 0x0
	v_pk_mul_f32 v[4:5], v[6:7], v[4:5]
	s_delay_alu instid0(VALU_DEP_1) | instskip(NEXT) | instid1(VALU_DEP_1)
	v_add_f32_e32 v3, v3, v4
	v_add_f32_e32 v3, v3, v5
.LBB195_75:                             ;   in Loop: Header=BB195_53 Depth=1
	s_and_b32 vcc_lo, exec_lo, s2
	s_cbranch_vccz .LBB195_81
; %bb.76:                               ;   in Loop: Header=BB195_53 Depth=1
	s_load_b32 s2, s[34:35], 0x0
	s_wait_kmcnt 0x0
	s_cmp_lt_u32 s12, s2
	s_cselect_b32 s2, 12, 18
	s_delay_alu instid0(SALU_CYCLE_1) | instskip(SKIP_4) | instid1(VALU_DEP_1)
	s_add_nc_u64 s[40:41], s[34:35], s[2:3]
	s_load_u16 s2, s[40:41], 0x0
	s_wait_kmcnt 0x0
	v_mad_u32_u24 v3, v1, s2, v86
	s_mov_b32 s2, exec_lo
	v_dual_mov_b32 v3, 0 :: v_dual_bitop2_b32 v4, 31, v3 bitop3:0x40
	s_delay_alu instid0(VALU_DEP_1)
	v_cmpx_gt_u32_e32 8, v4
	s_cbranch_execz .LBB195_80
; %bb.77:                               ;   in Loop: Header=BB195_53 Depth=1
	v_dual_mov_b32 v5, v2 :: v_dual_mov_b32 v3, 0
	s_mov_b32 s13, exec_lo
	s_delay_alu instid0(VALU_DEP_1) | instskip(NEXT) | instid1(VALU_DEP_1)
	v_add_nc_u64_e32 v[4:5], v[84:85], v[4:5]
	v_add_nc_u64_e32 v[4:5], s[8:9], v[4:5]
	s_delay_alu instid0(VALU_DEP_1)
	v_cmpx_gt_i64_e64 s[4:5], v[4:5]
	s_cbranch_execz .LBB195_79
; %bb.78:                               ;   in Loop: Header=BB195_53 Depth=1
	v_lshl_add_u64 v[4:5], v[4:5], 2, s[14:15]
	global_load_b32 v3, v[4:5], off
.LBB195_79:                             ;   in Loop: Header=BB195_53 Depth=1
	s_wait_xcnt 0x0
	s_or_b32 exec_lo, exec_lo, s13
.LBB195_80:                             ;   in Loop: Header=BB195_53 Depth=1
	s_delay_alu instid0(SALU_CYCLE_1)
	s_or_b32 exec_lo, exec_lo, s2
	v_add_nc_u64_e32 v[4:5], v[22:23], v[50:51]
	v_add_nc_u64_e32 v[6:7], v[52:53], v[50:51]
	;; [unrolled: 1-line block ×6, first 2 shown]
	global_load_u16 v16, v[4:5], off
	global_load_u16 v17, v[6:7], off
	;; [unrolled: 1-line block ×4, first 2 shown]
	s_wait_xcnt 0x3
	v_add_nc_u64_e32 v[4:5], v[36:37], v[50:51]
	s_wait_xcnt 0x2
	v_add_nc_u64_e32 v[6:7], v[34:35], v[50:51]
	;; [unrolled: 2-line block ×3, first 2 shown]
	v_add_nc_u64_e32 v[8:9], v[28:29], v[50:51]
	global_load_u16 v14, v[14:15], off
	global_load_u16 v15, v[12:13], off
	;; [unrolled: 1-line block ×4, first 2 shown]
	s_wait_xcnt 0x1
	v_add_nc_u64_e32 v[4:5], v[42:43], v[50:51]
	s_wait_xcnt 0x0
	v_add_nc_u64_e32 v[6:7], v[40:41], v[50:51]
	s_wait_loadcnt 0x8
	ds_bpermute_b32 v12, v2, v3 offset:16
	global_load_u16 v88, v[10:11], off
	global_load_u16 v89, v[8:9], off
	;; [unrolled: 1-line block ×4, first 2 shown]
	s_wait_xcnt 0x1
	v_add_nc_u64_e32 v[4:5], v[46:47], v[50:51]
	s_wait_xcnt 0x0
	v_add_nc_u64_e32 v[6:7], v[38:39], v[50:51]
	v_add_nc_u64_e32 v[8:9], v[48:49], v[50:51]
	;; [unrolled: 1-line block ×3, first 2 shown]
	global_load_u16 v92, v[4:5], off
	global_load_u16 v93, v[6:7], off
	;; [unrolled: 1-line block ×4, first 2 shown]
	s_wait_xcnt 0x3
	ds_bpermute_b32 v4, v2, v3
	ds_bpermute_b32 v5, v2, v3 offset:4
	s_wait_xcnt 0x2
	ds_bpermute_b32 v6, v2, v3 offset:8
	ds_bpermute_b32 v7, v2, v3 offset:12
	;; [unrolled: 1-line block ×3, first 2 shown]
	s_wait_loadcnt 0xe
	s_wait_xcnt 0x1
	v_dual_lshlrev_b32 v9, 16, v16 :: v_dual_lshlrev_b32 v8, 16, v17
	s_wait_loadcnt 0xc
	s_wait_xcnt 0x0
	v_dual_lshlrev_b32 v11, 16, v18 :: v_dual_lshlrev_b32 v10, 16, v19
	s_delay_alu instid0(VALU_DEP_1)
	v_pk_mul_f32 v[8:9], v[8:9], v[10:11]
	s_wait_loadcnt 0xa
	v_dual_lshlrev_b32 v11, 16, v14 :: v_dual_lshlrev_b32 v10, 16, v15
	s_wait_loadcnt 0x8
	v_dual_lshlrev_b32 v15, 16, v84 :: v_dual_lshlrev_b32 v14, 16, v85
	s_wait_dscnt 0x3
	v_pk_mul_f32 v[4:5], v[8:9], v[4:5]
	ds_bpermute_b32 v8, v2, v3 offset:24
	s_wait_loadcnt 0x6
	v_dual_lshlrev_b32 v17, 16, v88 :: v_dual_lshlrev_b32 v16, 16, v89
	v_pk_mul_f32 v[10:11], v[10:11], v[14:15]
	s_wait_loadcnt 0x5
	v_dual_add_f32 v4, v87, v4 :: v_dual_lshlrev_b32 v15, 16, v90
	s_wait_loadcnt 0x4
	v_lshlrev_b32_e32 v14, 16, v91
	ds_bpermute_b32 v9, v2, v3 offset:28
	s_wait_dscnt 0x3
	v_pk_mul_f32 v[6:7], v[10:11], v[6:7]
	s_wait_loadcnt 0x3
	v_dual_add_f32 v10, v4, v5 :: v_dual_lshlrev_b32 v11, 16, v92
	v_pk_mul_f32 v[4:5], v[16:17], v[14:15]
	s_wait_loadcnt 0x1
	v_lshlrev_b32_e32 v15, 16, v94
	s_delay_alu instid0(VALU_DEP_3) | instskip(SKIP_2) | instid1(VALU_DEP_2)
	v_dual_add_f32 v3, v10, v6 :: v_dual_lshlrev_b32 v10, 16, v93
	s_wait_dscnt 0x2
	v_pk_mul_f32 v[4:5], v[4:5], v[12:13]
	v_add_f32_e32 v3, v3, v7
	s_wait_loadcnt 0x0
	s_delay_alu instid0(VALU_DEP_1) | instskip(NEXT) | instid1(VALU_DEP_1)
	v_dual_add_f32 v3, v3, v4 :: v_dual_lshlrev_b32 v14, 16, v95
	v_pk_mul_f32 v[6:7], v[10:11], v[14:15]
	s_delay_alu instid0(VALU_DEP_2) | instskip(SKIP_1) | instid1(VALU_DEP_2)
	v_add_f32_e32 v3, v3, v5
	s_wait_dscnt 0x0
	v_pk_mul_f32 v[4:5], v[6:7], v[8:9]
	s_delay_alu instid0(VALU_DEP_1) | instskip(NEXT) | instid1(VALU_DEP_1)
	v_add_f32_e32 v3, v3, v4
	v_add_f32_e32 v3, v3, v5
.LBB195_81:                             ;   in Loop: Header=BB195_53 Depth=1
	s_add_nc_u64 s[16:17], s[16:17], s[18:19]
	v_add_nc_u64_e32 v[52:53], s[36:37], v[52:53]
	v_cmp_ge_i64_e64 s2, s[16:17], s[4:5]
	v_add_nc_u64_e32 v[54:55], s[36:37], v[54:55]
	v_add_nc_u64_e32 v[22:23], s[36:37], v[22:23]
	;; [unrolled: 1-line block ×29, first 2 shown]
	s_and_b32 vcc_lo, exec_lo, s2
	s_add_nc_u64 s[38:39], s[38:39], s[18:19]
	s_cbranch_vccnz .LBB195_83
; %bb.82:                               ;   in Loop: Header=BB195_53 Depth=1
	v_mov_b32_e32 v87, v3
	s_branch .LBB195_53
.LBB195_83:
	v_and_b32_e32 v5, 0x3ff, v0
	v_bfe_u32 v0, v0, 10, 10
	s_mov_b32 s2, exec_lo
	s_delay_alu instid0(VALU_DEP_1) | instskip(SKIP_1) | instid1(VALU_DEP_2)
	v_mad_u32_u24 v1, 0x41, v0, v5
	v_mov_b32_e32 v4, 0
	v_lshl_add_u32 v2, v1, 2, 0
	v_sub_nc_u32_e32 v1, v1, v0
	ds_store_b32 v2, v3
	ds_store_b32 v2, v4 offset:4160
	s_wait_dscnt 0x0
	s_barrier_signal -1
	s_barrier_wait -1
	v_cmpx_gt_u32_e32 0x800, v1
	s_cbranch_execz .LBB195_93
; %bb.84:
	s_load_b64 s[2:3], s[0:1], 0x30
	v_and_b32_e32 v2, 31, v5
	v_lshrrev_b32_e32 v0, 5, v1
	s_delay_alu instid0(VALU_DEP_2)
	v_cmp_gt_u32_e32 vcc_lo, 16, v2
	v_mul_u32_u24_e32 v4, 0x41, v2
                                        ; implicit-def: $vgpr2
	s_wait_xcnt 0x0
	s_and_saveexec_b32 s0, vcc_lo
	s_cbranch_execz .LBB195_86
; %bb.85:
	v_lshlrev_b32_e32 v2, 2, v0
	v_lshlrev_b32_e32 v3, 2, v4
	s_delay_alu instid0(VALU_DEP_1)
	v_add3_u32 v2, 0, v2, v3
	ds_load_b32 v2, v2
.LBB195_86:
	s_or_b32 exec_lo, exec_lo, s0
	v_mbcnt_lo_u32_b32 v3, -1, 0
	s_mov_b32 s13, 0
	s_delay_alu instid0(SALU_CYCLE_1)
	s_lshl_b64 s[4:5], s[12:13], 6
	s_wait_kmcnt 0x0
	s_cmp_eq_u64 s[2:3], 0
	v_xor_b32_e32 v6, 8, v3
	s_cselect_b32 s8, -1, 0
	v_xor_b32_e32 v7, 4, v3
	v_xor_b32_e32 v10, 1, v3
	s_delay_alu instid0(VALU_DEP_3) | instskip(NEXT) | instid1(VALU_DEP_1)
	v_cmp_gt_i32_e64 s0, 32, v6
	v_cndmask_b32_e64 v6, v3, v6, s0
	s_delay_alu instid0(VALU_DEP_4) | instskip(NEXT) | instid1(VALU_DEP_1)
	v_cmp_gt_i32_e64 s0, 32, v7
	v_dual_lshlrev_b32 v6, 2, v6 :: v_dual_cndmask_b32 v7, v3, v7, s0
	s_wait_dscnt 0x0
	ds_bpermute_b32 v8, v6, v2
	s_wait_dscnt 0x0
	v_dual_add_f32 v2, v2, v8 :: v_dual_bitop2_b32 v8, 2, v3 bitop3:0x14
	s_delay_alu instid0(VALU_DEP_1) | instskip(NEXT) | instid1(VALU_DEP_1)
	v_cmp_gt_i32_e64 s0, 32, v8
	v_dual_lshlrev_b32 v7, 2, v7 :: v_dual_cndmask_b32 v8, v3, v8, s0
	ds_bpermute_b32 v9, v7, v2
	v_cmp_gt_i32_e64 s0, 32, v10
	s_wait_dscnt 0x0
	v_dual_lshlrev_b32 v8, 2, v8 :: v_dual_add_f32 v2, v2, v9
	ds_bpermute_b32 v9, v8, v2
	v_cndmask_b32_e64 v3, v3, v10, s0
	v_cmp_ne_u32_e64 s0, 0, v5
	s_wait_dscnt 0x0
	s_delay_alu instid0(VALU_DEP_2) | instskip(SKIP_4) | instid1(VALU_DEP_1)
	v_dual_add_f32 v10, v2, v9 :: v_dual_lshlrev_b32 v9, 2, v3
	v_or_b32_e32 v2, s4, v0
	ds_bpermute_b32 v11, v9, v10
	s_wait_dscnt 0x0
	v_dual_mov_b32 v3, s5 :: v_dual_add_f32 v5, v10, v11
	v_cmp_le_i64_e64 s1, s[6:7], v[2:3]
	s_or_b32 s1, s0, s1
	s_delay_alu instid0(SALU_CYCLE_1) | instskip(NEXT) | instid1(SALU_CYCLE_1)
	s_nor_b32 s1, s8, s1
	s_and_saveexec_b32 s9, s1
	s_cbranch_execz .LBB195_88
; %bb.87:
	v_bfe_u32 v10, v5, 16, 1
	v_cmp_o_f32_e64 s1, v5, v5
	v_lshl_add_u64 v[2:3], v[2:3], 1, s[2:3]
	s_delay_alu instid0(VALU_DEP_3) | instskip(NEXT) | instid1(VALU_DEP_1)
	v_add3_u32 v10, v5, v10, 0x7fff
	v_lshrrev_b32_e32 v10, 16, v10
	s_delay_alu instid0(VALU_DEP_1)
	v_cndmask_b32_e64 v10, 0x7fc0, v10, s1
	global_store_b16 v[2:3], v10, off
.LBB195_88:
	s_wait_xcnt 0x0
	s_or_b32 exec_lo, exec_lo, s9
	v_cmp_gt_u32_e64 s1, 0x400, v1
	s_and_b32 exec_lo, exec_lo, s1
	s_cbranch_execz .LBB195_93
; %bb.89:
	s_and_saveexec_b32 s1, vcc_lo
	s_cbranch_execz .LBB195_91
; %bb.90:
	v_lshlrev_b32_e32 v1, 2, v0
	v_lshlrev_b32_e32 v2, 2, v4
	s_delay_alu instid0(VALU_DEP_1)
	v_add3_u32 v1, 0, v1, v2
	ds_load_b32 v5, v1 offset:128
.LBB195_91:
	s_or_b32 exec_lo, exec_lo, s1
	s_wait_dscnt 0x0
	ds_bpermute_b32 v1, v6, v5
	v_add_nc_u32_e32 v3, 32, v0
	s_wait_dscnt 0x0
	s_delay_alu instid0(VALU_DEP_1) | instskip(SKIP_4) | instid1(SALU_CYCLE_1)
	v_dual_add_f32 v1, v5, v1 :: v_dual_bitop2_b32 v4, s4, v3 bitop3:0x54
	v_mov_b32_e32 v5, s5
	ds_bpermute_b32 v2, v7, v1
	v_cmp_le_i64_e32 vcc_lo, s[6:7], v[4:5]
	s_or_b32 s0, s0, vcc_lo
	s_nor_b32 s0, s8, s0
	s_wait_dscnt 0x0
	v_add_f32_e32 v1, v1, v2
	ds_bpermute_b32 v2, v8, v1
	s_wait_dscnt 0x0
	v_add_f32_e32 v1, v1, v2
	ds_bpermute_b32 v2, v9, v1
	s_and_saveexec_b32 s1, s0
	s_delay_alu instid0(SALU_CYCLE_1)
	s_xor_b32 s1, exec_lo, s1
	s_cbranch_execz .LBB195_93
; %bb.92:
	s_wait_dscnt 0x0
	v_dual_add_f32 v2, v1, v2 :: v_dual_mov_b32 v1, 0
	s_delay_alu instid0(VALU_DEP_1) | instskip(NEXT) | instid1(VALU_DEP_2)
	v_bfe_u32 v3, v2, 16, 1
	v_add_nc_u64_e32 v[0:1], s[4:5], v[0:1]
	v_cmp_o_f32_e32 vcc_lo, v2, v2
	s_delay_alu instid0(VALU_DEP_3) | instskip(NEXT) | instid1(VALU_DEP_3)
	v_add3_u32 v3, v2, v3, 0x7fff
	v_lshl_add_u64 v[0:1], v[0:1], 1, s[2:3]
	s_delay_alu instid0(VALU_DEP_2) | instskip(NEXT) | instid1(VALU_DEP_1)
	v_lshrrev_b32_e32 v3, 16, v3
	v_cndmask_b32_e32 v2, 0x7fc0, v3, vcc_lo
	global_store_b16 v[0:1], v2, off offset:64
.LBB195_93:
	s_sendmsg sendmsg(MSG_DEALLOC_VGPRS)
	s_endpgm
	.section	.rodata,"a",@progbits
	.p2align	6, 0x0
	.amdhsa_kernel _ZN2at6native12_GLOBAL__N_135GammaBetaBackwardCUDAKernelTemplateIN3c108BFloat16EfLj64ELj16ELj128ELb0ELb0ELb1EEEvllPKT_S7_PKT0_SA_PS5_SB_
		.amdhsa_group_segment_fixed_size 0
		.amdhsa_private_segment_fixed_size 0
		.amdhsa_kernarg_size 320
		.amdhsa_user_sgpr_count 2
		.amdhsa_user_sgpr_dispatch_ptr 0
		.amdhsa_user_sgpr_queue_ptr 0
		.amdhsa_user_sgpr_kernarg_segment_ptr 1
		.amdhsa_user_sgpr_dispatch_id 0
		.amdhsa_user_sgpr_kernarg_preload_length 0
		.amdhsa_user_sgpr_kernarg_preload_offset 0
		.amdhsa_user_sgpr_private_segment_size 0
		.amdhsa_wavefront_size32 1
		.amdhsa_uses_dynamic_stack 0
		.amdhsa_enable_private_segment 0
		.amdhsa_system_sgpr_workgroup_id_x 1
		.amdhsa_system_sgpr_workgroup_id_y 1
		.amdhsa_system_sgpr_workgroup_id_z 0
		.amdhsa_system_sgpr_workgroup_info 0
		.amdhsa_system_vgpr_workitem_id 1
		.amdhsa_next_free_vgpr 96
		.amdhsa_next_free_sgpr 50
		.amdhsa_named_barrier_count 0
		.amdhsa_reserve_vcc 1
		.amdhsa_float_round_mode_32 0
		.amdhsa_float_round_mode_16_64 0
		.amdhsa_float_denorm_mode_32 3
		.amdhsa_float_denorm_mode_16_64 3
		.amdhsa_fp16_overflow 0
		.amdhsa_memory_ordered 1
		.amdhsa_forward_progress 1
		.amdhsa_inst_pref_size 50
		.amdhsa_round_robin_scheduling 0
		.amdhsa_exception_fp_ieee_invalid_op 0
		.amdhsa_exception_fp_denorm_src 0
		.amdhsa_exception_fp_ieee_div_zero 0
		.amdhsa_exception_fp_ieee_overflow 0
		.amdhsa_exception_fp_ieee_underflow 0
		.amdhsa_exception_fp_ieee_inexact 0
		.amdhsa_exception_int_div_zero 0
	.end_amdhsa_kernel
	.section	.text._ZN2at6native12_GLOBAL__N_135GammaBetaBackwardCUDAKernelTemplateIN3c108BFloat16EfLj64ELj16ELj128ELb0ELb0ELb1EEEvllPKT_S7_PKT0_SA_PS5_SB_,"axG",@progbits,_ZN2at6native12_GLOBAL__N_135GammaBetaBackwardCUDAKernelTemplateIN3c108BFloat16EfLj64ELj16ELj128ELb0ELb0ELb1EEEvllPKT_S7_PKT0_SA_PS5_SB_,comdat
.Lfunc_end195:
	.size	_ZN2at6native12_GLOBAL__N_135GammaBetaBackwardCUDAKernelTemplateIN3c108BFloat16EfLj64ELj16ELj128ELb0ELb0ELb1EEEvllPKT_S7_PKT0_SA_PS5_SB_, .Lfunc_end195-_ZN2at6native12_GLOBAL__N_135GammaBetaBackwardCUDAKernelTemplateIN3c108BFloat16EfLj64ELj16ELj128ELb0ELb0ELb1EEEvllPKT_S7_PKT0_SA_PS5_SB_
                                        ; -- End function
	.set _ZN2at6native12_GLOBAL__N_135GammaBetaBackwardCUDAKernelTemplateIN3c108BFloat16EfLj64ELj16ELj128ELb0ELb0ELb1EEEvllPKT_S7_PKT0_SA_PS5_SB_.num_vgpr, 96
	.set _ZN2at6native12_GLOBAL__N_135GammaBetaBackwardCUDAKernelTemplateIN3c108BFloat16EfLj64ELj16ELj128ELb0ELb0ELb1EEEvllPKT_S7_PKT0_SA_PS5_SB_.num_agpr, 0
	.set _ZN2at6native12_GLOBAL__N_135GammaBetaBackwardCUDAKernelTemplateIN3c108BFloat16EfLj64ELj16ELj128ELb0ELb0ELb1EEEvllPKT_S7_PKT0_SA_PS5_SB_.numbered_sgpr, 50
	.set _ZN2at6native12_GLOBAL__N_135GammaBetaBackwardCUDAKernelTemplateIN3c108BFloat16EfLj64ELj16ELj128ELb0ELb0ELb1EEEvllPKT_S7_PKT0_SA_PS5_SB_.num_named_barrier, 0
	.set _ZN2at6native12_GLOBAL__N_135GammaBetaBackwardCUDAKernelTemplateIN3c108BFloat16EfLj64ELj16ELj128ELb0ELb0ELb1EEEvllPKT_S7_PKT0_SA_PS5_SB_.private_seg_size, 0
	.set _ZN2at6native12_GLOBAL__N_135GammaBetaBackwardCUDAKernelTemplateIN3c108BFloat16EfLj64ELj16ELj128ELb0ELb0ELb1EEEvllPKT_S7_PKT0_SA_PS5_SB_.uses_vcc, 1
	.set _ZN2at6native12_GLOBAL__N_135GammaBetaBackwardCUDAKernelTemplateIN3c108BFloat16EfLj64ELj16ELj128ELb0ELb0ELb1EEEvllPKT_S7_PKT0_SA_PS5_SB_.uses_flat_scratch, 0
	.set _ZN2at6native12_GLOBAL__N_135GammaBetaBackwardCUDAKernelTemplateIN3c108BFloat16EfLj64ELj16ELj128ELb0ELb0ELb1EEEvllPKT_S7_PKT0_SA_PS5_SB_.has_dyn_sized_stack, 0
	.set _ZN2at6native12_GLOBAL__N_135GammaBetaBackwardCUDAKernelTemplateIN3c108BFloat16EfLj64ELj16ELj128ELb0ELb0ELb1EEEvllPKT_S7_PKT0_SA_PS5_SB_.has_recursion, 0
	.set _ZN2at6native12_GLOBAL__N_135GammaBetaBackwardCUDAKernelTemplateIN3c108BFloat16EfLj64ELj16ELj128ELb0ELb0ELb1EEEvllPKT_S7_PKT0_SA_PS5_SB_.has_indirect_call, 0
	.section	.AMDGPU.csdata,"",@progbits
; Kernel info:
; codeLenInByte = 6296
; TotalNumSgprs: 52
; NumVgprs: 96
; ScratchSize: 0
; MemoryBound: 0
; FloatMode: 240
; IeeeMode: 1
; LDSByteSize: 0 bytes/workgroup (compile time only)
; SGPRBlocks: 0
; VGPRBlocks: 5
; NumSGPRsForWavesPerEU: 52
; NumVGPRsForWavesPerEU: 96
; NamedBarCnt: 0
; Occupancy: 10
; WaveLimiterHint : 0
; COMPUTE_PGM_RSRC2:SCRATCH_EN: 0
; COMPUTE_PGM_RSRC2:USER_SGPR: 2
; COMPUTE_PGM_RSRC2:TRAP_HANDLER: 0
; COMPUTE_PGM_RSRC2:TGID_X_EN: 1
; COMPUTE_PGM_RSRC2:TGID_Y_EN: 1
; COMPUTE_PGM_RSRC2:TGID_Z_EN: 0
; COMPUTE_PGM_RSRC2:TIDIG_COMP_CNT: 1
	.section	.text._ZN2at6native12_GLOBAL__N_135GammaBetaBackwardCUDAKernelTemplateIN3c108BFloat16EfLj64ELj16ELj256ELb0ELb1ELb1EEEvllPKT_S7_PKT0_SA_PS5_SB_,"axG",@progbits,_ZN2at6native12_GLOBAL__N_135GammaBetaBackwardCUDAKernelTemplateIN3c108BFloat16EfLj64ELj16ELj256ELb0ELb1ELb1EEEvllPKT_S7_PKT0_SA_PS5_SB_,comdat
	.globl	_ZN2at6native12_GLOBAL__N_135GammaBetaBackwardCUDAKernelTemplateIN3c108BFloat16EfLj64ELj16ELj256ELb0ELb1ELb1EEEvllPKT_S7_PKT0_SA_PS5_SB_ ; -- Begin function _ZN2at6native12_GLOBAL__N_135GammaBetaBackwardCUDAKernelTemplateIN3c108BFloat16EfLj64ELj16ELj256ELb0ELb1ELb1EEEvllPKT_S7_PKT0_SA_PS5_SB_
	.p2align	8
	.type	_ZN2at6native12_GLOBAL__N_135GammaBetaBackwardCUDAKernelTemplateIN3c108BFloat16EfLj64ELj16ELj256ELb0ELb1ELb1EEEvllPKT_S7_PKT0_SA_PS5_SB_,@function
_ZN2at6native12_GLOBAL__N_135GammaBetaBackwardCUDAKernelTemplateIN3c108BFloat16EfLj64ELj16ELj256ELb0ELb1ELb1EEEvllPKT_S7_PKT0_SA_PS5_SB_: ; @_ZN2at6native12_GLOBAL__N_135GammaBetaBackwardCUDAKernelTemplateIN3c108BFloat16EfLj64ELj16ELj256ELb0ELb1ELb1EEEvllPKT_S7_PKT0_SA_PS5_SB_
; %bb.0:
	s_load_b128 s[4:7], s[0:1], 0x0
	s_bfe_u32 s2, ttmp6, 0x40010
	s_bfe_u32 s3, ttmp6, 0x40004
	s_add_co_i32 s2, s2, 1
	s_getreg_b32 s20, hwreg(HW_REG_IB_STS2, 6, 4)
	s_mul_i32 s2, ttmp7, s2
	s_mov_b32 s13, 0
	s_add_co_i32 s3, s3, s2
	s_cmp_eq_u32 s20, 0
	v_bfe_u32 v9, v0, 10, 10
	s_cselect_b32 s2, ttmp7, s3
	s_delay_alu instid0(SALU_CYCLE_1)
	s_lshl_b32 s12, s2, 8
	s_wait_kmcnt 0x0
	v_cmp_gt_i64_e64 s2, s[4:5], s[12:13]
	s_and_b32 vcc_lo, exec_lo, s2
	s_cbranch_vccnz .LBB196_2
; %bb.1:
	v_bfe_u32 v1, v0, 10, 10
	s_mov_b32 s2, s13
	v_and_b32_e32 v8, 0x3ff, v0
	v_mov_b32_e32 v24, 0
	s_and_not1_b32 vcc_lo, exec_lo, s2
	s_cbranch_vccz .LBB196_3
	s_branch .LBB196_10
.LBB196_2:
                                        ; implicit-def: $vgpr1
	v_and_b32_e32 v8, 0x3ff, v0
	v_mov_b32_e32 v24, 0
.LBB196_3:
	v_dual_mov_b32 v1, 0 :: v_dual_lshlrev_b32 v0, 4, v9
	s_clause 0x1
	s_load_b32 s2, s[0:1], 0x44
	s_load_b32 s3, s[0:1], 0x4c
	s_bfe_u32 s18, ttmp6, 0x4000c
	s_clause 0x1
	s_load_b128 s[8:11], s[0:1], 0x10
	s_load_b64 s[16:17], s[0:1], 0x28
	s_add_co_i32 s18, s18, 1
	v_add_nc_u64_e32 v[2:3], s[12:13], v[0:1]
	s_and_b32 s14, ttmp6, 15
	s_mul_i32 s18, ttmp9, s18
	v_dual_mov_b32 v5, v1 :: v_dual_mov_b32 v23, v1
	s_add_co_i32 s14, s14, s18
	s_mov_b32 s15, 0
	s_delay_alu instid0(VALU_DEP_2)
	v_mul_u64_e32 v[6:7], s[6:7], v[2:3]
	v_dual_mov_b32 v0, 16 :: v_dual_mov_b32 v10, 4
	v_dual_mov_b32 v11, 8 :: v_dual_mov_b32 v12, 12
	;; [unrolled: 1-line block ×4, first 2 shown]
	s_wait_kmcnt 0x0
	s_and_b32 s3, s3, 0xffff
	s_cmp_eq_u32 s20, 0
	v_mad_u32_u24 v4, v9, s3, v8
	s_cselect_b32 s3, ttmp9, s14
	s_lshl_b32 s14, s2, 8
	v_lshl_add_u32 v22, s3, 6, v8
	s_delay_alu instid0(VALU_DEP_2) | instskip(SKIP_1) | instid1(VALU_DEP_3)
	v_dual_mov_b32 v19, 44 :: v_dual_bitop2_b32 v4, 31, v4 bitop3:0x40
	v_dual_mov_b32 v17, 36 :: v_dual_mov_b32 v18, 40
	v_lshlrev_b64_e32 v[24:25], 1, v[22:23]
	v_dual_mov_b32 v20, 48 :: v_dual_mov_b32 v21, 52
	s_delay_alu instid0(VALU_DEP_4)
	v_add_nc_u64_e32 v[2:3], v[2:3], v[4:5]
	v_dual_mov_b32 v22, 56 :: v_dual_mov_b32 v23, 60
	v_cmp_gt_u32_e64 s2, 16, v4
	s_mul_u64 s[18:19], s[6:7], s[14:15]
	s_lshl_b64 s[6:7], s[6:7], 1
	s_lshl_b64 s[18:19], s[18:19], 1
	v_lshl_add_u64 v[4:5], v[2:3], 2, s[16:17]
	s_lshl_b64 s[16:17], s[14:15], 2
	v_lshl_add_u64 v[6:7], v[6:7], 1, v[24:25]
	v_mov_b32_e32 v24, 0
	s_branch .LBB196_6
.LBB196_4:                              ;   in Loop: Header=BB196_6 Depth=1
	s_wait_xcnt 0x0
	s_or_b32 exec_lo, exec_lo, s21
.LBB196_5:                              ;   in Loop: Header=BB196_6 Depth=1
	s_delay_alu instid0(SALU_CYCLE_1)
	s_or_b32 exec_lo, exec_lo, s3
	v_add_nc_u64_e32 v[26:27], s[8:9], v[6:7]
	v_add_nc_u64_e32 v[28:29], s[10:11], v[6:7]
	s_add_nc_u64 s[12:13], s[12:13], s[14:15]
	v_add_nc_u64_e32 v[4:5], s[16:17], v[4:5]
	v_cmp_lt_i64_e64 s3, s[12:13], s[4:5]
	v_add_nc_u64_e32 v[2:3], s[14:15], v[2:3]
	v_add_nc_u64_e32 v[6:7], s[18:19], v[6:7]
	;; [unrolled: 1-line block ×4, first 2 shown]
	global_load_u16 v42, v[26:27], off
	global_load_u16 v43, v[28:29], off
	;; [unrolled: 1-line block ×4, first 2 shown]
	v_add_nc_u64_e32 v[34:35], s[6:7], v[30:31]
	v_add_nc_u64_e32 v[36:37], s[6:7], v[32:33]
	s_and_b32 vcc_lo, exec_lo, s3
	global_load_u16 v46, v[34:35], off
	global_load_u16 v47, v[36:37], off
	v_add_nc_u64_e32 v[38:39], s[6:7], v[34:35]
	v_add_nc_u64_e32 v[40:41], s[6:7], v[36:37]
	s_wait_xcnt 0x5
	s_delay_alu instid0(VALU_DEP_2) | instskip(SKIP_1) | instid1(VALU_DEP_2)
	v_add_nc_u64_e32 v[26:27], s[6:7], v[38:39]
	s_wait_xcnt 0x4
	v_add_nc_u64_e32 v[28:29], s[6:7], v[40:41]
	global_load_u16 v48, v[38:39], off
	global_load_u16 v49, v[40:41], off
	;; [unrolled: 1-line block ×4, first 2 shown]
	s_wait_xcnt 0x7
	v_add_nc_u64_e32 v[30:31], s[6:7], v[26:27]
	s_wait_xcnt 0x6
	v_add_nc_u64_e32 v[32:33], s[6:7], v[28:29]
	s_wait_xcnt 0x5
	s_delay_alu instid0(VALU_DEP_2) | instskip(SKIP_1) | instid1(VALU_DEP_2)
	v_add_nc_u64_e32 v[34:35], s[6:7], v[30:31]
	s_wait_xcnt 0x4
	v_add_nc_u64_e32 v[36:37], s[6:7], v[32:33]
	global_load_u16 v38, v[30:31], off
	global_load_u16 v39, v[32:33], off
	s_wait_xcnt 0x3
	v_add_nc_u64_e32 v[26:27], s[6:7], v[34:35]
	s_wait_xcnt 0x2
	v_add_nc_u64_e32 v[28:29], s[6:7], v[36:37]
	global_load_u16 v40, v[34:35], off
	global_load_u16 v41, v[36:37], off
	;; [unrolled: 1-line block ×3, first 2 shown]
	s_wait_xcnt 0x4
	v_add_nc_u64_e32 v[30:31], s[6:7], v[26:27]
	s_wait_xcnt 0x3
	v_add_nc_u64_e32 v[32:33], s[6:7], v[28:29]
	global_load_u16 v53, v[28:29], off
	s_wait_xcnt 0x1
	v_add_nc_u64_e32 v[26:27], s[6:7], v[30:31]
	s_wait_xcnt 0x0
	v_add_nc_u64_e32 v[28:29], s[6:7], v[32:33]
	global_load_u16 v54, v[30:31], off
	global_load_u16 v55, v[32:33], off
	;; [unrolled: 1-line block ×4, first 2 shown]
	v_add_nc_u64_e32 v[34:35], s[6:7], v[26:27]
	v_add_nc_u64_e32 v[36:37], s[6:7], v[28:29]
	s_wait_xcnt 0x1
	s_delay_alu instid0(VALU_DEP_2) | instskip(SKIP_1) | instid1(VALU_DEP_2)
	v_add_nc_u64_e32 v[26:27], s[6:7], v[34:35]
	s_wait_xcnt 0x0
	v_add_nc_u64_e32 v[28:29], s[6:7], v[36:37]
	global_load_u16 v58, v[34:35], off
	global_load_u16 v36, v[36:37], off
	s_wait_loadcnt 0x16
	s_wait_xcnt 0x1
	ds_bpermute_b32 v34, v11, v25
	global_load_u16 v37, v[26:27], off
	global_load_u16 v59, v[28:29], off
	v_add_nc_u64_e32 v[30:31], s[6:7], v[26:27]
	v_add_nc_u64_e32 v[32:33], s[6:7], v[28:29]
	ds_bpermute_b32 v35, v12, v25
	s_wait_xcnt 0x1
	v_add_nc_u64_e32 v[26:27], s[6:7], v[30:31]
	s_wait_xcnt 0x0
	v_add_nc_u64_e32 v[28:29], s[6:7], v[32:33]
	global_load_u16 v60, v[30:31], off
	global_load_u16 v61, v[32:33], off
	;; [unrolled: 1-line block ×4, first 2 shown]
	s_wait_xcnt 0x3
	v_add_nc_u64_e32 v[30:31], s[6:7], v[26:27]
	s_wait_xcnt 0x2
	v_add_nc_u64_e32 v[32:33], s[6:7], v[28:29]
	s_wait_xcnt 0x1
	s_delay_alu instid0(VALU_DEP_2) | instskip(SKIP_1) | instid1(VALU_DEP_2)
	v_add_nc_u64_e32 v[26:27], s[6:7], v[30:31]
	s_wait_xcnt 0x0
	v_add_nc_u64_e32 v[28:29], s[6:7], v[32:33]
	global_load_u16 v64, v[30:31], off
	global_load_u16 v65, v[32:33], off
	;; [unrolled: 1-line block ×4, first 2 shown]
	s_wait_xcnt 0x1
	ds_bpermute_b32 v26, v1, v25
	s_wait_xcnt 0x0
	ds_bpermute_b32 v28, v10, v25
	s_wait_loadcnt 0x1e
	v_dual_lshlrev_b32 v27, 16, v42 :: v_dual_lshlrev_b32 v29, 16, v43
	s_wait_loadcnt 0x1d
	s_delay_alu instid0(VALU_DEP_1) | instskip(SKIP_1) | instid1(VALU_DEP_1)
	v_dual_mul_f32 v27, v27, v29 :: v_dual_lshlrev_b32 v29, 16, v44
	s_wait_loadcnt_dscnt 0x1c01
	v_dual_lshlrev_b32 v30, 16, v45 :: v_dual_fmac_f32 v24, v27, v26
	ds_bpermute_b32 v26, v0, v25
	ds_bpermute_b32 v27, v13, v25
	s_wait_loadcnt 0x1a
	v_dual_mul_f32 v29, v29, v30 :: v_dual_lshlrev_b32 v31, 16, v47
	s_wait_dscnt 0x2
	s_delay_alu instid0(VALU_DEP_1)
	v_dual_lshlrev_b32 v30, 16, v46 :: v_dual_fmac_f32 v24, v29, v28
	ds_bpermute_b32 v28, v14, v25
	ds_bpermute_b32 v29, v15, v25
	s_wait_loadcnt 0x19
	v_dual_mul_f32 v42, v30, v31 :: v_dual_lshlrev_b32 v43, 16, v48
	s_wait_loadcnt 0x17
	v_dual_lshlrev_b32 v44, 16, v49 :: v_dual_lshlrev_b32 v30, 16, v50
	s_wait_loadcnt 0x16
	s_delay_alu instid0(VALU_DEP_2) | instskip(NEXT) | instid1(VALU_DEP_2)
	v_dual_lshlrev_b32 v32, 16, v51 :: v_dual_fmac_f32 v24, v42, v34
	v_mul_f32_e32 v34, v43, v44
	s_wait_loadcnt 0x15
	s_delay_alu instid0(VALU_DEP_1) | instskip(SKIP_2) | instid1(VALU_DEP_1)
	v_dual_fmac_f32 v24, v34, v35 :: v_dual_lshlrev_b32 v31, 16, v38
	s_wait_loadcnt 0x14
	v_lshlrev_b32_e32 v33, 16, v39
	v_pk_mul_f32 v[30:31], v[30:31], v[32:33]
	s_wait_loadcnt 0x12
	v_dual_lshlrev_b32 v32, 16, v40 :: v_dual_lshlrev_b32 v34, 16, v41
	s_wait_loadcnt 0x11
	v_lshlrev_b32_e32 v33, 16, v52
	s_wait_dscnt 0x2
	v_pk_mul_f32 v[26:27], v[30:31], v[26:27]
	ds_bpermute_b32 v30, v16, v25
	ds_bpermute_b32 v31, v17, v25
	s_wait_loadcnt 0x10
	v_dual_add_f32 v24, v24, v26 :: v_dual_lshlrev_b32 v35, 16, v53
	ds_bpermute_b32 v26, v18, v25
	v_pk_mul_f32 v[32:33], v[32:33], v[34:35]
	s_wait_loadcnt 0xd
	v_dual_lshlrev_b32 v34, 16, v54 :: v_dual_lshlrev_b32 v35, 16, v56
	s_wait_dscnt 0x3
	s_delay_alu instid0(VALU_DEP_2)
	v_pk_mul_f32 v[28:29], v[32:33], v[28:29]
	v_lshlrev_b32_e32 v32, 16, v55
	s_wait_loadcnt 0xc
	v_dual_add_f32 v24, v24, v27 :: v_dual_lshlrev_b32 v33, 16, v57
	ds_bpermute_b32 v27, v19, v25
	v_add_f32_e32 v24, v24, v28
	v_pk_mul_f32 v[32:33], v[34:35], v[32:33]
	s_wait_loadcnt 0xb
	s_delay_alu instid0(VALU_DEP_2)
	v_dual_lshlrev_b32 v28, 16, v58 :: v_dual_add_f32 v24, v24, v29
	s_wait_loadcnt 0xa
	v_lshlrev_b32_e32 v34, 16, v36
	s_wait_dscnt 0x2
	v_pk_mul_f32 v[30:31], v[32:33], v[30:31]
	s_wait_loadcnt 0x8
	v_dual_lshlrev_b32 v29, 16, v37 :: v_dual_lshlrev_b32 v35, 16, v59
	ds_bpermute_b32 v32, v20, v25
	ds_bpermute_b32 v33, v21, v25
	v_add_f32_e32 v30, v24, v30
	ds_bpermute_b32 v24, v22, v25
	v_pk_mul_f32 v[28:29], v[28:29], v[34:35]
	ds_bpermute_b32 v25, v23, v25
	s_wait_dscnt 0x4
	v_pk_mul_f32 v[26:27], v[28:29], v[26:27]
	s_wait_loadcnt 0x6
	v_dual_lshlrev_b32 v28, 16, v61 :: v_dual_add_f32 v34, v30, v31
	s_wait_loadcnt 0x5
	v_dual_lshlrev_b32 v30, 16, v60 :: v_dual_lshlrev_b32 v31, 16, v62
	s_wait_loadcnt 0x4
	s_delay_alu instid0(VALU_DEP_2) | instskip(NEXT) | instid1(VALU_DEP_1)
	v_dual_add_f32 v26, v34, v26 :: v_dual_lshlrev_b32 v29, 16, v63
	v_pk_mul_f32 v[28:29], v[30:31], v[28:29]
	s_wait_dscnt 0x2
	s_delay_alu instid0(VALU_DEP_1)
	v_pk_mul_f32 v[28:29], v[28:29], v[32:33]
	s_wait_loadcnt 0x2
	v_dual_lshlrev_b32 v30, 16, v65 :: v_dual_add_f32 v34, v26, v27
	s_wait_loadcnt 0x1
	v_dual_lshlrev_b32 v26, 16, v64 :: v_dual_lshlrev_b32 v27, 16, v66
	s_wait_loadcnt 0x0
	v_lshlrev_b32_e32 v31, 16, v67
	s_delay_alu instid0(VALU_DEP_1) | instskip(SKIP_1) | instid1(VALU_DEP_1)
	v_pk_mul_f32 v[26:27], v[26:27], v[30:31]
	s_wait_dscnt 0x0
	v_pk_mul_f32 v[24:25], v[26:27], v[24:25]
	v_add_f32_e32 v28, v34, v28
	s_delay_alu instid0(VALU_DEP_1) | instskip(NEXT) | instid1(VALU_DEP_1)
	v_add_f32_e32 v28, v28, v29
	v_add_f32_e32 v24, v28, v24
	s_delay_alu instid0(VALU_DEP_1)
	v_add_f32_e32 v24, v24, v25
	s_cbranch_vccz .LBB196_9
.LBB196_6:                              ; =>This Inner Loop Header: Depth=1
	v_mov_b32_e32 v25, 0
	s_and_saveexec_b32 s3, s2
	s_cbranch_execz .LBB196_5
; %bb.7:                                ;   in Loop: Header=BB196_6 Depth=1
	v_mov_b32_e32 v25, 0
	s_mov_b32 s21, exec_lo
	v_cmpx_gt_i64_e64 s[4:5], v[2:3]
	s_cbranch_execz .LBB196_4
; %bb.8:                                ;   in Loop: Header=BB196_6 Depth=1
	global_load_b32 v25, v[4:5], off
	s_branch .LBB196_4
.LBB196_9:
	v_mov_b32_e32 v1, v9
.LBB196_10:
	s_load_b64 s[2:3], s[0:1], 0x30
	s_delay_alu instid0(VALU_DEP_1) | instskip(SKIP_3) | instid1(VALU_DEP_2)
	v_mad_u32_u24 v0, 0x41, v1, v8
	v_mov_b32_e32 v3, 0
	s_wait_xcnt 0x0
	s_mov_b32 s0, exec_lo
	v_lshl_add_u32 v2, v0, 2, 0
	v_sub_nc_u32_e32 v1, v0, v1
	ds_store_b32 v2, v24
	ds_store_b32 v2, v3 offset:4160
	s_wait_dscnt 0x0
	s_barrier_signal -1
	s_barrier_wait -1
	v_cmpx_gt_u32_e32 0x800, v1
	s_cbranch_execz .LBB196_20
; %bb.11:
	v_dual_lshrrev_b32 v0, 5, v1 :: v_dual_bitop2_b32 v2, 31, v8 bitop3:0x40
                                        ; implicit-def: $vgpr5
	s_delay_alu instid0(VALU_DEP_1)
	v_cmp_gt_u32_e32 vcc_lo, 16, v2
	v_mul_u32_u24_e32 v2, 0x41, v2
	s_and_saveexec_b32 s0, vcc_lo
; %bb.12:
	s_delay_alu instid0(VALU_DEP_1) | instskip(NEXT) | instid1(VALU_DEP_1)
	v_dual_lshlrev_b32 v3, 2, v0 :: v_dual_lshlrev_b32 v4, 2, v2
	v_add3_u32 v3, 0, v3, v4
	ds_load_b32 v5, v3
; %bb.13:
	s_or_b32 exec_lo, exec_lo, s0
	v_mbcnt_lo_u32_b32 v6, -1, 0
	s_wait_kmcnt 0x0
	s_cmp_lg_u64 s[2:3], 0
	s_cselect_b32 s1, -1, 0
	s_bfe_u32 s4, ttmp6, 0x4000c
	v_xor_b32_e32 v4, 4, v6
	v_xor_b32_e32 v3, 8, v6
	s_add_co_i32 s4, s4, 1
	s_and_b32 s5, ttmp6, 15
	s_mul_i32 s4, ttmp9, s4
	v_xor_b32_e32 v10, 1, v6
	v_cmp_gt_i32_e64 s0, 32, v3
	s_delay_alu instid0(VALU_DEP_1) | instskip(SKIP_1) | instid1(VALU_DEP_1)
	v_cndmask_b32_e64 v3, v6, v3, s0
	v_cmp_gt_i32_e64 s0, 32, v4
	v_cndmask_b32_e64 v4, v6, v4, s0
	s_delay_alu instid0(VALU_DEP_1)
	v_dual_lshlrev_b32 v4, 2, v4 :: v_dual_lshlrev_b32 v3, 2, v3
	s_wait_dscnt 0x0
	ds_bpermute_b32 v7, v3, v5
	s_wait_dscnt 0x0
	v_dual_add_f32 v7, v5, v7 :: v_dual_bitop2_b32 v5, 2, v6 bitop3:0x14
	ds_bpermute_b32 v9, v4, v7
	v_cmp_gt_i32_e64 s0, 32, v5
	s_delay_alu instid0(VALU_DEP_1) | instskip(SKIP_1) | instid1(VALU_DEP_1)
	v_cndmask_b32_e64 v5, v6, v5, s0
	v_cmp_gt_i32_e64 s0, 32, v10
	v_dual_lshlrev_b32 v5, 2, v5 :: v_dual_cndmask_b32 v6, v6, v10, s0
	v_cmp_eq_u32_e64 s0, 0, v8
	s_delay_alu instid0(VALU_DEP_2)
	v_lshlrev_b32_e32 v6, 2, v6
	s_and_b32 s1, s0, s1
	s_add_co_i32 s0, s5, s4
	s_wait_dscnt 0x0
	v_add_f32_e32 v7, v7, v9
	s_cmp_eq_u32 s20, 0
	s_mov_b32 s5, 0
	s_cselect_b32 s4, ttmp9, s0
	ds_bpermute_b32 v9, v5, v7
	s_lshl_b64 s[4:5], s[4:5], 7
	s_delay_alu instid0(SALU_CYCLE_1)
	s_add_nc_u64 s[2:3], s[2:3], s[4:5]
	s_wait_dscnt 0x0
	v_add_f32_e32 v7, v7, v9
	ds_bpermute_b32 v9, v6, v7
	s_wait_dscnt 0x0
	v_add_f32_e32 v7, v7, v9
	s_and_saveexec_b32 s4, s1
	s_cbranch_execz .LBB196_15
; %bb.14:
	s_delay_alu instid0(VALU_DEP_1) | instskip(SKIP_1) | instid1(VALU_DEP_2)
	v_bfe_u32 v8, v7, 16, 1
	v_cmp_o_f32_e64 s0, v7, v7
	v_add3_u32 v8, v7, v8, 0x7fff
	s_delay_alu instid0(VALU_DEP_1) | instskip(NEXT) | instid1(VALU_DEP_1)
	v_lshrrev_b32_e32 v8, 16, v8
	v_cndmask_b32_e64 v8, 0x7fc0, v8, s0
	global_store_b16 v0, v8, s[2:3] scale_offset
.LBB196_15:
	s_wait_xcnt 0x0
	s_or_b32 exec_lo, exec_lo, s4
	v_cmp_gt_u32_e64 s0, 0x400, v1
	s_and_b32 exec_lo, exec_lo, s0
	s_cbranch_execz .LBB196_20
; %bb.16:
	s_and_saveexec_b32 s0, vcc_lo
; %bb.17:
	v_dual_lshlrev_b32 v1, 2, v0 :: v_dual_lshlrev_b32 v2, 2, v2
	s_delay_alu instid0(VALU_DEP_1)
	v_add3_u32 v1, 0, v1, v2
	ds_load_b32 v7, v1 offset:128
; %bb.18:
	s_or_b32 exec_lo, exec_lo, s0
	s_wait_dscnt 0x0
	ds_bpermute_b32 v1, v3, v7
	s_wait_dscnt 0x0
	v_add_f32_e32 v1, v7, v1
	ds_bpermute_b32 v2, v4, v1
	s_wait_dscnt 0x0
	v_add_f32_e32 v1, v1, v2
	;; [unrolled: 3-line block ×3, first 2 shown]
	ds_bpermute_b32 v2, v6, v1
	s_and_saveexec_b32 s0, s1
	s_delay_alu instid0(SALU_CYCLE_1)
	s_xor_b32 s0, exec_lo, s0
	s_cbranch_execz .LBB196_20
; %bb.19:
	s_wait_dscnt 0x0
	v_add_f32_e32 v1, v1, v2
	s_delay_alu instid0(VALU_DEP_1) | instskip(NEXT) | instid1(VALU_DEP_1)
	v_bfe_u32 v2, v1, 16, 1
	v_add3_u32 v2, v1, v2, 0x7fff
	s_delay_alu instid0(VALU_DEP_1) | instskip(SKIP_1) | instid1(VALU_DEP_2)
	v_lshrrev_b32_e32 v2, 16, v2
	v_cmp_o_f32_e32 vcc_lo, v1, v1
	v_cndmask_b32_e32 v1, 0x7fc0, v2, vcc_lo
	global_store_b16 v0, v1, s[2:3] offset:64 scale_offset
.LBB196_20:
	s_sendmsg sendmsg(MSG_DEALLOC_VGPRS)
	s_endpgm
	.section	.rodata,"a",@progbits
	.p2align	6, 0x0
	.amdhsa_kernel _ZN2at6native12_GLOBAL__N_135GammaBetaBackwardCUDAKernelTemplateIN3c108BFloat16EfLj64ELj16ELj256ELb0ELb1ELb1EEEvllPKT_S7_PKT0_SA_PS5_SB_
		.amdhsa_group_segment_fixed_size 0
		.amdhsa_private_segment_fixed_size 0
		.amdhsa_kernarg_size 320
		.amdhsa_user_sgpr_count 2
		.amdhsa_user_sgpr_dispatch_ptr 0
		.amdhsa_user_sgpr_queue_ptr 0
		.amdhsa_user_sgpr_kernarg_segment_ptr 1
		.amdhsa_user_sgpr_dispatch_id 0
		.amdhsa_user_sgpr_kernarg_preload_length 0
		.amdhsa_user_sgpr_kernarg_preload_offset 0
		.amdhsa_user_sgpr_private_segment_size 0
		.amdhsa_wavefront_size32 1
		.amdhsa_uses_dynamic_stack 0
		.amdhsa_enable_private_segment 0
		.amdhsa_system_sgpr_workgroup_id_x 1
		.amdhsa_system_sgpr_workgroup_id_y 1
		.amdhsa_system_sgpr_workgroup_id_z 0
		.amdhsa_system_sgpr_workgroup_info 0
		.amdhsa_system_vgpr_workitem_id 1
		.amdhsa_next_free_vgpr 68
		.amdhsa_next_free_sgpr 22
		.amdhsa_named_barrier_count 0
		.amdhsa_reserve_vcc 1
		.amdhsa_float_round_mode_32 0
		.amdhsa_float_round_mode_16_64 0
		.amdhsa_float_denorm_mode_32 3
		.amdhsa_float_denorm_mode_16_64 3
		.amdhsa_fp16_overflow 0
		.amdhsa_memory_ordered 1
		.amdhsa_forward_progress 1
		.amdhsa_inst_pref_size 20
		.amdhsa_round_robin_scheduling 0
		.amdhsa_exception_fp_ieee_invalid_op 0
		.amdhsa_exception_fp_denorm_src 0
		.amdhsa_exception_fp_ieee_div_zero 0
		.amdhsa_exception_fp_ieee_overflow 0
		.amdhsa_exception_fp_ieee_underflow 0
		.amdhsa_exception_fp_ieee_inexact 0
		.amdhsa_exception_int_div_zero 0
	.end_amdhsa_kernel
	.section	.text._ZN2at6native12_GLOBAL__N_135GammaBetaBackwardCUDAKernelTemplateIN3c108BFloat16EfLj64ELj16ELj256ELb0ELb1ELb1EEEvllPKT_S7_PKT0_SA_PS5_SB_,"axG",@progbits,_ZN2at6native12_GLOBAL__N_135GammaBetaBackwardCUDAKernelTemplateIN3c108BFloat16EfLj64ELj16ELj256ELb0ELb1ELb1EEEvllPKT_S7_PKT0_SA_PS5_SB_,comdat
.Lfunc_end196:
	.size	_ZN2at6native12_GLOBAL__N_135GammaBetaBackwardCUDAKernelTemplateIN3c108BFloat16EfLj64ELj16ELj256ELb0ELb1ELb1EEEvllPKT_S7_PKT0_SA_PS5_SB_, .Lfunc_end196-_ZN2at6native12_GLOBAL__N_135GammaBetaBackwardCUDAKernelTemplateIN3c108BFloat16EfLj64ELj16ELj256ELb0ELb1ELb1EEEvllPKT_S7_PKT0_SA_PS5_SB_
                                        ; -- End function
	.set _ZN2at6native12_GLOBAL__N_135GammaBetaBackwardCUDAKernelTemplateIN3c108BFloat16EfLj64ELj16ELj256ELb0ELb1ELb1EEEvllPKT_S7_PKT0_SA_PS5_SB_.num_vgpr, 68
	.set _ZN2at6native12_GLOBAL__N_135GammaBetaBackwardCUDAKernelTemplateIN3c108BFloat16EfLj64ELj16ELj256ELb0ELb1ELb1EEEvllPKT_S7_PKT0_SA_PS5_SB_.num_agpr, 0
	.set _ZN2at6native12_GLOBAL__N_135GammaBetaBackwardCUDAKernelTemplateIN3c108BFloat16EfLj64ELj16ELj256ELb0ELb1ELb1EEEvllPKT_S7_PKT0_SA_PS5_SB_.numbered_sgpr, 22
	.set _ZN2at6native12_GLOBAL__N_135GammaBetaBackwardCUDAKernelTemplateIN3c108BFloat16EfLj64ELj16ELj256ELb0ELb1ELb1EEEvllPKT_S7_PKT0_SA_PS5_SB_.num_named_barrier, 0
	.set _ZN2at6native12_GLOBAL__N_135GammaBetaBackwardCUDAKernelTemplateIN3c108BFloat16EfLj64ELj16ELj256ELb0ELb1ELb1EEEvllPKT_S7_PKT0_SA_PS5_SB_.private_seg_size, 0
	.set _ZN2at6native12_GLOBAL__N_135GammaBetaBackwardCUDAKernelTemplateIN3c108BFloat16EfLj64ELj16ELj256ELb0ELb1ELb1EEEvllPKT_S7_PKT0_SA_PS5_SB_.uses_vcc, 1
	.set _ZN2at6native12_GLOBAL__N_135GammaBetaBackwardCUDAKernelTemplateIN3c108BFloat16EfLj64ELj16ELj256ELb0ELb1ELb1EEEvllPKT_S7_PKT0_SA_PS5_SB_.uses_flat_scratch, 0
	.set _ZN2at6native12_GLOBAL__N_135GammaBetaBackwardCUDAKernelTemplateIN3c108BFloat16EfLj64ELj16ELj256ELb0ELb1ELb1EEEvllPKT_S7_PKT0_SA_PS5_SB_.has_dyn_sized_stack, 0
	.set _ZN2at6native12_GLOBAL__N_135GammaBetaBackwardCUDAKernelTemplateIN3c108BFloat16EfLj64ELj16ELj256ELb0ELb1ELb1EEEvllPKT_S7_PKT0_SA_PS5_SB_.has_recursion, 0
	.set _ZN2at6native12_GLOBAL__N_135GammaBetaBackwardCUDAKernelTemplateIN3c108BFloat16EfLj64ELj16ELj256ELb0ELb1ELb1EEEvllPKT_S7_PKT0_SA_PS5_SB_.has_indirect_call, 0
	.section	.AMDGPU.csdata,"",@progbits
; Kernel info:
; codeLenInByte = 2504
; TotalNumSgprs: 24
; NumVgprs: 68
; ScratchSize: 0
; MemoryBound: 0
; FloatMode: 240
; IeeeMode: 1
; LDSByteSize: 0 bytes/workgroup (compile time only)
; SGPRBlocks: 0
; VGPRBlocks: 4
; NumSGPRsForWavesPerEU: 24
; NumVGPRsForWavesPerEU: 68
; NamedBarCnt: 0
; Occupancy: 12
; WaveLimiterHint : 0
; COMPUTE_PGM_RSRC2:SCRATCH_EN: 0
; COMPUTE_PGM_RSRC2:USER_SGPR: 2
; COMPUTE_PGM_RSRC2:TRAP_HANDLER: 0
; COMPUTE_PGM_RSRC2:TGID_X_EN: 1
; COMPUTE_PGM_RSRC2:TGID_Y_EN: 1
; COMPUTE_PGM_RSRC2:TGID_Z_EN: 0
; COMPUTE_PGM_RSRC2:TIDIG_COMP_CNT: 1
	.section	.text._ZN2at6native12_GLOBAL__N_135GammaBetaBackwardCUDAKernelTemplateIN3c108BFloat16EfLj64ELj16ELj256ELb0ELb0ELb1EEEvllPKT_S7_PKT0_SA_PS5_SB_,"axG",@progbits,_ZN2at6native12_GLOBAL__N_135GammaBetaBackwardCUDAKernelTemplateIN3c108BFloat16EfLj64ELj16ELj256ELb0ELb0ELb1EEEvllPKT_S7_PKT0_SA_PS5_SB_,comdat
	.globl	_ZN2at6native12_GLOBAL__N_135GammaBetaBackwardCUDAKernelTemplateIN3c108BFloat16EfLj64ELj16ELj256ELb0ELb0ELb1EEEvllPKT_S7_PKT0_SA_PS5_SB_ ; -- Begin function _ZN2at6native12_GLOBAL__N_135GammaBetaBackwardCUDAKernelTemplateIN3c108BFloat16EfLj64ELj16ELj256ELb0ELb0ELb1EEEvllPKT_S7_PKT0_SA_PS5_SB_
	.p2align	8
	.type	_ZN2at6native12_GLOBAL__N_135GammaBetaBackwardCUDAKernelTemplateIN3c108BFloat16EfLj64ELj16ELj256ELb0ELb0ELb1EEEvllPKT_S7_PKT0_SA_PS5_SB_,@function
_ZN2at6native12_GLOBAL__N_135GammaBetaBackwardCUDAKernelTemplateIN3c108BFloat16EfLj64ELj16ELj256ELb0ELb0ELb1EEEvllPKT_S7_PKT0_SA_PS5_SB_: ; @_ZN2at6native12_GLOBAL__N_135GammaBetaBackwardCUDAKernelTemplateIN3c108BFloat16EfLj64ELj16ELj256ELb0ELb0ELb1EEEvllPKT_S7_PKT0_SA_PS5_SB_
; %bb.0:
	s_load_b256 s[4:11], s[0:1], 0x0
	s_bfe_u32 s3, ttmp6, 0x4000c
	s_bfe_u32 s12, ttmp6, 0x40010
	s_add_co_i32 s3, s3, 1
	s_add_co_i32 s12, s12, 1
	s_and_b32 s2, ttmp6, 15
	s_bfe_u32 s13, ttmp6, 0x40004
	s_mul_i32 s3, ttmp9, s3
	s_mul_i32 s12, ttmp7, s12
	s_getreg_b32 s14, hwreg(HW_REG_IB_STS2, 6, 4)
	s_add_co_i32 s2, s2, s3
	s_add_co_i32 s13, s13, s12
	s_cmp_eq_u32 s14, 0
	s_mov_b32 s17, 0
	s_cselect_b32 s12, ttmp9, s2
	s_cselect_b32 s2, ttmp7, s13
	s_lshl_b32 s13, s12, 6
	s_load_b64 s[14:15], s[0:1], 0x28
	s_or_b32 s16, s13, 63
	s_wait_kmcnt 0x0
	v_cmp_le_i64_e64 s18, s[6:7], s[16:17]
	s_lshl_b32 s16, s2, 8
	s_delay_alu instid0(SALU_CYCLE_1) | instskip(SKIP_2) | instid1(VALU_DEP_1)
	v_cmp_gt_i64_e64 s3, s[4:5], s[16:17]
	s_and_b32 vcc_lo, exec_lo, s18
	v_cndmask_b32_e64 v1, 0, 1, s3
	v_cmp_ne_u32_e64 s2, 1, v1
	s_cbranch_vccz .LBB197_81
; %bb.1:
	v_mov_b32_e32 v3, 0
	s_and_b32 vcc_lo, exec_lo, s2
	s_cbranch_vccnz .LBB197_83
; %bb.2:
	v_bfe_u32 v104, v0, 10, 10
	v_mov_b32_e32 v2, 0
	v_and_b32_e32 v105, 0x3ff, v0
	s_load_b32 s18, s[0:1], 0x44
	s_mov_b32 s19, 0
	s_delay_alu instid0(VALU_DEP_2) | instskip(NEXT) | instid1(VALU_DEP_2)
	v_dual_mov_b32 v113, v2 :: v_dual_lshlrev_b32 v112, 4, v104
	v_dual_mov_b32 v1, v0 :: v_dual_add_nc_u32 v22, s13, v105
	v_mov_b32_e32 v23, v2
	s_mov_b32 s23, s19
	s_delay_alu instid0(VALU_DEP_3)
	v_add_nc_u64_e32 v[6:7], s[16:17], v[112:113]
	v_mov_b32_e32 v106, 0
	s_add_nc_u64 s[20:21], s[0:1], 64
	v_cmp_gt_i64_e64 s2, s[6:7], v[22:23]
	v_lshlrev_b64_e32 v[36:37], 1, v[22:23]
	s_mov_b64 s[24:25], 0xffffffffffffff01
	s_mov_b64 s[26:27], 0xffffffffffffff02
	v_add_nc_u64_e32 v[8:9], 15, v[6:7]
	v_add_nc_u64_e32 v[10:11], 14, v[6:7]
	;; [unrolled: 1-line block ×6, first 2 shown]
	v_mul_u64_e32 v[4:5], s[6:7], v[6:7]
	v_mul_u64_e32 v[8:9], s[6:7], v[8:9]
	;; [unrolled: 1-line block ×4, first 2 shown]
	v_add_nc_u64_e32 v[14:15], 12, v[6:7]
	v_add_nc_u64_e32 v[16:17], 11, v[6:7]
	;; [unrolled: 1-line block ×5, first 2 shown]
	v_mul_u64_e32 v[24:25], s[6:7], v[24:25]
	v_add_nc_u64_e32 v[32:33], 4, v[6:7]
	v_mul_u64_e32 v[26:27], s[6:7], v[26:27]
	v_add_nc_u64_e32 v[34:35], 3, v[6:7]
	v_add_nc_u64_e32 v[6:7], 2, v[6:7]
	v_mul_u64_e32 v[28:29], s[6:7], v[28:29]
	v_mul_u64_e32 v[14:15], s[6:7], v[14:15]
	;; [unrolled: 1-line block ×9, first 2 shown]
	s_wait_kmcnt 0x0
	s_lshl_b32 s22, s18, 8
	s_mov_b64 s[28:29], 0xffffffffffffff03
	s_mul_u64 s[58:59], s[6:7], s[22:23]
	s_mov_b64 s[30:31], 0xffffffffffffff04
	s_mov_b64 s[34:35], 0xffffffffffffff05
	;; [unrolled: 1-line block ×6, first 2 shown]
	v_lshlrev_b64_e32 v[40:41], 1, v[4:5]
	v_lshlrev_b64_e32 v[8:9], 1, v[8:9]
	;; [unrolled: 1-line block ×4, first 2 shown]
	v_add_nc_u64_e32 v[4:5], s[6:7], v[4:5]
	s_mov_b64 s[44:45], 0xffffffffffffff0a
	s_mov_b64 s[46:47], 0xffffffffffffff0b
	v_add_nc_u64_e32 v[38:39], s[8:9], v[40:41]
	v_add_nc_u64_e32 v[42:43], s[8:9], v[8:9]
	;; [unrolled: 1-line block ×7, first 2 shown]
	v_lshlrev_b64_e32 v[8:9], 1, v[24:25]
	v_lshlrev_b64_e32 v[10:11], 1, v[26:27]
	;; [unrolled: 1-line block ×7, first 2 shown]
	v_add_nc_u64_e32 v[70:71], s[8:9], v[8:9]
	v_add_nc_u64_e32 v[72:73], s[10:11], v[8:9]
	;; [unrolled: 1-line block ×3, first 2 shown]
	v_lshlrev_b64_e32 v[8:9], 1, v[22:23]
	v_add_nc_u64_e32 v[76:77], s[10:11], v[10:11]
	v_add_nc_u64_e32 v[78:79], s[8:9], v[12:13]
	v_lshlrev_b64_e32 v[10:11], 1, v[30:31]
	v_add_nc_u64_e32 v[80:81], s[10:11], v[12:13]
	v_lshlrev_b64_e32 v[12:13], 1, v[32:33]
	v_lshlrev_b64_e32 v[6:7], 1, v[6:7]
	;; [unrolled: 1-line block ×3, first 2 shown]
	v_add_nc_u64_e32 v[40:41], s[10:11], v[40:41]
	v_add_nc_u64_e32 v[54:55], s[8:9], v[14:15]
	;; [unrolled: 1-line block ×19, first 2 shown]
	s_mov_b64 s[48:49], 0xffffffffffffff0c
	s_mov_b64 s[50:51], 0xffffffffffffff0d
	;; [unrolled: 1-line block ×5, first 2 shown]
	s_lshl_b64 s[58:59], s[58:59], 1
	s_add_nc_u64 s[60:61], s[16:17], 0xff
	s_mov_b64 s[62:63], s[16:17]
.LBB197_3:                              ; =>This Inner Loop Header: Depth=1
	v_cmp_ge_i64_e64 s18, s[60:61], s[4:5]
	v_add_nc_u64_e32 v[102:103], s[60:61], v[112:113]
                                        ; implicit-def: $vgpr4_vgpr5_vgpr6_vgpr7_vgpr8_vgpr9_vgpr10_vgpr11_vgpr12_vgpr13_vgpr14_vgpr15_vgpr16_vgpr17_vgpr18_vgpr19
                                        ; implicit-def: $vgpr3
                                        ; implicit-def: $vgpr20_vgpr21_vgpr22_vgpr23_vgpr24_vgpr25_vgpr26_vgpr27_vgpr28_vgpr29_vgpr30_vgpr31_vgpr32_vgpr33_vgpr34_vgpr35
                                        ; implicit-def: $vgpr4
	s_and_b32 vcc_lo, exec_lo, s18
	s_mov_b32 s18, -1
	s_cbranch_vccz .LBB197_41
; %bb.4:                                ;   in Loop: Header=BB197_3 Depth=1
	s_load_b32 s18, s[20:21], 0xc
	v_mov_b32_e32 v107, 0
	s_wait_kmcnt 0x0
	s_and_b32 s18, s18, 0xffff
	s_delay_alu instid0(SALU_CYCLE_1) | instskip(SKIP_1) | instid1(VALU_DEP_1)
	v_mad_u32_u24 v3, v104, s18, v105
	s_mov_b32 s18, exec_lo
	v_and_b32_e32 v4, 31, v3
	s_delay_alu instid0(VALU_DEP_1)
	v_cmpx_gt_u32_e32 16, v4
	s_cbranch_execz .LBB197_8
; %bb.5:                                ;   in Loop: Header=BB197_3 Depth=1
	v_dual_mov_b32 v5, v2 :: v_dual_mov_b32 v107, 0
	s_mov_b32 s33, exec_lo
	s_delay_alu instid0(VALU_DEP_1) | instskip(NEXT) | instid1(VALU_DEP_1)
	v_add_nc_u64_e32 v[4:5], v[102:103], v[4:5]
	v_add_nc_u64_e32 v[4:5], s[24:25], v[4:5]
	s_delay_alu instid0(VALU_DEP_1)
	v_cmpx_gt_i64_e64 s[4:5], v[4:5]
	s_cbranch_execz .LBB197_7
; %bb.6:                                ;   in Loop: Header=BB197_3 Depth=1
	v_lshl_add_u64 v[4:5], v[4:5], 2, s[14:15]
	global_load_b32 v107, v[4:5], off
.LBB197_7:                              ;   in Loop: Header=BB197_3 Depth=1
	s_wait_xcnt 0x0
	s_or_b32 exec_lo, exec_lo, s33
.LBB197_8:                              ;   in Loop: Header=BB197_3 Depth=1
	s_delay_alu instid0(SALU_CYCLE_1)
	s_or_b32 exec_lo, exec_lo, s18
	v_add_nc_u64_e32 v[18:19], s[24:25], v[102:103]
	v_dual_mov_b32 v15, v2 :: v_dual_mov_b32 v16, v2
	v_dual_mov_b32 v17, v2 :: v_dual_mov_b32 v3, v2
	;; [unrolled: 1-line block ×7, first 2 shown]
	v_mov_b32_e32 v14, v2
	v_cmp_gt_i64_e32 vcc_lo, s[4:5], v[18:19]
	v_mov_b64_e32 v[34:35], v[16:17]
	v_mov_b64_e32 v[28:29], v[10:11]
	;; [unrolled: 1-line block ×16, first 2 shown]
	s_and_b32 s33, s2, vcc_lo
	s_delay_alu instid0(SALU_CYCLE_1)
	s_and_saveexec_b32 s18, s33
	s_cbranch_execz .LBB197_10
; %bb.9:                                ;   in Loop: Header=BB197_3 Depth=1
	v_add_nc_u64_e32 v[4:5], v[38:39], v[36:37]
	v_add_nc_u64_e32 v[6:7], v[40:41], v[36:37]
	v_dual_mov_b32 v9, v2 :: v_dual_mov_b32 v10, v2
	v_dual_mov_b32 v11, v2 :: v_dual_mov_b32 v12, v2
	;; [unrolled: 1-line block ×3, first 2 shown]
	global_load_u16 v3, v[4:5], off
	global_load_u16 v20, v[6:7], off
	s_wait_xcnt 0x0
	v_dual_mov_b32 v5, v2 :: v_dual_mov_b32 v6, v2
	v_dual_mov_b32 v7, v2 :: v_dual_mov_b32 v8, v2
	;; [unrolled: 1-line block ×12, first 2 shown]
	s_wait_loadcnt 0x0
	v_dual_lshlrev_b32 v4, 16, v3 :: v_dual_lshlrev_b32 v20, 16, v20
.LBB197_10:                             ;   in Loop: Header=BB197_3 Depth=1
	s_or_b32 exec_lo, exec_lo, s18
	v_add_nc_u64_e32 v[108:109], s[26:27], v[102:103]
	s_delay_alu instid0(VALU_DEP_1) | instskip(SKIP_1) | instid1(SALU_CYCLE_1)
	v_cmp_gt_i64_e32 vcc_lo, s[4:5], v[108:109]
	s_and_b32 s33, s2, vcc_lo
	s_and_saveexec_b32 s18, s33
	s_cbranch_execz .LBB197_12
; %bb.11:                               ;   in Loop: Header=BB197_3 Depth=1
	v_add_nc_u64_e32 v[108:109], v[98:99], v[36:37]
	v_add_nc_u64_e32 v[110:111], v[100:101], v[36:37]
	global_load_u16 v3, v[108:109], off
	global_load_u16 v21, v[110:111], off
	s_wait_loadcnt 0x0
	v_dual_lshlrev_b32 v5, 16, v3 :: v_dual_lshlrev_b32 v21, 16, v21
.LBB197_12:                             ;   in Loop: Header=BB197_3 Depth=1
	s_or_b32 exec_lo, exec_lo, s18
	v_add_nc_u64_e32 v[108:109], s[28:29], v[102:103]
	s_delay_alu instid0(VALU_DEP_1) | instskip(SKIP_1) | instid1(SALU_CYCLE_1)
	v_cmp_gt_i64_e32 vcc_lo, s[4:5], v[108:109]
	s_and_b32 s33, s2, vcc_lo
	s_and_saveexec_b32 s18, s33
	s_cbranch_execz .LBB197_14
; %bb.13:                               ;   in Loop: Header=BB197_3 Depth=1
	v_add_nc_u64_e32 v[108:109], v[94:95], v[36:37]
	v_add_nc_u64_e32 v[110:111], v[96:97], v[36:37]
	global_load_u16 v3, v[108:109], off
	global_load_u16 v22, v[110:111], off
	s_wait_loadcnt 0x0
	v_dual_lshlrev_b32 v6, 16, v3 :: v_dual_lshlrev_b32 v22, 16, v22
.LBB197_14:                             ;   in Loop: Header=BB197_3 Depth=1
	s_or_b32 exec_lo, exec_lo, s18
	v_add_nc_u64_e32 v[108:109], s[30:31], v[102:103]
	s_delay_alu instid0(VALU_DEP_1) | instskip(SKIP_1) | instid1(SALU_CYCLE_1)
	v_cmp_gt_i64_e32 vcc_lo, s[4:5], v[108:109]
	s_and_b32 s33, s2, vcc_lo
	s_and_saveexec_b32 s18, s33
	s_cbranch_execz .LBB197_16
; %bb.15:                               ;   in Loop: Header=BB197_3 Depth=1
	v_add_nc_u64_e32 v[108:109], v[90:91], v[36:37]
	v_add_nc_u64_e32 v[110:111], v[92:93], v[36:37]
	global_load_u16 v3, v[108:109], off
	global_load_u16 v23, v[110:111], off
	s_wait_loadcnt 0x1
	v_lshlrev_b32_e32 v7, 16, v3
	s_wait_loadcnt 0x0
	v_lshlrev_b32_e32 v23, 16, v23
.LBB197_16:                             ;   in Loop: Header=BB197_3 Depth=1
	s_or_b32 exec_lo, exec_lo, s18
	v_add_nc_u64_e32 v[108:109], s[34:35], v[102:103]
	s_delay_alu instid0(VALU_DEP_1) | instskip(SKIP_1) | instid1(SALU_CYCLE_1)
	v_cmp_gt_i64_e32 vcc_lo, s[4:5], v[108:109]
	s_and_b32 s33, s2, vcc_lo
	s_and_saveexec_b32 s18, s33
	s_cbranch_execz .LBB197_18
; %bb.17:                               ;   in Loop: Header=BB197_3 Depth=1
	v_add_nc_u64_e32 v[108:109], v[86:87], v[36:37]
	v_add_nc_u64_e32 v[110:111], v[88:89], v[36:37]
	global_load_u16 v3, v[108:109], off
	global_load_u16 v24, v[110:111], off
	s_wait_loadcnt 0x0
	v_dual_lshlrev_b32 v8, 16, v3 :: v_dual_lshlrev_b32 v24, 16, v24
.LBB197_18:                             ;   in Loop: Header=BB197_3 Depth=1
	s_or_b32 exec_lo, exec_lo, s18
	v_add_nc_u64_e32 v[108:109], s[36:37], v[102:103]
	s_delay_alu instid0(VALU_DEP_1) | instskip(SKIP_1) | instid1(SALU_CYCLE_1)
	v_cmp_gt_i64_e32 vcc_lo, s[4:5], v[108:109]
	s_and_b32 s33, s2, vcc_lo
	s_and_saveexec_b32 s18, s33
	s_cbranch_execz .LBB197_20
; %bb.19:                               ;   in Loop: Header=BB197_3 Depth=1
	v_add_nc_u64_e32 v[108:109], v[82:83], v[36:37]
	v_add_nc_u64_e32 v[110:111], v[84:85], v[36:37]
	global_load_u16 v3, v[108:109], off
	global_load_u16 v25, v[110:111], off
	s_wait_loadcnt 0x0
	v_dual_lshlrev_b32 v9, 16, v3 :: v_dual_lshlrev_b32 v25, 16, v25
.LBB197_20:                             ;   in Loop: Header=BB197_3 Depth=1
	s_or_b32 exec_lo, exec_lo, s18
	v_add_nc_u64_e32 v[108:109], s[38:39], v[102:103]
	s_delay_alu instid0(VALU_DEP_1) | instskip(SKIP_1) | instid1(SALU_CYCLE_1)
	v_cmp_gt_i64_e32 vcc_lo, s[4:5], v[108:109]
	s_and_b32 s33, s2, vcc_lo
	s_and_saveexec_b32 s18, s33
	s_cbranch_execz .LBB197_22
; %bb.21:                               ;   in Loop: Header=BB197_3 Depth=1
	v_add_nc_u64_e32 v[108:109], v[78:79], v[36:37]
	v_add_nc_u64_e32 v[110:111], v[80:81], v[36:37]
	global_load_u16 v3, v[108:109], off
	global_load_u16 v26, v[110:111], off
	s_wait_loadcnt 0x0
	v_dual_lshlrev_b32 v10, 16, v3 :: v_dual_lshlrev_b32 v26, 16, v26
.LBB197_22:                             ;   in Loop: Header=BB197_3 Depth=1
	s_or_b32 exec_lo, exec_lo, s18
	v_add_nc_u64_e32 v[108:109], s[40:41], v[102:103]
	s_delay_alu instid0(VALU_DEP_1) | instskip(SKIP_1) | instid1(SALU_CYCLE_1)
	v_cmp_gt_i64_e32 vcc_lo, s[4:5], v[108:109]
	s_and_b32 s33, s2, vcc_lo
	s_and_saveexec_b32 s18, s33
	s_cbranch_execz .LBB197_24
; %bb.23:                               ;   in Loop: Header=BB197_3 Depth=1
	v_add_nc_u64_e32 v[108:109], v[74:75], v[36:37]
	v_add_nc_u64_e32 v[110:111], v[76:77], v[36:37]
	global_load_u16 v3, v[108:109], off
	global_load_u16 v27, v[110:111], off
	s_wait_loadcnt 0x1
	v_lshlrev_b32_e32 v11, 16, v3
	s_wait_loadcnt 0x0
	v_lshlrev_b32_e32 v27, 16, v27
.LBB197_24:                             ;   in Loop: Header=BB197_3 Depth=1
	s_or_b32 exec_lo, exec_lo, s18
	v_add_nc_u64_e32 v[108:109], s[42:43], v[102:103]
	s_delay_alu instid0(VALU_DEP_1) | instskip(SKIP_1) | instid1(SALU_CYCLE_1)
	v_cmp_gt_i64_e32 vcc_lo, s[4:5], v[108:109]
	s_and_b32 s33, s2, vcc_lo
	s_and_saveexec_b32 s18, s33
	s_cbranch_execz .LBB197_26
; %bb.25:                               ;   in Loop: Header=BB197_3 Depth=1
	v_add_nc_u64_e32 v[108:109], v[70:71], v[36:37]
	v_add_nc_u64_e32 v[110:111], v[72:73], v[36:37]
	global_load_u16 v3, v[108:109], off
	global_load_u16 v28, v[110:111], off
	s_wait_loadcnt 0x0
	v_dual_lshlrev_b32 v12, 16, v3 :: v_dual_lshlrev_b32 v28, 16, v28
.LBB197_26:                             ;   in Loop: Header=BB197_3 Depth=1
	;; [unrolled: 62-line block ×3, first 2 shown]
	s_or_b32 exec_lo, exec_lo, s18
	v_add_nc_u64_e32 v[108:109], s[52:53], v[102:103]
	s_delay_alu instid0(VALU_DEP_1) | instskip(SKIP_1) | instid1(SALU_CYCLE_1)
	v_cmp_gt_i64_e32 vcc_lo, s[4:5], v[108:109]
	s_and_b32 s33, s2, vcc_lo
	s_and_saveexec_b32 s18, s33
	s_cbranch_execz .LBB197_36
; %bb.35:                               ;   in Loop: Header=BB197_3 Depth=1
	v_add_nc_u64_e32 v[108:109], v[50:51], v[36:37]
	v_add_nc_u64_e32 v[110:111], v[52:53], v[36:37]
	global_load_u16 v3, v[108:109], off
	global_load_u16 v33, v[110:111], off
	s_wait_loadcnt 0x0
	v_dual_lshlrev_b32 v17, 16, v3 :: v_dual_lshlrev_b32 v33, 16, v33
.LBB197_36:                             ;   in Loop: Header=BB197_3 Depth=1
	s_or_b32 exec_lo, exec_lo, s18
	v_add_nc_u64_e32 v[108:109], s[54:55], v[102:103]
	s_delay_alu instid0(VALU_DEP_1) | instskip(SKIP_1) | instid1(SALU_CYCLE_1)
	v_cmp_gt_i64_e32 vcc_lo, s[4:5], v[108:109]
	s_and_b32 s33, s2, vcc_lo
	s_and_saveexec_b32 s18, s33
	s_cbranch_execz .LBB197_38
; %bb.37:                               ;   in Loop: Header=BB197_3 Depth=1
	v_add_nc_u64_e32 v[108:109], v[46:47], v[36:37]
	v_add_nc_u64_e32 v[110:111], v[48:49], v[36:37]
	global_load_u16 v3, v[108:109], off
	global_load_u16 v34, v[110:111], off
	s_wait_loadcnt 0x0
	v_dual_lshlrev_b32 v18, 16, v3 :: v_dual_lshlrev_b32 v34, 16, v34
.LBB197_38:                             ;   in Loop: Header=BB197_3 Depth=1
	s_or_b32 exec_lo, exec_lo, s18
	v_add_nc_u64_e32 v[108:109], s[56:57], v[102:103]
	s_delay_alu instid0(VALU_DEP_1) | instskip(SKIP_1) | instid1(SALU_CYCLE_1)
	v_cmp_gt_i64_e32 vcc_lo, s[4:5], v[108:109]
	s_and_b32 s33, s2, vcc_lo
	s_and_saveexec_b32 s18, s33
	s_cbranch_execz .LBB197_40
; %bb.39:                               ;   in Loop: Header=BB197_3 Depth=1
	v_add_nc_u64_e32 v[108:109], v[42:43], v[36:37]
	v_add_nc_u64_e32 v[110:111], v[44:45], v[36:37]
	global_load_u16 v3, v[108:109], off
	global_load_u16 v35, v[110:111], off
	s_wait_loadcnt 0x1
	v_lshlrev_b32_e32 v19, 16, v3
	s_wait_loadcnt 0x0
	v_lshlrev_b32_e32 v35, 16, v35
.LBB197_40:                             ;   in Loop: Header=BB197_3 Depth=1
	s_or_b32 exec_lo, exec_lo, s18
	s_wait_loadcnt 0x0
	ds_bpermute_b32 v3, v2, v107
	ds_bpermute_b32 v110, v2, v107 offset:4
	ds_bpermute_b32 v108, v2, v107 offset:12
	;; [unrolled: 1-line block ×4, first 2 shown]
	v_dual_mul_f32 v20, v20, v4 :: v_dual_mul_f32 v21, v21, v5
	v_pk_mul_f32 v[4:5], v[24:25], v[8:9]
	ds_bpermute_b32 v8, v2, v107 offset:20
	ds_bpermute_b32 v9, v2, v107 offset:24
	v_pk_mul_f32 v[10:11], v[26:27], v[10:11]
	v_pk_mul_f32 v[12:13], v[28:29], v[12:13]
	s_mov_b32 s18, 0
	v_dual_mul_f32 v22, v22, v6 :: v_dual_mul_f32 v6, v23, v7
	v_mov_b32_e32 v7, v4
	ds_bpermute_b32 v23, v2, v107 offset:40
	s_wait_dscnt 0x7
	v_fma_f32 v3, v20, v3, v106
	ds_bpermute_b32 v20, v2, v107 offset:28
	s_wait_dscnt 0x5
	v_pk_mul_f32 v[6:7], v[6:7], v[108:109]
	v_mov_b32_e32 v4, v5
	v_dual_fmac_f32 v3, v21, v110 :: v_dual_mov_b32 v5, v10
	ds_bpermute_b32 v21, v2, v107 offset:32
	ds_bpermute_b32 v10, v2, v107 offset:44
	s_wait_dscnt 0x6
	v_fmac_f32_e32 v3, v22, v111
	ds_bpermute_b32 v22, v2, v107 offset:36
	v_add_f32_e32 v3, v3, v6
	s_wait_dscnt 0x5
	v_pk_mul_f32 v[4:5], v[4:5], v[8:9]
	v_mov_b32_e32 v6, v11
	v_pk_mul_f32 v[8:9], v[30:31], v[14:15]
	ds_bpermute_b32 v11, v2, v107 offset:48
	v_dual_add_f32 v3, v3, v7 :: v_dual_mov_b32 v7, v12
	s_delay_alu instid0(VALU_DEP_1) | instskip(SKIP_1) | instid1(VALU_DEP_2)
	v_dual_add_f32 v3, v3, v4 :: v_dual_mov_b32 v4, v13
	s_wait_dscnt 0x3
	v_pk_mul_f32 v[6:7], v[6:7], v[20:21]
	v_pk_mul_f32 v[12:13], v[32:33], v[16:17]
	s_delay_alu instid0(VALU_DEP_3) | instskip(NEXT) | instid1(VALU_DEP_2)
	v_dual_add_f32 v3, v3, v5 :: v_dual_mov_b32 v5, v8
	v_dual_mov_b32 v8, v9 :: v_dual_mov_b32 v9, v12
	s_delay_alu instid0(VALU_DEP_2)
	v_add_f32_e32 v3, v3, v6
	ds_bpermute_b32 v6, v2, v107 offset:52
	s_wait_dscnt 0x2
	v_pk_mul_f32 v[4:5], v[4:5], v[22:23]
	s_wait_dscnt 0x1
	v_pk_mul_f32 v[8:9], v[8:9], v[10:11]
	v_add_f32_e32 v3, v3, v7
	ds_bpermute_b32 v7, v2, v107 offset:56
	v_dual_mul_f32 v11, v34, v18 :: v_dual_mov_b32 v10, v13
	v_add_f32_e32 v3, v3, v4
	ds_bpermute_b32 v4, v2, v107 offset:60
	v_add_f32_e32 v3, v3, v5
	s_delay_alu instid0(VALU_DEP_1) | instskip(NEXT) | instid1(VALU_DEP_1)
	v_add_f32_e32 v3, v3, v8
	v_add_f32_e32 v3, v3, v9
	s_wait_dscnt 0x1
	v_pk_mul_f32 v[6:7], v[10:11], v[6:7]
	s_delay_alu instid0(VALU_DEP_1) | instskip(NEXT) | instid1(VALU_DEP_1)
	v_add_f32_e32 v3, v3, v6
	v_add_f32_e32 v3, v3, v7
.LBB197_41:                             ;   in Loop: Header=BB197_3 Depth=1
	s_and_b32 vcc_lo, exec_lo, s18
	s_cbranch_vccz .LBB197_64
; %bb.42:                               ;   in Loop: Header=BB197_3 Depth=1
	s_load_b32 s18, s[20:21], 0x0
	v_mov_b32_e32 v107, 0
	s_wait_kmcnt 0x0
	s_cmp_lt_u32 s12, s18
	s_cselect_b32 s18, 12, 18
	s_delay_alu instid0(SALU_CYCLE_1)
	s_add_nc_u64 s[64:65], s[20:21], s[18:19]
	s_load_u16 s18, s[64:65], 0x0
	s_wait_kmcnt 0x0
	v_mad_u32_u24 v3, v104, s18, v105
	s_mov_b32 s18, exec_lo
	s_wait_dscnt 0x0
	s_delay_alu instid0(VALU_DEP_1) | instskip(NEXT) | instid1(VALU_DEP_1)
	v_and_b32_e32 v4, 31, v3
	v_cmpx_gt_u32_e32 16, v4
	s_cbranch_execz .LBB197_46
; %bb.43:                               ;   in Loop: Header=BB197_3 Depth=1
	v_dual_mov_b32 v5, v2 :: v_dual_mov_b32 v107, 0
	s_mov_b32 s33, exec_lo
	s_delay_alu instid0(VALU_DEP_1) | instskip(NEXT) | instid1(VALU_DEP_1)
	v_add_nc_u64_e32 v[4:5], v[102:103], v[4:5]
	v_add_nc_u64_e32 v[4:5], s[24:25], v[4:5]
	s_delay_alu instid0(VALU_DEP_1)
	v_cmpx_gt_i64_e64 s[4:5], v[4:5]
	s_cbranch_execz .LBB197_45
; %bb.44:                               ;   in Loop: Header=BB197_3 Depth=1
	v_lshl_add_u64 v[4:5], v[4:5], 2, s[14:15]
	global_load_b32 v107, v[4:5], off
.LBB197_45:                             ;   in Loop: Header=BB197_3 Depth=1
	s_wait_xcnt 0x0
	s_or_b32 exec_lo, exec_lo, s33
.LBB197_46:                             ;   in Loop: Header=BB197_3 Depth=1
	s_delay_alu instid0(SALU_CYCLE_1)
	s_or_b32 exec_lo, exec_lo, s18
	v_dual_mov_b32 v15, v2 :: v_dual_mov_b32 v16, v2
	v_dual_mov_b32 v17, v2 :: v_dual_mov_b32 v3, v2
	;; [unrolled: 1-line block ×7, first 2 shown]
	v_mov_b32_e32 v14, v2
	v_mov_b64_e32 v[34:35], v[16:17]
	s_delay_alu instid0(VALU_DEP_4)
	v_mov_b64_e32 v[28:29], v[10:11]
	v_mov_b64_e32 v[26:27], v[8:9]
	v_mov_b64_e32 v[30:31], v[12:13]
	v_mov_b64_e32 v[32:33], v[14:15]
	v_mov_b64_e32 v[24:25], v[6:7]
	v_mov_b64_e32 v[22:23], v[4:5]
	v_mov_b64_e32 v[20:21], v[2:3]
	v_mov_b64_e32 v[18:19], v[16:17]
	v_mov_b64_e32 v[16:17], v[14:15]
	v_mov_b64_e32 v[14:15], v[12:13]
	v_mov_b64_e32 v[12:13], v[10:11]
	v_mov_b64_e32 v[10:11], v[8:9]
	v_mov_b64_e32 v[8:9], v[6:7]
	v_mov_b64_e32 v[6:7], v[4:5]
	v_mov_b64_e32 v[4:5], v[2:3]
	s_and_saveexec_b32 s18, s2
	s_cbranch_execnz .LBB197_66
; %bb.47:                               ;   in Loop: Header=BB197_3 Depth=1
	s_or_b32 exec_lo, exec_lo, s18
	s_and_saveexec_b32 s18, s2
	s_cbranch_execnz .LBB197_67
.LBB197_48:                             ;   in Loop: Header=BB197_3 Depth=1
	s_or_b32 exec_lo, exec_lo, s18
	s_and_saveexec_b32 s18, s2
	s_cbranch_execnz .LBB197_68
.LBB197_49:                             ;   in Loop: Header=BB197_3 Depth=1
	s_or_b32 exec_lo, exec_lo, s18
	s_and_saveexec_b32 s18, s2
	s_cbranch_execnz .LBB197_69
.LBB197_50:                             ;   in Loop: Header=BB197_3 Depth=1
	s_or_b32 exec_lo, exec_lo, s18
	s_and_saveexec_b32 s18, s2
	s_cbranch_execnz .LBB197_70
.LBB197_51:                             ;   in Loop: Header=BB197_3 Depth=1
	s_or_b32 exec_lo, exec_lo, s18
	s_and_saveexec_b32 s18, s2
	s_cbranch_execnz .LBB197_71
.LBB197_52:                             ;   in Loop: Header=BB197_3 Depth=1
	s_or_b32 exec_lo, exec_lo, s18
	s_and_saveexec_b32 s18, s2
	s_cbranch_execnz .LBB197_72
.LBB197_53:                             ;   in Loop: Header=BB197_3 Depth=1
	s_or_b32 exec_lo, exec_lo, s18
	s_and_saveexec_b32 s18, s2
	s_cbranch_execnz .LBB197_73
.LBB197_54:                             ;   in Loop: Header=BB197_3 Depth=1
	s_or_b32 exec_lo, exec_lo, s18
	s_and_saveexec_b32 s18, s2
	s_cbranch_execnz .LBB197_74
.LBB197_55:                             ;   in Loop: Header=BB197_3 Depth=1
	s_or_b32 exec_lo, exec_lo, s18
	s_and_saveexec_b32 s18, s2
	s_cbranch_execnz .LBB197_75
.LBB197_56:                             ;   in Loop: Header=BB197_3 Depth=1
	s_or_b32 exec_lo, exec_lo, s18
	s_and_saveexec_b32 s18, s2
	s_cbranch_execnz .LBB197_76
.LBB197_57:                             ;   in Loop: Header=BB197_3 Depth=1
	s_or_b32 exec_lo, exec_lo, s18
	s_and_saveexec_b32 s18, s2
	s_cbranch_execnz .LBB197_77
.LBB197_58:                             ;   in Loop: Header=BB197_3 Depth=1
	s_or_b32 exec_lo, exec_lo, s18
	s_and_saveexec_b32 s18, s2
	s_cbranch_execnz .LBB197_78
.LBB197_59:                             ;   in Loop: Header=BB197_3 Depth=1
	s_or_b32 exec_lo, exec_lo, s18
	s_and_saveexec_b32 s18, s2
	s_cbranch_execnz .LBB197_79
.LBB197_60:                             ;   in Loop: Header=BB197_3 Depth=1
	s_or_b32 exec_lo, exec_lo, s18
	s_and_saveexec_b32 s18, s2
	s_cbranch_execnz .LBB197_80
.LBB197_61:                             ;   in Loop: Header=BB197_3 Depth=1
	s_or_b32 exec_lo, exec_lo, s18
	s_and_saveexec_b32 s18, s2
	s_cbranch_execz .LBB197_63
.LBB197_62:                             ;   in Loop: Header=BB197_3 Depth=1
	v_add_nc_u64_e32 v[102:103], v[42:43], v[36:37]
	v_add_nc_u64_e32 v[108:109], v[44:45], v[36:37]
	global_load_u16 v3, v[102:103], off
	global_load_u16 v35, v[108:109], off
	s_wait_loadcnt 0x1
	v_lshlrev_b32_e32 v19, 16, v3
	s_wait_loadcnt 0x0
	v_lshlrev_b32_e32 v35, 16, v35
.LBB197_63:                             ;   in Loop: Header=BB197_3 Depth=1
	s_or_b32 exec_lo, exec_lo, s18
	s_wait_loadcnt 0x0
	ds_bpermute_b32 v3, v2, v107
	ds_bpermute_b32 v108, v2, v107 offset:4
	ds_bpermute_b32 v102, v2, v107 offset:12
	ds_bpermute_b32 v103, v2, v107 offset:16
	ds_bpermute_b32 v109, v2, v107 offset:8
	v_dual_mul_f32 v20, v20, v4 :: v_dual_mul_f32 v21, v21, v5
	v_pk_mul_f32 v[4:5], v[24:25], v[8:9]
	ds_bpermute_b32 v8, v2, v107 offset:20
	ds_bpermute_b32 v9, v2, v107 offset:24
	v_pk_mul_f32 v[10:11], v[26:27], v[10:11]
	v_pk_mul_f32 v[12:13], v[28:29], v[12:13]
	s_wait_dscnt 0x6
	v_dual_fmac_f32 v106, v20, v3 :: v_dual_mul_f32 v3, v22, v6
	v_dual_mul_f32 v6, v23, v7 :: v_dual_mov_b32 v7, v4
	ds_bpermute_b32 v20, v2, v107 offset:28
	s_wait_dscnt 0x6
	v_fmac_f32_e32 v106, v21, v108
	ds_bpermute_b32 v21, v2, v107 offset:32
	ds_bpermute_b32 v22, v2, v107 offset:36
	s_wait_dscnt 0x6
	v_pk_mul_f32 v[6:7], v[6:7], v[102:103]
	v_dual_mov_b32 v4, v5 :: v_dual_mov_b32 v5, v10
	s_wait_dscnt 0x5
	v_fmac_f32_e32 v106, v3, v109
	ds_bpermute_b32 v23, v2, v107 offset:40
	ds_bpermute_b32 v10, v2, v107 offset:44
	v_add_f32_e32 v3, v106, v6
	s_wait_dscnt 0x5
	v_pk_mul_f32 v[4:5], v[4:5], v[8:9]
	v_mov_b32_e32 v6, v11
	v_pk_mul_f32 v[8:9], v[30:31], v[14:15]
	ds_bpermute_b32 v11, v2, v107 offset:48
	v_dual_add_f32 v3, v3, v7 :: v_dual_mov_b32 v7, v12
	s_delay_alu instid0(VALU_DEP_1) | instskip(SKIP_1) | instid1(VALU_DEP_2)
	v_dual_add_f32 v3, v3, v4 :: v_dual_mov_b32 v4, v13
	s_wait_dscnt 0x4
	v_pk_mul_f32 v[6:7], v[6:7], v[20:21]
	v_pk_mul_f32 v[12:13], v[32:33], v[16:17]
	s_delay_alu instid0(VALU_DEP_3) | instskip(NEXT) | instid1(VALU_DEP_2)
	v_dual_add_f32 v3, v3, v5 :: v_dual_mov_b32 v5, v8
	v_dual_mov_b32 v8, v9 :: v_dual_mov_b32 v9, v12
	s_delay_alu instid0(VALU_DEP_2)
	v_add_f32_e32 v3, v3, v6
	ds_bpermute_b32 v6, v2, v107 offset:52
	s_wait_dscnt 0x3
	v_pk_mul_f32 v[4:5], v[4:5], v[22:23]
	s_wait_dscnt 0x1
	v_pk_mul_f32 v[8:9], v[8:9], v[10:11]
	v_add_f32_e32 v3, v3, v7
	ds_bpermute_b32 v7, v2, v107 offset:56
	v_dual_mul_f32 v11, v34, v18 :: v_dual_mov_b32 v10, v13
	v_add_f32_e32 v3, v3, v4
	ds_bpermute_b32 v4, v2, v107 offset:60
	v_add_f32_e32 v3, v3, v5
	s_delay_alu instid0(VALU_DEP_1) | instskip(NEXT) | instid1(VALU_DEP_1)
	v_add_f32_e32 v3, v3, v8
	v_add_f32_e32 v3, v3, v9
	s_wait_dscnt 0x1
	v_pk_mul_f32 v[6:7], v[10:11], v[6:7]
	s_delay_alu instid0(VALU_DEP_1) | instskip(NEXT) | instid1(VALU_DEP_1)
	v_add_f32_e32 v3, v3, v6
	v_add_f32_e32 v3, v3, v7
.LBB197_64:                             ;   in Loop: Header=BB197_3 Depth=1
	s_add_nc_u64 s[62:63], s[62:63], s[22:23]
	v_mul_f32_e32 v5, v19, v35
	v_cmp_lt_i64_e64 s18, s[62:63], s[4:5]
	v_add_nc_u64_e32 v[38:39], s[58:59], v[38:39]
	v_add_nc_u64_e32 v[40:41], s[58:59], v[40:41]
	;; [unrolled: 1-line block ×32, first 2 shown]
	s_wait_dscnt 0x0
	v_fmac_f32_e32 v3, v5, v4
	s_and_b32 vcc_lo, exec_lo, s18
	s_add_nc_u64 s[60:61], s[60:61], s[22:23]
	s_cbranch_vccz .LBB197_82
; %bb.65:                               ;   in Loop: Header=BB197_3 Depth=1
	s_delay_alu instid0(VALU_DEP_1)
	v_mov_b32_e32 v106, v3
	s_branch .LBB197_3
.LBB197_66:                             ;   in Loop: Header=BB197_3 Depth=1
	v_add_nc_u64_e32 v[4:5], v[38:39], v[36:37]
	v_add_nc_u64_e32 v[6:7], v[40:41], v[36:37]
	v_dual_mov_b32 v9, v2 :: v_dual_mov_b32 v10, v2
	v_dual_mov_b32 v11, v2 :: v_dual_mov_b32 v12, v2
	;; [unrolled: 1-line block ×3, first 2 shown]
	global_load_u16 v3, v[4:5], off
	global_load_u16 v20, v[6:7], off
	s_wait_xcnt 0x0
	v_dual_mov_b32 v5, v2 :: v_dual_mov_b32 v6, v2
	v_dual_mov_b32 v7, v2 :: v_dual_mov_b32 v8, v2
	;; [unrolled: 1-line block ×12, first 2 shown]
	s_wait_loadcnt 0x0
	v_dual_lshlrev_b32 v4, 16, v3 :: v_dual_lshlrev_b32 v20, 16, v20
	s_or_b32 exec_lo, exec_lo, s18
	s_and_saveexec_b32 s18, s2
	s_cbranch_execz .LBB197_48
.LBB197_67:                             ;   in Loop: Header=BB197_3 Depth=1
	v_add_nc_u64_e32 v[102:103], v[98:99], v[36:37]
	v_add_nc_u64_e32 v[108:109], v[100:101], v[36:37]
	global_load_u16 v3, v[102:103], off
	global_load_u16 v21, v[108:109], off
	s_wait_loadcnt 0x0
	v_dual_lshlrev_b32 v5, 16, v3 :: v_dual_lshlrev_b32 v21, 16, v21
	s_or_b32 exec_lo, exec_lo, s18
	s_and_saveexec_b32 s18, s2
	s_cbranch_execz .LBB197_49
.LBB197_68:                             ;   in Loop: Header=BB197_3 Depth=1
	v_add_nc_u64_e32 v[102:103], v[94:95], v[36:37]
	v_add_nc_u64_e32 v[108:109], v[96:97], v[36:37]
	global_load_u16 v3, v[102:103], off
	global_load_u16 v22, v[108:109], off
	s_wait_loadcnt 0x0
	v_dual_lshlrev_b32 v6, 16, v3 :: v_dual_lshlrev_b32 v22, 16, v22
	s_or_b32 exec_lo, exec_lo, s18
	s_and_saveexec_b32 s18, s2
	s_cbranch_execz .LBB197_50
.LBB197_69:                             ;   in Loop: Header=BB197_3 Depth=1
	v_add_nc_u64_e32 v[102:103], v[90:91], v[36:37]
	v_add_nc_u64_e32 v[108:109], v[92:93], v[36:37]
	global_load_u16 v3, v[102:103], off
	global_load_u16 v23, v[108:109], off
	s_wait_loadcnt 0x1
	v_lshlrev_b32_e32 v7, 16, v3
	s_wait_loadcnt 0x0
	v_lshlrev_b32_e32 v23, 16, v23
	s_or_b32 exec_lo, exec_lo, s18
	s_and_saveexec_b32 s18, s2
	s_cbranch_execz .LBB197_51
.LBB197_70:                             ;   in Loop: Header=BB197_3 Depth=1
	v_add_nc_u64_e32 v[102:103], v[86:87], v[36:37]
	v_add_nc_u64_e32 v[108:109], v[88:89], v[36:37]
	global_load_u16 v3, v[102:103], off
	global_load_u16 v24, v[108:109], off
	s_wait_loadcnt 0x0
	v_dual_lshlrev_b32 v8, 16, v3 :: v_dual_lshlrev_b32 v24, 16, v24
	s_or_b32 exec_lo, exec_lo, s18
	s_and_saveexec_b32 s18, s2
	s_cbranch_execz .LBB197_52
.LBB197_71:                             ;   in Loop: Header=BB197_3 Depth=1
	v_add_nc_u64_e32 v[102:103], v[82:83], v[36:37]
	v_add_nc_u64_e32 v[108:109], v[84:85], v[36:37]
	global_load_u16 v3, v[102:103], off
	global_load_u16 v25, v[108:109], off
	s_wait_loadcnt 0x0
	v_dual_lshlrev_b32 v9, 16, v3 :: v_dual_lshlrev_b32 v25, 16, v25
	s_or_b32 exec_lo, exec_lo, s18
	s_and_saveexec_b32 s18, s2
	s_cbranch_execz .LBB197_53
.LBB197_72:                             ;   in Loop: Header=BB197_3 Depth=1
	v_add_nc_u64_e32 v[102:103], v[78:79], v[36:37]
	v_add_nc_u64_e32 v[108:109], v[80:81], v[36:37]
	global_load_u16 v3, v[102:103], off
	global_load_u16 v26, v[108:109], off
	s_wait_loadcnt 0x0
	v_dual_lshlrev_b32 v10, 16, v3 :: v_dual_lshlrev_b32 v26, 16, v26
	s_or_b32 exec_lo, exec_lo, s18
	s_and_saveexec_b32 s18, s2
	s_cbranch_execz .LBB197_54
.LBB197_73:                             ;   in Loop: Header=BB197_3 Depth=1
	v_add_nc_u64_e32 v[102:103], v[74:75], v[36:37]
	v_add_nc_u64_e32 v[108:109], v[76:77], v[36:37]
	global_load_u16 v3, v[102:103], off
	global_load_u16 v27, v[108:109], off
	s_wait_loadcnt 0x1
	v_lshlrev_b32_e32 v11, 16, v3
	s_wait_loadcnt 0x0
	v_lshlrev_b32_e32 v27, 16, v27
	s_or_b32 exec_lo, exec_lo, s18
	s_and_saveexec_b32 s18, s2
	s_cbranch_execz .LBB197_55
.LBB197_74:                             ;   in Loop: Header=BB197_3 Depth=1
	v_add_nc_u64_e32 v[102:103], v[70:71], v[36:37]
	v_add_nc_u64_e32 v[108:109], v[72:73], v[36:37]
	global_load_u16 v3, v[102:103], off
	global_load_u16 v28, v[108:109], off
	s_wait_loadcnt 0x0
	v_dual_lshlrev_b32 v12, 16, v3 :: v_dual_lshlrev_b32 v28, 16, v28
	s_or_b32 exec_lo, exec_lo, s18
	s_and_saveexec_b32 s18, s2
	s_cbranch_execz .LBB197_56
.LBB197_75:                             ;   in Loop: Header=BB197_3 Depth=1
	v_add_nc_u64_e32 v[102:103], v[66:67], v[36:37]
	v_add_nc_u64_e32 v[108:109], v[68:69], v[36:37]
	global_load_u16 v3, v[102:103], off
	global_load_u16 v29, v[108:109], off
	s_wait_loadcnt 0x0
	v_dual_lshlrev_b32 v13, 16, v3 :: v_dual_lshlrev_b32 v29, 16, v29
	s_or_b32 exec_lo, exec_lo, s18
	s_and_saveexec_b32 s18, s2
	s_cbranch_execz .LBB197_57
.LBB197_76:                             ;   in Loop: Header=BB197_3 Depth=1
	v_add_nc_u64_e32 v[102:103], v[62:63], v[36:37]
	v_add_nc_u64_e32 v[108:109], v[64:65], v[36:37]
	global_load_u16 v3, v[102:103], off
	global_load_u16 v30, v[108:109], off
	s_wait_loadcnt 0x0
	v_dual_lshlrev_b32 v14, 16, v3 :: v_dual_lshlrev_b32 v30, 16, v30
	s_or_b32 exec_lo, exec_lo, s18
	s_and_saveexec_b32 s18, s2
	s_cbranch_execz .LBB197_58
.LBB197_77:                             ;   in Loop: Header=BB197_3 Depth=1
	v_add_nc_u64_e32 v[102:103], v[58:59], v[36:37]
	v_add_nc_u64_e32 v[108:109], v[60:61], v[36:37]
	global_load_u16 v3, v[102:103], off
	global_load_u16 v31, v[108:109], off
	s_wait_loadcnt 0x1
	v_lshlrev_b32_e32 v15, 16, v3
	s_wait_loadcnt 0x0
	v_lshlrev_b32_e32 v31, 16, v31
	s_or_b32 exec_lo, exec_lo, s18
	s_and_saveexec_b32 s18, s2
	s_cbranch_execz .LBB197_59
.LBB197_78:                             ;   in Loop: Header=BB197_3 Depth=1
	v_add_nc_u64_e32 v[102:103], v[54:55], v[36:37]
	v_add_nc_u64_e32 v[108:109], v[56:57], v[36:37]
	global_load_u16 v3, v[102:103], off
	global_load_u16 v32, v[108:109], off
	s_wait_loadcnt 0x0
	v_dual_lshlrev_b32 v16, 16, v3 :: v_dual_lshlrev_b32 v32, 16, v32
	s_or_b32 exec_lo, exec_lo, s18
	s_and_saveexec_b32 s18, s2
	s_cbranch_execz .LBB197_60
.LBB197_79:                             ;   in Loop: Header=BB197_3 Depth=1
	v_add_nc_u64_e32 v[102:103], v[50:51], v[36:37]
	v_add_nc_u64_e32 v[108:109], v[52:53], v[36:37]
	global_load_u16 v3, v[102:103], off
	global_load_u16 v33, v[108:109], off
	s_wait_loadcnt 0x0
	v_dual_lshlrev_b32 v17, 16, v3 :: v_dual_lshlrev_b32 v33, 16, v33
	s_or_b32 exec_lo, exec_lo, s18
	s_and_saveexec_b32 s18, s2
	s_cbranch_execz .LBB197_61
.LBB197_80:                             ;   in Loop: Header=BB197_3 Depth=1
	v_add_nc_u64_e32 v[102:103], v[46:47], v[36:37]
	v_add_nc_u64_e32 v[108:109], v[48:49], v[36:37]
	global_load_u16 v3, v[102:103], off
	global_load_u16 v34, v[108:109], off
	s_wait_loadcnt 0x0
	v_dual_lshlrev_b32 v18, 16, v3 :: v_dual_lshlrev_b32 v34, 16, v34
	s_or_b32 exec_lo, exec_lo, s18
	s_and_saveexec_b32 s18, s2
	s_cbranch_execnz .LBB197_62
	s_branch .LBB197_63
.LBB197_81:
                                        ; implicit-def: $vgpr3
	s_branch .LBB197_84
.LBB197_82:
	v_mov_b32_e32 v0, v1
.LBB197_83:
	s_cbranch_execnz .LBB197_133
.LBB197_84:
	v_mov_b32_e32 v3, 0
	s_and_not1_b32 vcc_lo, exec_lo, s3
	s_cbranch_vccnz .LBB197_133
; %bb.85:
	v_bfe_u32 v23, v0, 10, 10
	v_mov_b32_e32 v2, 0
	s_load_b32 s2, s[0:1], 0x44
	s_mov_b32 s3, 0
	s_add_nc_u64 s[20:21], s[0:1], 64
	s_delay_alu instid0(VALU_DEP_1)
	v_dual_mov_b32 v5, v2 :: v_dual_lshlrev_b32 v4, 5, v23
	s_mov_b32 s19, s3
	s_mov_b64 s[24:25], 0xffffffffffffff03
	s_mov_b64 s[26:27], 0xffffffffffffff04
	;; [unrolled: 1-line block ×3, first 2 shown]
	v_lshl_add_u64 v[24:25], s[16:17], 1, v[4:5]
	s_mov_b64 s[30:31], 0xffffffffffffff06
	s_mov_b64 s[34:35], 0xffffffffffffff07
	s_mov_b64 s[36:37], 0xffffffffffffff08
	s_mov_b64 s[38:39], 0xffffffffffffff09
	v_add_nc_u64_e32 v[4:5], 2, v[24:25]
	v_add_nc_u64_e32 v[6:7], 6, v[24:25]
	;; [unrolled: 1-line block ×7, first 2 shown]
	v_mad_nc_u64_u32 v[74:75], s6, v4, s[8:9]
	v_mul_lo_u32 v3, s6, v5
	v_mul_lo_u32 v5, s7, v4
	v_mad_nc_u64_u32 v[90:91], s6, v4, s[10:11]
	v_mad_nc_u64_u32 v[26:27], s6, v6, s[8:9]
	v_mul_lo_u32 v7, s6, v7
	v_mul_lo_u32 v19, s7, v6
	v_mad_nc_u64_u32 v[94:95], s6, v6, s[10:11]
	;; [unrolled: 4-line block ×3, first 2 shown]
	v_mad_nc_u64_u32 v[82:83], s6, v8, s[8:9]
	v_mul_lo_u32 v20, s7, v8
	v_add3_u32 v75, v5, v75, v3
	v_mad_nc_u64_u32 v[96:97], s6, v16, s[8:9]
	v_mad_nc_u64_u32 v[104:105], s6, v8, s[10:11]
	v_add3_u32 v91, v5, v91, v3
	v_mul_lo_u32 v3, s6, v17
	v_mul_lo_u32 v8, s7, v16
	v_mad_nc_u64_u32 v[110:111], s6, v16, s[10:11]
	v_add_nc_u64_e32 v[4:5], 16, v[24:25]
	v_mul_lo_u32 v9, s6, v9
	v_mad_nc_u64_u32 v[86:87], s6, v12, s[8:9]
	v_mul_lo_u32 v13, s6, v13
	v_mul_lo_u32 v22, s7, v12
	v_add3_u32 v27, v19, v27, v7
	v_mad_nc_u64_u32 v[108:109], s6, v12, s[10:11]
	v_add3_u32 v95, v19, v95, v7
	v_add_nc_u64_e32 v[6:7], 18, v[24:25]
	v_add3_u32 v81, v18, v81, v11
	v_add3_u32 v93, v18, v93, v11
	v_mad_nc_u64_u32 v[112:113], s6, v4, s[8:9]
	v_mul_lo_u32 v10, s6, v5
	v_mul_lo_u32 v11, s7, v4
	v_mad_nc_u64_u32 v[114:115], s6, v4, s[10:11]
	v_add_nc_u64_e32 v[4:5], 20, v[24:25]
	v_mad_nc_u64_u32 v[84:85], s6, v14, s[8:9]
	v_mul_lo_u32 v15, s6, v15
	v_mul_lo_u32 v21, s7, v14
	v_mad_nc_u64_u32 v[106:107], s6, v14, s[10:11]
	v_add3_u32 v97, v8, v97, v3
	v_mad_nc_u64_u32 v[116:117], s6, v6, s[8:9]
	v_add3_u32 v111, v8, v111, v3
	v_mul_lo_u32 v3, s6, v7
	v_mul_lo_u32 v12, s7, v6
	v_mad_nc_u64_u32 v[118:119], s6, v6, s[10:11]
	v_add3_u32 v83, v20, v83, v9
	v_add3_u32 v87, v22, v87, v13
	;; [unrolled: 1-line block ×4, first 2 shown]
	v_add_nc_u64_e32 v[6:7], 22, v[24:25]
	v_mul_lo_u32 v13, s6, v5
	v_mul_lo_u32 v14, s7, v4
	v_add_nc_u64_e32 v[8:9], 24, v[24:25]
	v_mad_nc_u64_u32 v[120:121], s6, v4, s[8:9]
	v_mad_nc_u64_u32 v[122:123], s6, v4, s[10:11]
	v_add_nc_u64_e32 v[4:5], 26, v[24:25]
	v_add3_u32 v85, v21, v85, v15
	v_add3_u32 v107, v21, v107, v15
	v_mul_lo_u32 v7, s6, v7
	v_mul_lo_u32 v15, s7, v6
	v_mad_nc_u64_u32 v[124:125], s6, v6, s[8:9]
	v_mad_nc_u64_u32 v[126:127], s6, v6, s[10:11]
	v_mul_lo_u32 v16, s7, v8
	v_mad_nc_u64_u32 v[88:89], s6, v8, s[8:9]
	v_add3_u32 v117, v12, v117, v3
	v_add3_u32 v119, v12, v119, v3
	v_mad_nc_u64_u32 v[78:79], s6, v8, s[10:11]
	v_mul_lo_u32 v3, s6, v5
	v_mul_lo_u32 v8, s7, v4
	v_mad_nc_u64_u32 v[36:37], s6, v4, s[8:9]
	v_mad_nc_u64_u32 v[38:39], s6, v4, s[10:11]
	v_mul_lo_u32 v9, s6, v9
	v_add3_u32 v121, v14, v121, v13
	v_add3_u32 v123, v14, v123, v13
	;; [unrolled: 1-line block ×4, first 2 shown]
	v_lshlrev_b32_e32 v14, 4, v23
	v_add_nc_u64_e32 v[6:7], 28, v[24:25]
	v_add_nc_u64_e32 v[4:5], 30, v[24:25]
	v_add3_u32 v113, v11, v113, v10
	v_add3_u32 v37, v8, v37, v3
	;; [unrolled: 1-line block ×3, first 2 shown]
	v_and_b32_e32 v3, 0x3ff, v0
	v_mov_b32_e32 v15, v2
	v_add3_u32 v89, v16, v89, v9
	v_add3_u32 v79, v16, v79, v9
	;; [unrolled: 1-line block ×3, first 2 shown]
	v_add_nc_u32_e32 v16, s13, v3
	v_add_nc_u64_e32 v[34:35], s[16:17], v[14:15]
	v_mul_lo_u32 v7, s6, v7
	v_mul_lo_u32 v10, s7, v6
	v_mad_nc_u64_u32 v[40:41], s6, v6, s[8:9]
	v_mad_nc_u64_u32 v[76:77], s6, v6, s[10:11]
	v_mul_lo_u32 v12, s6, v5
	v_mul_lo_u32 v13, s7, v4
	v_mad_nc_u64_u32 v[44:45], s6, v4, s[8:9]
	v_mad_nc_u64_u32 v[46:47], s6, v4, s[10:11]
	v_add_nc_u64_e32 v[4:5], 15, v[34:35]
	v_mul_u64_e32 v[8:9], s[6:7], v[34:35]
	v_dual_mov_b32 v17, v2 :: v_dual_mov_b32 v70, 0
	v_add_nc_u64_e32 v[18:19], 10, v[34:35]
	v_add3_u32 v41, v10, v41, v7
	v_add3_u32 v77, v10, v77, v7
	v_add_nc_u64_e32 v[6:7], 14, v[34:35]
	v_mul_u64_e32 v[4:5], s[6:7], v[4:5]
	v_add_nc_u64_e32 v[10:11], 13, v[34:35]
	v_add3_u32 v45, v13, v45, v12
	v_add3_u32 v47, v13, v47, v12
	v_add_nc_u64_e32 v[12:13], 12, v[34:35]
	s_clause 0x2
	scratch_store_b32 off, v23, off offset:176
	scratch_store_b64 off, v[14:15], off offset:168
	scratch_store_b32 off, v0, off offset:184
	v_mul_u64_e32 v[6:7], s[6:7], v[6:7]
	v_mul_u64_e32 v[10:11], s[6:7], v[10:11]
	s_wait_xcnt 0x0
	v_mov_b64_e32 v[0:1], v[26:27]
	v_mul_u64_e32 v[12:13], s[6:7], v[12:13]
	v_add_nc_u64_e32 v[14:15], 11, v[34:35]
	v_add_nc_u64_e32 v[20:21], 9, v[34:35]
	;; [unrolled: 1-line block ×6, first 2 shown]
	v_lshlrev_b64_e32 v[98:99], 1, v[16:17]
	v_add_nc_u64_e32 v[16:17], 4, v[34:35]
	v_add_nc_u64_e32 v[32:33], 3, v[34:35]
	;; [unrolled: 1-line block ×3, first 2 shown]
	v_mul_u64_e32 v[18:19], s[6:7], v[18:19]
	v_mul_u64_e32 v[14:15], s[6:7], v[14:15]
	;; [unrolled: 1-line block ×3, first 2 shown]
	v_lshlrev_b64_e32 v[30:31], 1, v[8:9]
	v_mul_u64_e32 v[22:23], s[6:7], v[22:23]
	v_mul_u64_e32 v[24:25], s[6:7], v[24:25]
	v_mul_u64_e32 v[26:27], s[6:7], v[26:27]
	v_mul_u64_e32 v[28:29], s[6:7], v[28:29]
	v_mul_u64_e32 v[16:17], s[6:7], v[16:17]
	v_add_nc_u64_e32 v[8:9], s[6:7], v[8:9]
	v_lshlrev_b64_e32 v[4:5], 1, v[4:5]
	v_add_nc_u64_e32 v[100:101], s[8:9], v[30:31]
	v_add_nc_u64_e32 v[102:103], s[10:11], v[30:31]
	v_mul_u64_e32 v[30:31], s[6:7], v[32:33]
	v_mul_u64_e32 v[32:33], s[6:7], v[34:35]
	s_wait_kmcnt 0x0
	s_lshl_b32 s18, s2, 8
	s_mov_b64 s[40:41], 0xffffffffffffff0a
	v_add_nc_u64_e32 v[34:35], s[8:9], v[4:5]
	v_lshlrev_b64_e32 v[6:7], 1, v[6:7]
	v_add_nc_u64_e32 v[4:5], s[10:11], v[4:5]
	v_lshlrev_b64_e32 v[10:11], 1, v[10:11]
	v_lshlrev_b64_e32 v[12:13], 1, v[12:13]
	s_mul_u64 s[22:23], s[6:7], s[18:19]
	s_mov_b64 s[42:43], 0xffffffffffffff0b
	s_clause 0x2
	scratch_store_b64 off, v[34:35], off
	scratch_store_b32 off, v3, off offset:180
	scratch_store_b64 off, v[4:5], off offset:8
	s_wait_xcnt 0x0
	v_add_nc_u64_e32 v[4:5], s[8:9], v[6:7]
	s_lshl_b64 s[22:23], s[22:23], 1
	s_mov_b64 s[44:45], 0xffffffffffffff0c
	s_mov_b64 s[46:47], 0xffffffffffffff0d
	;; [unrolled: 1-line block ×5, first 2 shown]
	scratch_store_b64 off, v[4:5], off offset:16 ; 8-byte Folded Spill
	s_wait_xcnt 0x0
	v_add_nc_u64_e32 v[4:5], s[10:11], v[6:7]
	v_add_nc_u64_e32 v[6:7], s[8:9], v[10:11]
	s_add_nc_u64 s[54:55], s[16:17], 0xff
	s_clause 0x1
	scratch_store_b64 off, v[4:5], off offset:24
	scratch_store_b64 off, v[6:7], off offset:32
	s_wait_xcnt 0x0
	v_add_nc_u64_e32 v[6:7], s[10:11], v[10:11]
	v_add_nc_u64_e32 v[10:11], s[8:9], v[12:13]
	v_lshlrev_b64_e32 v[4:5], 1, v[14:15]
	scratch_store_b64 off, v[6:7], off offset:40 ; 8-byte Folded Spill
	s_wait_xcnt 0x0
	v_lshlrev_b64_e32 v[6:7], 1, v[18:19]
	s_delay_alu instid0(VALU_DEP_1)
	v_add_nc_u64_e32 v[14:15], s[8:9], v[6:7]
	scratch_store_b64 off, v[10:11], off offset:48 ; 8-byte Folded Spill
	s_wait_xcnt 0x0
	v_add_nc_u64_e32 v[10:11], s[10:11], v[12:13]
	v_lshlrev_b64_e32 v[12:13], 1, v[20:21]
	v_add_nc_u64_e32 v[6:7], s[10:11], v[6:7]
	scratch_store_b64 off, v[10:11], off offset:56 ; 8-byte Folded Spill
	s_wait_xcnt 0x0
	v_add_nc_u64_e32 v[10:11], s[8:9], v[4:5]
	v_add_nc_u64_e32 v[4:5], s[10:11], v[4:5]
	scratch_store_b64 off, v[6:7], off offset:88 ; 8-byte Folded Spill
	s_wait_xcnt 0x0
	v_add_nc_u64_e32 v[6:7], s[8:9], v[12:13]
	s_clause 0x1
	scratch_store_b64 off, v[10:11], off offset:64
	scratch_store_b64 off, v[4:5], off offset:72
	s_wait_xcnt 0x0
	v_lshlrev_b64_e32 v[4:5], 1, v[22:23]
	scratch_store_b64 off, v[6:7], off offset:96 ; 8-byte Folded Spill
	s_wait_xcnt 0x0
	v_add_nc_u64_e32 v[6:7], s[10:11], v[12:13]
	v_lshlrev_b64_e32 v[10:11], 1, v[24:25]
	scratch_store_b64 off, v[14:15], off offset:80 ; 8-byte Folded Spill
	v_add_nc_u64_e32 v[12:13], s[8:9], v[4:5]
	v_add_nc_u64_e32 v[4:5], s[10:11], v[4:5]
	scratch_store_b64 off, v[6:7], off offset:104 ; 8-byte Folded Spill
	s_wait_xcnt 0x0
	v_lshlrev_b64_e32 v[6:7], 1, v[26:27]
	scratch_store_b64 off, v[12:13], off offset:112 ; 8-byte Folded Spill
	s_wait_xcnt 0x0
	v_add_nc_u64_e32 v[12:13], s[8:9], v[6:7]
	scratch_store_b64 off, v[4:5], off offset:120 ; 8-byte Folded Spill
	s_wait_xcnt 0x0
	v_add_nc_u64_e32 v[4:5], s[8:9], v[10:11]
	v_add_nc_u64_e32 v[6:7], s[10:11], v[6:7]
	s_clause 0x1
	scratch_store_b64 off, v[4:5], off offset:128
	scratch_store_b64 off, v[6:7], off offset:152
	s_wait_xcnt 0x1
	v_add_nc_u64_e32 v[4:5], s[10:11], v[10:11]
	v_lshlrev_b64_e32 v[10:11], 1, v[16:17]
	s_wait_xcnt 0x0
	v_lshlrev_b64_e32 v[6:7], 1, v[30:31]
	scratch_store_b64 off, v[4:5], off offset:136 ; 8-byte Folded Spill
	s_wait_xcnt 0x0
	v_lshlrev_b64_e32 v[4:5], 1, v[28:29]
	v_add_nc_u64_e32 v[52:53], s[8:9], v[10:11]
	v_add_nc_u64_e32 v[54:55], s[10:11], v[10:11]
	v_add_nc_u64_e32 v[56:57], s[8:9], v[6:7]
	v_add_nc_u64_e32 v[58:59], s[10:11], v[6:7]
	v_add_nc_u64_e32 v[14:15], s[8:9], v[4:5]
	scratch_store_b64 off, v[12:13], off offset:144 ; 8-byte Folded Spill
	s_wait_xcnt 0x0
	v_lshlrev_b64_e32 v[12:13], 1, v[32:33]
	v_add_nc_u64_e32 v[50:51], s[10:11], v[4:5]
	v_lshlrev_b64_e32 v[4:5], 1, v[8:9]
	scratch_store_b64 off, v[14:15], off offset:160 ; 8-byte Folded Spill
	v_add_nc_u64_e32 v[60:61], s[8:9], v[12:13]
	v_add_nc_u64_e32 v[62:63], s[10:11], v[12:13]
	;; [unrolled: 1-line block ×4, first 2 shown]
	s_mov_b64 s[8:9], 0xffffffffffffff01
	s_mov_b64 s[10:11], 0xffffffffffffff02
.LBB197_86:                             ; =>This Inner Loop Header: Depth=1
	scratch_load_b64 v[4:5], off, off offset:168 ; 8-byte Folded Reload
	v_cmp_ge_i64_e64 s13, s[54:55], s[4:5]
	s_mov_b32 s2, -1
                                        ; implicit-def: $vgpr3
	s_and_b32 vcc_lo, exec_lo, s13
	s_wait_loadcnt 0x0
	v_add_nc_u64_e32 v[68:69], s[54:55], v[4:5]
	s_cbranch_vccz .LBB197_124
; %bb.87:                               ;   in Loop: Header=BB197_86 Depth=1
	s_load_b32 s2, s[20:21], 0xc
	s_clause 0x1
	scratch_load_b32 v3, off, off offset:176
	scratch_load_b32 v4, off, off offset:180
	v_mov_b32_e32 v71, 0
	s_wait_kmcnt 0x0
	s_and_b32 s2, s2, 0xffff
	s_wait_loadcnt 0x0
	v_mad_u32_u24 v3, v3, s2, v4
	s_mov_b32 s2, exec_lo
	s_delay_alu instid0(VALU_DEP_1) | instskip(SKIP_1) | instid1(VALU_DEP_1)
	v_and_b32_e32 v4, 31, v3
	s_wait_xcnt 0x0
	v_cmpx_gt_u32_e32 16, v4
	s_cbranch_execz .LBB197_91
; %bb.88:                               ;   in Loop: Header=BB197_86 Depth=1
	v_dual_mov_b32 v5, v2 :: v_dual_mov_b32 v71, 0
	s_mov_b32 s13, exec_lo
	s_delay_alu instid0(VALU_DEP_1) | instskip(NEXT) | instid1(VALU_DEP_1)
	v_add_nc_u64_e32 v[4:5], v[68:69], v[4:5]
	v_add_nc_u64_e32 v[4:5], s[8:9], v[4:5]
	s_delay_alu instid0(VALU_DEP_1)
	v_cmpx_gt_i64_e64 s[4:5], v[4:5]
	s_cbranch_execz .LBB197_90
; %bb.89:                               ;   in Loop: Header=BB197_86 Depth=1
	v_lshl_add_u64 v[4:5], v[4:5], 2, s[14:15]
	global_load_b32 v71, v[4:5], off
.LBB197_90:                             ;   in Loop: Header=BB197_86 Depth=1
	s_wait_xcnt 0x0
	s_or_b32 exec_lo, exec_lo, s13
.LBB197_91:                             ;   in Loop: Header=BB197_86 Depth=1
	s_delay_alu instid0(SALU_CYCLE_1)
	s_or_b32 exec_lo, exec_lo, s2
	v_add_nc_u64_e32 v[18:19], s[8:9], v[68:69]
	v_dual_mov_b32 v15, v2 :: v_dual_mov_b32 v16, v2
	v_dual_mov_b32 v17, v2 :: v_dual_mov_b32 v3, v2
	;; [unrolled: 1-line block ×7, first 2 shown]
	v_mov_b32_e32 v14, v2
	v_mov_b64_e32 v[34:35], v[16:17]
	v_cmp_gt_i64_e32 vcc_lo, s[4:5], v[18:19]
	v_mov_b64_e32 v[28:29], v[10:11]
	v_mov_b64_e32 v[30:31], v[12:13]
	;; [unrolled: 1-line block ×15, first 2 shown]
	s_and_saveexec_b32 s2, vcc_lo
	s_cbranch_execz .LBB197_93
; %bb.92:                               ;   in Loop: Header=BB197_86 Depth=1
	v_add_nc_u64_e32 v[4:5], v[100:101], v[98:99]
	v_add_nc_u64_e32 v[6:7], v[102:103], v[98:99]
	v_dual_mov_b32 v9, v2 :: v_dual_mov_b32 v10, v2
	v_dual_mov_b32 v11, v2 :: v_dual_mov_b32 v12, v2
	v_dual_mov_b32 v13, v2 :: v_dual_mov_b32 v14, v2
	global_load_u16 v3, v[4:5], off
	global_load_u16 v20, v[6:7], off
	s_wait_xcnt 0x0
	v_dual_mov_b32 v5, v2 :: v_dual_mov_b32 v6, v2
	v_dual_mov_b32 v7, v2 :: v_dual_mov_b32 v8, v2
	;; [unrolled: 1-line block ×12, first 2 shown]
	s_wait_loadcnt 0x0
	v_dual_lshlrev_b32 v4, 16, v3 :: v_dual_lshlrev_b32 v20, 16, v20
.LBB197_93:                             ;   in Loop: Header=BB197_86 Depth=1
	s_or_b32 exec_lo, exec_lo, s2
	v_add_nc_u64_e32 v[72:73], s[10:11], v[68:69]
	s_mov_b32 s2, exec_lo
	s_delay_alu instid0(VALU_DEP_1)
	v_cmpx_gt_i64_e64 s[4:5], v[72:73]
	s_cbranch_execz .LBB197_95
; %bb.94:                               ;   in Loop: Header=BB197_86 Depth=1
	v_add_nc_u64_e32 v[72:73], v[64:65], v[98:99]
	global_load_u16 v3, v[72:73], off
	s_wait_xcnt 0x0
	v_add_nc_u64_e32 v[72:73], v[66:67], v[98:99]
	s_wait_loadcnt 0x0
	v_lshlrev_b32_e32 v5, 16, v3
	global_load_u16 v3, v[72:73], off
	s_wait_loadcnt 0x0
	v_lshlrev_b32_e32 v21, 16, v3
.LBB197_95:                             ;   in Loop: Header=BB197_86 Depth=1
	s_wait_xcnt 0x0
	s_or_b32 exec_lo, exec_lo, s2
	v_add_nc_u64_e32 v[72:73], s[24:25], v[68:69]
	s_mov_b32 s2, exec_lo
	s_delay_alu instid0(VALU_DEP_1)
	v_cmpx_gt_i64_e64 s[4:5], v[72:73]
	s_cbranch_execz .LBB197_97
; %bb.96:                               ;   in Loop: Header=BB197_86 Depth=1
	v_add_nc_u64_e32 v[72:73], v[60:61], v[98:99]
	global_load_u16 v3, v[72:73], off
	s_wait_xcnt 0x0
	v_add_nc_u64_e32 v[72:73], v[62:63], v[98:99]
	s_wait_loadcnt 0x0
	v_lshlrev_b32_e32 v6, 16, v3
	global_load_u16 v3, v[72:73], off
	s_wait_loadcnt 0x0
	v_lshlrev_b32_e32 v22, 16, v3
.LBB197_97:                             ;   in Loop: Header=BB197_86 Depth=1
	s_wait_xcnt 0x0
	;; [unrolled: 18-line block ×3, first 2 shown]
	s_or_b32 exec_lo, exec_lo, s2
	v_add_nc_u64_e32 v[72:73], s[28:29], v[68:69]
	s_mov_b32 s2, exec_lo
	s_delay_alu instid0(VALU_DEP_1)
	v_cmpx_gt_i64_e64 s[4:5], v[72:73]
	s_cbranch_execz .LBB197_101
; %bb.100:                              ;   in Loop: Header=BB197_86 Depth=1
	v_add_nc_u64_e32 v[72:73], v[52:53], v[98:99]
	global_load_u16 v3, v[72:73], off
	s_wait_xcnt 0x0
	v_add_nc_u64_e32 v[72:73], v[54:55], v[98:99]
	s_wait_loadcnt 0x0
	v_lshlrev_b32_e32 v8, 16, v3
	global_load_u16 v3, v[72:73], off
	s_wait_loadcnt 0x0
	v_lshlrev_b32_e32 v24, 16, v3
.LBB197_101:                            ;   in Loop: Header=BB197_86 Depth=1
	s_wait_xcnt 0x0
	s_or_b32 exec_lo, exec_lo, s2
	v_add_nc_u64_e32 v[72:73], s[30:31], v[68:69]
	s_mov_b32 s2, exec_lo
	s_delay_alu instid0(VALU_DEP_1)
	v_cmpx_gt_i64_e64 s[4:5], v[72:73]
	s_cbranch_execz .LBB197_103
; %bb.102:                              ;   in Loop: Header=BB197_86 Depth=1
	scratch_load_b64 v[48:49], off, off offset:160 ; 8-byte Folded Reload
	s_wait_loadcnt 0x0
	v_add_nc_u64_e32 v[72:73], v[48:49], v[98:99]
	global_load_u16 v3, v[72:73], off
	s_wait_xcnt 0x0
	v_add_nc_u64_e32 v[72:73], v[50:51], v[98:99]
	s_wait_loadcnt 0x0
	v_lshlrev_b32_e32 v9, 16, v3
	global_load_u16 v3, v[72:73], off
	s_wait_loadcnt 0x0
	v_lshlrev_b32_e32 v25, 16, v3
.LBB197_103:                            ;   in Loop: Header=BB197_86 Depth=1
	s_wait_xcnt 0x0
	s_or_b32 exec_lo, exec_lo, s2
	v_add_nc_u64_e32 v[72:73], s[34:35], v[68:69]
	s_mov_b32 s2, exec_lo
	s_delay_alu instid0(VALU_DEP_1)
	v_cmpx_gt_i64_e64 s[4:5], v[72:73]
	s_cbranch_execz .LBB197_105
; %bb.104:                              ;   in Loop: Header=BB197_86 Depth=1
	scratch_load_b64 v[48:49], off, off offset:144 ; 8-byte Folded Reload
	s_wait_loadcnt 0x0
	v_add_nc_u64_e32 v[72:73], v[48:49], v[98:99]
	scratch_load_b64 v[48:49], off, off offset:152 ; 8-byte Folded Reload
	global_load_u16 v3, v[72:73], off
	s_wait_loadcnt 0x1
	s_wait_xcnt 0x0
	v_add_nc_u64_e32 v[72:73], v[48:49], v[98:99]
	s_wait_loadcnt 0x0
	v_lshlrev_b32_e32 v10, 16, v3
	global_load_u16 v3, v[72:73], off
	s_wait_loadcnt 0x0
	v_lshlrev_b32_e32 v26, 16, v3
.LBB197_105:                            ;   in Loop: Header=BB197_86 Depth=1
	s_wait_xcnt 0x0
	s_or_b32 exec_lo, exec_lo, s2
	v_add_nc_u64_e32 v[72:73], s[36:37], v[68:69]
	s_mov_b32 s2, exec_lo
	s_delay_alu instid0(VALU_DEP_1)
	v_cmpx_gt_i64_e64 s[4:5], v[72:73]
	s_cbranch_execz .LBB197_107
; %bb.106:                              ;   in Loop: Header=BB197_86 Depth=1
	scratch_load_b64 v[48:49], off, off offset:128 ; 8-byte Folded Reload
	s_wait_loadcnt 0x0
	v_add_nc_u64_e32 v[72:73], v[48:49], v[98:99]
	scratch_load_b64 v[48:49], off, off offset:136 ; 8-byte Folded Reload
	global_load_u16 v3, v[72:73], off
	s_wait_loadcnt 0x1
	s_wait_xcnt 0x0
	v_add_nc_u64_e32 v[72:73], v[48:49], v[98:99]
	s_wait_loadcnt 0x0
	v_lshlrev_b32_e32 v11, 16, v3
	global_load_u16 v3, v[72:73], off
	s_wait_loadcnt 0x0
	v_lshlrev_b32_e32 v27, 16, v3
.LBB197_107:                            ;   in Loop: Header=BB197_86 Depth=1
	;; [unrolled: 22-line block ×9, first 2 shown]
	s_wait_xcnt 0x0
	s_or_b32 exec_lo, exec_lo, s2
	v_add_nc_u64_e32 v[72:73], s[52:53], v[68:69]
	s_mov_b32 s2, exec_lo
	s_delay_alu instid0(VALU_DEP_1)
	v_cmpx_gt_i64_e64 s[4:5], v[72:73]
	s_cbranch_execz .LBB197_123
; %bb.122:                              ;   in Loop: Header=BB197_86 Depth=1
	scratch_load_b64 v[48:49], off, off     ; 8-byte Folded Reload
	s_wait_loadcnt 0x0
	v_add_nc_u64_e32 v[72:73], v[48:49], v[98:99]
	scratch_load_b64 v[48:49], off, off offset:8 ; 8-byte Folded Reload
	global_load_u16 v3, v[72:73], off
	s_wait_loadcnt 0x1
	s_wait_xcnt 0x0
	v_add_nc_u64_e32 v[72:73], v[48:49], v[98:99]
	s_wait_loadcnt 0x0
	v_lshlrev_b32_e32 v19, 16, v3
	global_load_u16 v3, v[72:73], off
	s_wait_loadcnt 0x0
	v_lshlrev_b32_e32 v35, 16, v3
.LBB197_123:                            ;   in Loop: Header=BB197_86 Depth=1
	s_wait_xcnt 0x0
	s_or_b32 exec_lo, exec_lo, s2
	s_wait_loadcnt 0x0
	ds_bpermute_b32 v3, v2, v71
	v_dual_mul_f32 v4, v20, v4 :: v_dual_mul_f32 v5, v21, v5
	ds_bpermute_b32 v20, v2, v71 offset:16
	ds_bpermute_b32 v21, v2, v71 offset:20
	v_pk_mul_f32 v[8:9], v[24:25], v[8:9]
	v_pk_mul_f32 v[10:11], v[26:27], v[10:11]
	;; [unrolled: 1-line block ×4, first 2 shown]
	s_mov_b32 s2, 0
	s_wait_dscnt 0x2
	v_fma_f32 v3, v4, v3, v70
	ds_bpermute_b32 v4, v2, v71 offset:4
	s_wait_dscnt 0x1
	v_pk_mul_f32 v[8:9], v[8:9], v[20:21]
	s_wait_dscnt 0x0
	v_fmac_f32_e32 v3, v5, v4
	ds_bpermute_b32 v4, v2, v71 offset:8
	v_mul_f32_e32 v5, v22, v6
	s_wait_dscnt 0x0
	s_delay_alu instid0(VALU_DEP_1) | instskip(SKIP_4) | instid1(VALU_DEP_2)
	v_fmac_f32_e32 v3, v5, v4
	ds_bpermute_b32 v4, v2, v71 offset:12
	v_mul_f32_e32 v5, v23, v7
	v_pk_mul_f32 v[6:7], v[32:33], v[16:17]
	s_wait_dscnt 0x0
	v_fmac_f32_e32 v3, v5, v4
	v_pk_mul_f32 v[4:5], v[34:35], v[18:19]
	s_delay_alu instid0(VALU_DEP_2)
	v_add_f32_e32 v3, v3, v8
	ds_bpermute_b32 v8, v2, v71 offset:24
	v_add_f32_e32 v3, v3, v9
	ds_bpermute_b32 v9, v2, v71 offset:28
	s_wait_dscnt 0x0
	v_pk_mul_f32 v[8:9], v[10:11], v[8:9]
	s_delay_alu instid0(VALU_DEP_1)
	v_add_f32_e32 v3, v3, v8
	ds_bpermute_b32 v8, v2, v71 offset:32
	v_add_f32_e32 v3, v3, v9
	ds_bpermute_b32 v9, v2, v71 offset:36
	s_wait_dscnt 0x0
	v_pk_mul_f32 v[8:9], v[12:13], v[8:9]
	s_delay_alu instid0(VALU_DEP_1)
	;; [unrolled: 7-line block ×4, first 2 shown]
	v_add_f32_e32 v3, v3, v6
	ds_bpermute_b32 v6, v2, v71 offset:56
	v_add_f32_e32 v3, v3, v7
	ds_bpermute_b32 v7, v2, v71 offset:60
	s_wait_dscnt 0x0
	v_pk_mul_f32 v[4:5], v[4:5], v[6:7]
	s_delay_alu instid0(VALU_DEP_1) | instskip(NEXT) | instid1(VALU_DEP_1)
	v_add_f32_e32 v3, v3, v4
	v_add_f32_e32 v3, v3, v5
.LBB197_124:                            ;   in Loop: Header=BB197_86 Depth=1
	s_and_b32 vcc_lo, exec_lo, s2
	s_cbranch_vccz .LBB197_130
; %bb.125:                              ;   in Loop: Header=BB197_86 Depth=1
	s_load_b32 s2, s[20:21], 0x0
	s_wait_kmcnt 0x0
	s_cmp_lt_u32 s12, s2
	s_cselect_b32 s2, 12, 18
	s_delay_alu instid0(SALU_CYCLE_1)
	s_add_nc_u64 s[56:57], s[20:21], s[2:3]
	s_load_u16 s2, s[56:57], 0x0
	s_clause 0x1
	scratch_load_b32 v3, off, off offset:176
	scratch_load_b32 v4, off, off offset:180
	s_wait_loadcnt 0x0
	s_wait_kmcnt 0x0
	v_mad_u32_u24 v3, v3, s2, v4
	s_mov_b32 s2, exec_lo
	s_delay_alu instid0(VALU_DEP_1) | instskip(SKIP_1) | instid1(VALU_DEP_1)
	v_dual_mov_b32 v3, 0 :: v_dual_bitop2_b32 v4, 31, v3 bitop3:0x40
	s_wait_xcnt 0x0
	v_cmpx_gt_u32_e32 16, v4
	s_cbranch_execz .LBB197_129
; %bb.126:                              ;   in Loop: Header=BB197_86 Depth=1
	v_dual_mov_b32 v5, v2 :: v_dual_mov_b32 v3, 0
	s_mov_b32 s13, exec_lo
	s_delay_alu instid0(VALU_DEP_1) | instskip(NEXT) | instid1(VALU_DEP_1)
	v_add_nc_u64_e32 v[4:5], v[68:69], v[4:5]
	v_add_nc_u64_e32 v[4:5], s[8:9], v[4:5]
	s_delay_alu instid0(VALU_DEP_1)
	v_cmpx_gt_i64_e64 s[4:5], v[4:5]
	s_cbranch_execz .LBB197_128
; %bb.127:                              ;   in Loop: Header=BB197_86 Depth=1
	v_lshl_add_u64 v[4:5], v[4:5], 2, s[14:15]
	global_load_b32 v3, v[4:5], off
.LBB197_128:                            ;   in Loop: Header=BB197_86 Depth=1
	s_wait_xcnt 0x0
	s_or_b32 exec_lo, exec_lo, s13
.LBB197_129:                            ;   in Loop: Header=BB197_86 Depth=1
	s_delay_alu instid0(SALU_CYCLE_1)
	s_or_b32 exec_lo, exec_lo, s2
	v_add_nc_u64_e32 v[4:5], v[100:101], v[98:99]
	v_add_nc_u64_e32 v[10:11], v[84:85], v[98:99]
	;; [unrolled: 1-line block ×7, first 2 shown]
	global_load_u16 v4, v[4:5], off
	global_load_u16 v5, v[6:7], off
	;; [unrolled: 1-line block ×6, first 2 shown]
	v_add_nc_u64_e32 v[18:19], v[90:91], v[98:99]
	v_add_nc_u64_e32 v[10:11], v[80:81], v[98:99]
	s_wait_xcnt 0x0
	v_add_nc_u64_e32 v[12:13], v[92:93], v[98:99]
	global_load_u16 v24, v[16:17], off
	global_load_u16 v25, v[18:19], off
	global_load_u16 v26, v[10:11], off
	global_load_u16 v27, v[12:13], off
	s_wait_xcnt 0x1
	v_add_nc_u64_e32 v[10:11], v[0:1], v[98:99]
	s_wait_xcnt 0x0
	v_add_nc_u64_e32 v[12:13], v[94:95], v[98:99]
	v_add_nc_u64_e32 v[14:15], v[96:97], v[98:99]
	global_load_u16 v28, v[10:11], off
	global_load_u16 v29, v[12:13], off
	s_wait_xcnt 0x1
	v_add_nc_u64_e32 v[10:11], v[86:87], v[98:99]
	s_wait_xcnt 0x0
	v_add_nc_u64_e32 v[12:13], v[110:111], v[98:99]
	v_add_nc_u64_e32 v[16:17], v[108:109], v[98:99]
	global_load_u16 v30, v[14:15], off
	v_add_nc_u64_e32 v[18:19], v[116:117], v[98:99]
	global_load_u16 v31, v[10:11], off
	global_load_u16 v32, v[12:13], off
	;; [unrolled: 1-line block ×3, first 2 shown]
	s_wait_xcnt 0x3
	v_add_nc_u64_e32 v[14:15], v[112:113], v[98:99]
	s_wait_xcnt 0x2
	v_add_nc_u64_e32 v[10:11], v[118:119], v[98:99]
	;; [unrolled: 2-line block ×3, first 2 shown]
	global_load_u16 v34, v[18:19], off
	s_wait_xcnt 0x1
	v_add_nc_u64_e32 v[16:17], v[124:125], v[98:99]
	v_add_nc_u64_e32 v[20:21], v[120:121], v[98:99]
	s_wait_xcnt 0x0
	v_add_nc_u64_e32 v[18:19], v[126:127], v[98:99]
	global_load_u16 v35, v[14:15], off
	global_load_u16 v68, v[10:11], off
	;; [unrolled: 1-line block ×3, first 2 shown]
	v_add_nc_u64_e32 v[22:23], v[122:123], v[98:99]
	s_wait_xcnt 0x1
	v_add_nc_u64_e32 v[10:11], v[36:37], v[98:99]
	s_wait_xcnt 0x0
	v_add_nc_u64_e32 v[12:13], v[88:89], v[98:99]
	global_load_u16 v71, v[16:17], off
	global_load_u16 v20, v[20:21], off
	;; [unrolled: 1-line block ×3, first 2 shown]
	v_add_nc_u64_e32 v[14:15], v[38:39], v[98:99]
	s_wait_xcnt 0x2
	v_add_nc_u64_e32 v[16:17], v[78:79], v[98:99]
	global_load_u16 v19, v[22:23], off
	global_load_u16 v21, v[10:11], off
	s_wait_xcnt 0x0
	v_add_nc_u64_e32 v[10:11], v[44:45], v[98:99]
	global_load_u16 v22, v[12:13], off
	global_load_u16 v23, v[14:15], off
	;; [unrolled: 4-line block ×3, first 2 shown]
	s_wait_xcnt 0x0
	v_add_nc_u64_e32 v[10:11], v[46:47], v[98:99]
	v_mov_b64_e32 v[42:43], v[40:41]
	v_mov_b64_e32 v[40:41], v[38:39]
	;; [unrolled: 1-line block ×27, first 2 shown]
	global_load_u16 v74, v[12:13], off
	global_load_u16 v75, v[10:11], off
	s_wait_xcnt 0x0
	v_add_nc_u64_e32 v[10:11], v[76:77], v[98:99]
	v_mov_b64_e32 v[48:49], v[46:47]
	v_mov_b64_e32 v[46:47], v[44:45]
	s_wait_loadcnt 0x1f
	ds_bpermute_b32 v15, v2, v3 offset:8
	ds_bpermute_b32 v16, v2, v3 offset:12
	global_load_u16 v44, v[10:11], off
	s_wait_loadcnt 0x1e
	s_wait_xcnt 0x0
	v_dual_lshlrev_b32 v10, 16, v4 :: v_dual_lshlrev_b32 v11, 16, v5
	s_wait_loadcnt 0x1c
	v_dual_lshlrev_b32 v5, 16, v7 :: v_dual_lshlrev_b32 v4, 16, v6
	s_wait_loadcnt 0x1a
	v_dual_lshlrev_b32 v7, 16, v9 :: v_dual_lshlrev_b32 v6, 16, v8
	ds_bpermute_b32 v8, v2, v3
	s_wait_loadcnt 0x17
	v_dual_mul_f32 v10, v10, v11 :: v_dual_lshlrev_b32 v13, 16, v26
	ds_bpermute_b32 v11, v2, v3 offset:4
	v_dual_lshlrev_b32 v9, 16, v24 :: v_dual_lshlrev_b32 v12, 16, v25
	s_wait_loadcnt 0x16
	v_lshlrev_b32_e32 v14, 16, v27
	v_pk_mul_f32 v[4:5], v[4:5], v[6:7]
	ds_bpermute_b32 v6, v2, v3 offset:16
	ds_bpermute_b32 v7, v2, v3 offset:20
	v_mul_f32_e32 v12, v9, v12
	s_wait_loadcnt 0x15
	v_dual_mul_f32 v14, v13, v14 :: v_dual_lshlrev_b32 v13, 16, v28
	s_wait_loadcnt 0x14
	v_lshlrev_b32_e32 v17, 16, v29
	ds_bpermute_b32 v9, v2, v3 offset:28
	s_wait_dscnt 0x4
	v_dual_mul_f32 v17, v13, v17 :: v_dual_fmac_f32 v70, v10, v8
	ds_bpermute_b32 v8, v2, v3 offset:24
	ds_bpermute_b32 v10, v2, v3 offset:32
	s_wait_loadcnt_dscnt 0x1305
	v_dual_fmac_f32 v70, v12, v11 :: v_dual_lshlrev_b32 v13, 16, v30
	ds_bpermute_b32 v11, v2, v3 offset:36
	s_wait_loadcnt 0x12
	v_lshlrev_b32_e32 v12, 16, v31
	s_wait_dscnt 0x4
	v_pk_mul_f32 v[4:5], v[4:5], v[6:7]
	s_wait_loadcnt 0x11
	v_dual_fmac_f32 v70, v14, v15 :: v_dual_lshlrev_b32 v15, 16, v32
	s_wait_loadcnt 0x10
	v_lshlrev_b32_e32 v14, 16, v33
	ds_bpermute_b32 v6, v2, v3 offset:40
	ds_bpermute_b32 v7, v2, v3 offset:44
	s_wait_loadcnt 0xf
	v_dual_fmac_f32 v70, v17, v16 :: v_dual_lshlrev_b32 v17, 16, v34
	v_pk_mul_f32 v[12:13], v[12:13], v[14:15]
	s_wait_loadcnt 0xd
	v_dual_lshlrev_b32 v16, 16, v35 :: v_dual_lshlrev_b32 v15, 16, v68
	s_wait_loadcnt 0xc
	v_dual_add_f32 v4, v70, v4 :: v_dual_lshlrev_b32 v14, 16, v69
	s_wait_dscnt 0x4
	v_pk_mul_f32 v[8:9], v[12:13], v[8:9]
	s_wait_loadcnt 0xb
	s_delay_alu instid0(VALU_DEP_2)
	v_dual_add_f32 v12, v4, v5 :: v_dual_lshlrev_b32 v13, 16, v71
	v_pk_mul_f32 v[14:15], v[16:17], v[14:15]
	s_wait_loadcnt 0x9
	v_lshlrev_b32_e32 v17, 16, v18
	ds_bpermute_b32 v4, v2, v3 offset:48
	ds_bpermute_b32 v5, v2, v3 offset:52
	s_wait_loadcnt 0x8
	v_dual_add_f32 v8, v12, v8 :: v_dual_lshlrev_b32 v16, 16, v19
	v_lshlrev_b32_e32 v12, 16, v20
	s_wait_dscnt 0x4
	v_pk_mul_f32 v[10:11], v[14:15], v[10:11]
	s_wait_loadcnt 0x6
	v_dual_add_f32 v9, v8, v9 :: v_dual_lshlrev_b32 v14, 16, v22
	v_lshlrev_b32_e32 v15, 16, v21
	v_pk_mul_f32 v[12:13], v[12:13], v[16:17]
	ds_bpermute_b32 v8, v2, v3 offset:56
	s_wait_loadcnt 0x5
	v_dual_lshlrev_b32 v17, 16, v23 :: v_dual_add_f32 v9, v9, v10
	s_wait_loadcnt 0x4
	v_lshlrev_b32_e32 v16, 16, v72
	s_wait_dscnt 0x3
	v_pk_mul_f32 v[6:7], v[12:13], v[6:7]
	s_wait_loadcnt 0x3
	v_dual_add_f32 v12, v9, v11 :: v_dual_lshlrev_b32 v13, 16, v73
	ds_bpermute_b32 v9, v2, v3 offset:60
	v_pk_mul_f32 v[10:11], v[14:15], v[16:17]
	v_add_f32_e32 v3, v12, v6
	s_wait_loadcnt 0x1
	v_dual_lshlrev_b32 v12, 16, v74 :: v_dual_lshlrev_b32 v15, 16, v75
	s_wait_dscnt 0x2
	v_pk_mul_f32 v[4:5], v[10:11], v[4:5]
	v_mov_b64_e32 v[74:75], v[80:81]
	v_add_f32_e32 v3, v3, v7
	v_mov_b64_e32 v[80:81], v[0:1]
	v_mov_b64_e32 v[0:1], v[82:83]
	;; [unrolled: 1-line block ×3, first 2 shown]
	s_wait_loadcnt 0x0
	v_lshlrev_b32_e32 v14, 16, v44
	v_add_f32_e32 v3, v3, v4
	v_mov_b64_e32 v[84:85], v[86:87]
	v_mov_b64_e32 v[86:87], v[90:91]
	;; [unrolled: 1-line block ×3, first 2 shown]
	v_pk_mul_f32 v[6:7], v[12:13], v[14:15]
	v_add_f32_e32 v3, v3, v5
	v_mov_b64_e32 v[92:93], v[94:95]
	v_mov_b64_e32 v[94:95], v[96:97]
	;; [unrolled: 1-line block ×3, first 2 shown]
	s_wait_dscnt 0x0
	v_pk_mul_f32 v[4:5], v[6:7], v[8:9]
	v_mov_b64_e32 v[104:105], v[106:107]
	v_mov_b64_e32 v[106:107], v[108:109]
	;; [unrolled: 1-line block ×4, first 2 shown]
	v_add_f32_e32 v3, v3, v4
	v_mov_b64_e32 v[112:113], v[114:115]
	v_mov_b64_e32 v[114:115], v[116:117]
	;; [unrolled: 1-line block ×15, first 2 shown]
	v_add_f32_e32 v3, v3, v5
.LBB197_130:                            ;   in Loop: Header=BB197_86 Depth=1
	scratch_load_b64 v[4:5], off, off       ; 8-byte Folded Reload
	s_add_nc_u64 s[16:17], s[16:17], s[18:19]
	v_add_nc_u64_e32 v[100:101], s[22:23], v[100:101]
	v_cmp_ge_i64_e64 s2, s[16:17], s[4:5]
	v_add_nc_u64_e32 v[102:103], s[22:23], v[102:103]
	v_add_nc_u64_e32 v[74:75], s[22:23], v[74:75]
	;; [unrolled: 1-line block ×40, first 2 shown]
	s_and_b32 vcc_lo, exec_lo, s2
	s_add_nc_u64 s[54:55], s[54:55], s[18:19]
	s_wait_loadcnt 0x0
	v_add_nc_u64_e32 v[4:5], s[22:23], v[4:5]
	s_clause 0x1
	scratch_store_b64 off, v[4:5], off
	scratch_load_b64 v[4:5], off, off offset:8
	s_wait_loadcnt 0x0
	v_add_nc_u64_e32 v[4:5], s[22:23], v[4:5]
	s_clause 0x1
	scratch_store_b64 off, v[4:5], off offset:8
	scratch_load_b64 v[4:5], off, off offset:16
	s_wait_loadcnt 0x0
	v_add_nc_u64_e32 v[4:5], s[22:23], v[4:5]
	s_clause 0x1
	scratch_store_b64 off, v[4:5], off offset:16
	;; [unrolled: 5-line block ×19, first 2 shown]
	scratch_load_b64 v[4:5], off, off offset:160
	s_wait_loadcnt 0x0
	v_add_nc_u64_e32 v[4:5], s[22:23], v[4:5]
	scratch_store_b64 off, v[4:5], off offset:160 ; 8-byte Folded Spill
	s_cbranch_vccnz .LBB197_132
; %bb.131:                              ;   in Loop: Header=BB197_86 Depth=1
	v_mov_b32_e32 v70, v3
	s_branch .LBB197_86
.LBB197_132:
	scratch_load_b32 v0, off, off offset:184 ; 4-byte Folded Reload
.LBB197_133:
	s_wait_loadcnt 0x0
	s_wait_xcnt 0x1
	s_delay_alu instid0(VALU_DEP_1) | instskip(SKIP_2) | instid1(VALU_DEP_1)
	v_and_b32_e32 v5, 0x3ff, v0
	v_bfe_u32 v0, v0, 10, 10
	s_mov_b32 s2, exec_lo
	v_mad_u32_u24 v1, 0x41, v0, v5
	v_mov_b32_e32 v4, 0
	s_delay_alu instid0(VALU_DEP_2)
	v_lshl_add_u32 v2, v1, 2, 0
	v_sub_nc_u32_e32 v1, v1, v0
	ds_store_b32 v2, v3
	ds_store_b32 v2, v4 offset:4160
	s_wait_storecnt_dscnt 0x0
	s_barrier_signal -1
	s_barrier_wait -1
	s_wait_xcnt 0x0
	v_cmpx_gt_u32_e32 0x800, v1
	s_cbranch_execz .LBB197_143
; %bb.134:
	s_load_b64 s[2:3], s[0:1], 0x30
	v_and_b32_e32 v2, 31, v5
	v_lshrrev_b32_e32 v0, 5, v1
	s_delay_alu instid0(VALU_DEP_2)
	v_cmp_gt_u32_e32 vcc_lo, 16, v2
	v_mul_u32_u24_e32 v4, 0x41, v2
                                        ; implicit-def: $vgpr2
	s_wait_xcnt 0x0
	s_and_saveexec_b32 s0, vcc_lo
	s_cbranch_execz .LBB197_136
; %bb.135:
	v_lshlrev_b32_e32 v2, 2, v0
	v_lshlrev_b32_e32 v3, 2, v4
	s_delay_alu instid0(VALU_DEP_1)
	v_add3_u32 v2, 0, v2, v3
	ds_load_b32 v2, v2
.LBB197_136:
	s_or_b32 exec_lo, exec_lo, s0
	v_mbcnt_lo_u32_b32 v3, -1, 0
	s_mov_b32 s13, 0
	s_delay_alu instid0(SALU_CYCLE_1)
	s_lshl_b64 s[4:5], s[12:13], 6
	s_wait_kmcnt 0x0
	s_cmp_eq_u64 s[2:3], 0
	v_xor_b32_e32 v6, 8, v3
	s_cselect_b32 s8, -1, 0
	v_xor_b32_e32 v7, 4, v3
	v_xor_b32_e32 v10, 1, v3
	s_delay_alu instid0(VALU_DEP_3) | instskip(NEXT) | instid1(VALU_DEP_1)
	v_cmp_gt_i32_e64 s0, 32, v6
	v_cndmask_b32_e64 v6, v3, v6, s0
	s_delay_alu instid0(VALU_DEP_4) | instskip(NEXT) | instid1(VALU_DEP_1)
	v_cmp_gt_i32_e64 s0, 32, v7
	v_dual_lshlrev_b32 v6, 2, v6 :: v_dual_cndmask_b32 v7, v3, v7, s0
	s_wait_dscnt 0x0
	ds_bpermute_b32 v8, v6, v2
	s_wait_dscnt 0x0
	v_dual_add_f32 v2, v2, v8 :: v_dual_bitop2_b32 v8, 2, v3 bitop3:0x14
	s_delay_alu instid0(VALU_DEP_1) | instskip(NEXT) | instid1(VALU_DEP_1)
	v_cmp_gt_i32_e64 s0, 32, v8
	v_dual_lshlrev_b32 v7, 2, v7 :: v_dual_cndmask_b32 v8, v3, v8, s0
	ds_bpermute_b32 v9, v7, v2
	v_cmp_gt_i32_e64 s0, 32, v10
	s_wait_dscnt 0x0
	v_dual_lshlrev_b32 v8, 2, v8 :: v_dual_add_f32 v2, v2, v9
	ds_bpermute_b32 v9, v8, v2
	v_cndmask_b32_e64 v3, v3, v10, s0
	v_cmp_ne_u32_e64 s0, 0, v5
	s_wait_dscnt 0x0
	s_delay_alu instid0(VALU_DEP_2) | instskip(SKIP_4) | instid1(VALU_DEP_1)
	v_dual_add_f32 v10, v2, v9 :: v_dual_lshlrev_b32 v9, 2, v3
	v_or_b32_e32 v2, s4, v0
	ds_bpermute_b32 v11, v9, v10
	s_wait_dscnt 0x0
	v_dual_mov_b32 v3, s5 :: v_dual_add_f32 v5, v10, v11
	v_cmp_le_i64_e64 s1, s[6:7], v[2:3]
	s_or_b32 s1, s0, s1
	s_delay_alu instid0(SALU_CYCLE_1) | instskip(NEXT) | instid1(SALU_CYCLE_1)
	s_nor_b32 s1, s8, s1
	s_and_saveexec_b32 s9, s1
	s_cbranch_execz .LBB197_138
; %bb.137:
	v_bfe_u32 v10, v5, 16, 1
	v_cmp_o_f32_e64 s1, v5, v5
	v_lshl_add_u64 v[2:3], v[2:3], 1, s[2:3]
	s_delay_alu instid0(VALU_DEP_3) | instskip(NEXT) | instid1(VALU_DEP_1)
	v_add3_u32 v10, v5, v10, 0x7fff
	v_lshrrev_b32_e32 v10, 16, v10
	s_delay_alu instid0(VALU_DEP_1)
	v_cndmask_b32_e64 v10, 0x7fc0, v10, s1
	global_store_b16 v[2:3], v10, off
.LBB197_138:
	s_wait_xcnt 0x0
	s_or_b32 exec_lo, exec_lo, s9
	v_cmp_gt_u32_e64 s1, 0x400, v1
	s_and_b32 exec_lo, exec_lo, s1
	s_cbranch_execz .LBB197_143
; %bb.139:
	s_and_saveexec_b32 s1, vcc_lo
	s_cbranch_execz .LBB197_141
; %bb.140:
	v_lshlrev_b32_e32 v1, 2, v0
	v_lshlrev_b32_e32 v2, 2, v4
	s_delay_alu instid0(VALU_DEP_1)
	v_add3_u32 v1, 0, v1, v2
	ds_load_b32 v5, v1 offset:128
.LBB197_141:
	s_or_b32 exec_lo, exec_lo, s1
	s_wait_dscnt 0x0
	ds_bpermute_b32 v1, v6, v5
	v_add_nc_u32_e32 v3, 32, v0
	s_wait_dscnt 0x0
	s_delay_alu instid0(VALU_DEP_1) | instskip(SKIP_4) | instid1(SALU_CYCLE_1)
	v_dual_add_f32 v1, v5, v1 :: v_dual_bitop2_b32 v4, s4, v3 bitop3:0x54
	v_mov_b32_e32 v5, s5
	ds_bpermute_b32 v2, v7, v1
	v_cmp_le_i64_e32 vcc_lo, s[6:7], v[4:5]
	s_or_b32 s0, s0, vcc_lo
	s_nor_b32 s0, s8, s0
	s_wait_dscnt 0x0
	v_add_f32_e32 v1, v1, v2
	ds_bpermute_b32 v2, v8, v1
	s_wait_dscnt 0x0
	v_add_f32_e32 v1, v1, v2
	ds_bpermute_b32 v2, v9, v1
	s_and_saveexec_b32 s1, s0
	s_delay_alu instid0(SALU_CYCLE_1)
	s_xor_b32 s1, exec_lo, s1
	s_cbranch_execz .LBB197_143
; %bb.142:
	s_wait_dscnt 0x0
	v_dual_add_f32 v2, v1, v2 :: v_dual_mov_b32 v1, 0
	s_delay_alu instid0(VALU_DEP_1) | instskip(NEXT) | instid1(VALU_DEP_2)
	v_bfe_u32 v3, v2, 16, 1
	v_add_nc_u64_e32 v[0:1], s[4:5], v[0:1]
	v_cmp_o_f32_e32 vcc_lo, v2, v2
	s_delay_alu instid0(VALU_DEP_3) | instskip(NEXT) | instid1(VALU_DEP_3)
	v_add3_u32 v3, v2, v3, 0x7fff
	v_lshl_add_u64 v[0:1], v[0:1], 1, s[2:3]
	s_delay_alu instid0(VALU_DEP_2) | instskip(NEXT) | instid1(VALU_DEP_1)
	v_lshrrev_b32_e32 v3, 16, v3
	v_cndmask_b32_e32 v2, 0x7fc0, v3, vcc_lo
	global_store_b16 v[0:1], v2, off offset:64
.LBB197_143:
	s_sendmsg sendmsg(MSG_DEALLOC_VGPRS)
	s_endpgm
	.section	.rodata,"a",@progbits
	.p2align	6, 0x0
	.amdhsa_kernel _ZN2at6native12_GLOBAL__N_135GammaBetaBackwardCUDAKernelTemplateIN3c108BFloat16EfLj64ELj16ELj256ELb0ELb0ELb1EEEvllPKT_S7_PKT0_SA_PS5_SB_
		.amdhsa_group_segment_fixed_size 0
		.amdhsa_private_segment_fixed_size 192
		.amdhsa_kernarg_size 320
		.amdhsa_user_sgpr_count 2
		.amdhsa_user_sgpr_dispatch_ptr 0
		.amdhsa_user_sgpr_queue_ptr 0
		.amdhsa_user_sgpr_kernarg_segment_ptr 1
		.amdhsa_user_sgpr_dispatch_id 0
		.amdhsa_user_sgpr_kernarg_preload_length 0
		.amdhsa_user_sgpr_kernarg_preload_offset 0
		.amdhsa_user_sgpr_private_segment_size 0
		.amdhsa_wavefront_size32 1
		.amdhsa_uses_dynamic_stack 0
		.amdhsa_enable_private_segment 1
		.amdhsa_system_sgpr_workgroup_id_x 1
		.amdhsa_system_sgpr_workgroup_id_y 1
		.amdhsa_system_sgpr_workgroup_id_z 0
		.amdhsa_system_sgpr_workgroup_info 0
		.amdhsa_system_vgpr_workitem_id 1
		.amdhsa_next_free_vgpr 128
		.amdhsa_next_free_sgpr 66
		.amdhsa_named_barrier_count 0
		.amdhsa_reserve_vcc 1
		.amdhsa_float_round_mode_32 0
		.amdhsa_float_round_mode_16_64 0
		.amdhsa_float_denorm_mode_32 3
		.amdhsa_float_denorm_mode_16_64 3
		.amdhsa_fp16_overflow 0
		.amdhsa_memory_ordered 1
		.amdhsa_forward_progress 1
		.amdhsa_inst_pref_size 98
		.amdhsa_round_robin_scheduling 0
		.amdhsa_exception_fp_ieee_invalid_op 0
		.amdhsa_exception_fp_denorm_src 0
		.amdhsa_exception_fp_ieee_div_zero 0
		.amdhsa_exception_fp_ieee_overflow 0
		.amdhsa_exception_fp_ieee_underflow 0
		.amdhsa_exception_fp_ieee_inexact 0
		.amdhsa_exception_int_div_zero 0
	.end_amdhsa_kernel
	.section	.text._ZN2at6native12_GLOBAL__N_135GammaBetaBackwardCUDAKernelTemplateIN3c108BFloat16EfLj64ELj16ELj256ELb0ELb0ELb1EEEvllPKT_S7_PKT0_SA_PS5_SB_,"axG",@progbits,_ZN2at6native12_GLOBAL__N_135GammaBetaBackwardCUDAKernelTemplateIN3c108BFloat16EfLj64ELj16ELj256ELb0ELb0ELb1EEEvllPKT_S7_PKT0_SA_PS5_SB_,comdat
.Lfunc_end197:
	.size	_ZN2at6native12_GLOBAL__N_135GammaBetaBackwardCUDAKernelTemplateIN3c108BFloat16EfLj64ELj16ELj256ELb0ELb0ELb1EEEvllPKT_S7_PKT0_SA_PS5_SB_, .Lfunc_end197-_ZN2at6native12_GLOBAL__N_135GammaBetaBackwardCUDAKernelTemplateIN3c108BFloat16EfLj64ELj16ELj256ELb0ELb0ELb1EEEvllPKT_S7_PKT0_SA_PS5_SB_
                                        ; -- End function
	.set _ZN2at6native12_GLOBAL__N_135GammaBetaBackwardCUDAKernelTemplateIN3c108BFloat16EfLj64ELj16ELj256ELb0ELb0ELb1EEEvllPKT_S7_PKT0_SA_PS5_SB_.num_vgpr, 128
	.set _ZN2at6native12_GLOBAL__N_135GammaBetaBackwardCUDAKernelTemplateIN3c108BFloat16EfLj64ELj16ELj256ELb0ELb0ELb1EEEvllPKT_S7_PKT0_SA_PS5_SB_.num_agpr, 0
	.set _ZN2at6native12_GLOBAL__N_135GammaBetaBackwardCUDAKernelTemplateIN3c108BFloat16EfLj64ELj16ELj256ELb0ELb0ELb1EEEvllPKT_S7_PKT0_SA_PS5_SB_.numbered_sgpr, 66
	.set _ZN2at6native12_GLOBAL__N_135GammaBetaBackwardCUDAKernelTemplateIN3c108BFloat16EfLj64ELj16ELj256ELb0ELb0ELb1EEEvllPKT_S7_PKT0_SA_PS5_SB_.num_named_barrier, 0
	.set _ZN2at6native12_GLOBAL__N_135GammaBetaBackwardCUDAKernelTemplateIN3c108BFloat16EfLj64ELj16ELj256ELb0ELb0ELb1EEEvllPKT_S7_PKT0_SA_PS5_SB_.private_seg_size, 192
	.set _ZN2at6native12_GLOBAL__N_135GammaBetaBackwardCUDAKernelTemplateIN3c108BFloat16EfLj64ELj16ELj256ELb0ELb0ELb1EEEvllPKT_S7_PKT0_SA_PS5_SB_.uses_vcc, 1
	.set _ZN2at6native12_GLOBAL__N_135GammaBetaBackwardCUDAKernelTemplateIN3c108BFloat16EfLj64ELj16ELj256ELb0ELb0ELb1EEEvllPKT_S7_PKT0_SA_PS5_SB_.uses_flat_scratch, 1
	.set _ZN2at6native12_GLOBAL__N_135GammaBetaBackwardCUDAKernelTemplateIN3c108BFloat16EfLj64ELj16ELj256ELb0ELb0ELb1EEEvllPKT_S7_PKT0_SA_PS5_SB_.has_dyn_sized_stack, 0
	.set _ZN2at6native12_GLOBAL__N_135GammaBetaBackwardCUDAKernelTemplateIN3c108BFloat16EfLj64ELj16ELj256ELb0ELb0ELb1EEEvllPKT_S7_PKT0_SA_PS5_SB_.has_recursion, 0
	.set _ZN2at6native12_GLOBAL__N_135GammaBetaBackwardCUDAKernelTemplateIN3c108BFloat16EfLj64ELj16ELj256ELb0ELb0ELb1EEEvllPKT_S7_PKT0_SA_PS5_SB_.has_indirect_call, 0
	.section	.AMDGPU.csdata,"",@progbits
; Kernel info:
; codeLenInByte = 12540
; TotalNumSgprs: 68
; NumVgprs: 128
; ScratchSize: 192
; MemoryBound: 0
; FloatMode: 240
; IeeeMode: 1
; LDSByteSize: 0 bytes/workgroup (compile time only)
; SGPRBlocks: 0
; VGPRBlocks: 7
; NumSGPRsForWavesPerEU: 68
; NumVGPRsForWavesPerEU: 128
; NamedBarCnt: 0
; Occupancy: 8
; WaveLimiterHint : 0
; COMPUTE_PGM_RSRC2:SCRATCH_EN: 1
; COMPUTE_PGM_RSRC2:USER_SGPR: 2
; COMPUTE_PGM_RSRC2:TRAP_HANDLER: 0
; COMPUTE_PGM_RSRC2:TGID_X_EN: 1
; COMPUTE_PGM_RSRC2:TGID_Y_EN: 1
; COMPUTE_PGM_RSRC2:TGID_Z_EN: 0
; COMPUTE_PGM_RSRC2:TIDIG_COMP_CNT: 1
	.section	.text._ZN2at6native12_GLOBAL__N_135GammaBetaBackwardCUDAKernelTemplateIN3c108BFloat16EfLj32ELj1ELj32ELb1ELb1ELb1EEEvllPKT_S7_PKT0_SA_PS5_SB_,"axG",@progbits,_ZN2at6native12_GLOBAL__N_135GammaBetaBackwardCUDAKernelTemplateIN3c108BFloat16EfLj32ELj1ELj32ELb1ELb1ELb1EEEvllPKT_S7_PKT0_SA_PS5_SB_,comdat
	.globl	_ZN2at6native12_GLOBAL__N_135GammaBetaBackwardCUDAKernelTemplateIN3c108BFloat16EfLj32ELj1ELj32ELb1ELb1ELb1EEEvllPKT_S7_PKT0_SA_PS5_SB_ ; -- Begin function _ZN2at6native12_GLOBAL__N_135GammaBetaBackwardCUDAKernelTemplateIN3c108BFloat16EfLj32ELj1ELj32ELb1ELb1ELb1EEEvllPKT_S7_PKT0_SA_PS5_SB_
	.p2align	8
	.type	_ZN2at6native12_GLOBAL__N_135GammaBetaBackwardCUDAKernelTemplateIN3c108BFloat16EfLj32ELj1ELj32ELb1ELb1ELb1EEEvllPKT_S7_PKT0_SA_PS5_SB_,@function
_ZN2at6native12_GLOBAL__N_135GammaBetaBackwardCUDAKernelTemplateIN3c108BFloat16EfLj32ELj1ELj32ELb1ELb1ELb1EEEvllPKT_S7_PKT0_SA_PS5_SB_: ; @_ZN2at6native12_GLOBAL__N_135GammaBetaBackwardCUDAKernelTemplateIN3c108BFloat16EfLj32ELj1ELj32ELb1ELb1ELb1EEEvllPKT_S7_PKT0_SA_PS5_SB_
; %bb.0:
	s_load_b128 s[4:7], s[0:1], 0x0
	s_bfe_u32 s2, ttmp6, 0x40010
	s_bfe_u32 s3, ttmp6, 0x40004
	s_add_co_i32 s2, s2, 1
	s_getreg_b32 s20, hwreg(HW_REG_IB_STS2, 6, 4)
	s_mul_i32 s2, ttmp7, s2
	v_mov_b32_e32 v40, 0
	s_add_co_i32 s3, s3, s2
	s_cmp_eq_u32 s20, 0
	v_bfe_u32 v2, v0, 10, 10
	s_cselect_b32 s21, ttmp7, s3
	s_mov_b32 s3, 0
	s_lshl_b32 s2, s21, 5
	v_and_b32_e32 v10, 0x3ff, v0
	s_wait_kmcnt 0x0
	v_cmp_le_i64_e64 s8, s[4:5], s[2:3]
	s_and_b32 vcc_lo, exec_lo, s8
	s_cbranch_vccnz .LBB198_5
; %bb.1:
	v_dual_mov_b32 v1, 0 :: v_dual_lshlrev_b32 v0, 5, v2
	s_clause 0x3
	s_load_b32 s12, s[0:1], 0x4c
	s_load_b32 s13, s[0:1], 0x44
	s_load_b128 s[8:11], s[0:1], 0x10
	s_load_b64 s[14:15], s[0:1], 0x28
	s_bfe_u32 s17, ttmp6, 0x4000c
	s_and_b32 s16, ttmp6, 15
	s_add_co_i32 s17, s17, 1
	v_add_nc_u64_e32 v[4:5], s[2:3], v[0:1]
	s_mul_i32 s17, ttmp9, s17
	v_dual_mov_b32 v16, 28 :: v_dual_mov_b32 v7, v1
	s_add_co_i32 s16, s16, s17
	v_dual_mov_b32 v3, 4 :: v_dual_mov_b32 v11, 8
	s_delay_alu instid0(VALU_DEP_3)
	v_mul_u64_e32 v[8:9], s[6:7], v[4:5]
	v_dual_mov_b32 v12, 12 :: v_dual_mov_b32 v13, 16
	v_dual_mov_b32 v14, 20 :: v_dual_mov_b32 v15, 24
	;; [unrolled: 1-line block ×3, first 2 shown]
	s_wait_kmcnt 0x0
	s_and_b32 s12, s12, 0xffff
	s_cmp_eq_u32 s20, 0
	v_mad_u32_u24 v0, v2, s12, v10
	s_cselect_b32 s12, ttmp9, s16
	v_mov_b32_e32 v39, v1
	v_lshl_or_b32 v38, s12, 5, v10
	s_lshl_b32 s12, s13, 5
	v_and_b32_e32 v6, 31, v0
	s_mov_b32 s13, s3
	v_dual_mov_b32 v0, 32 :: v_dual_mov_b32 v17, 36
	v_lshlrev_b64_e32 v[40:41], 1, v[38:39]
	s_delay_alu instid0(VALU_DEP_3)
	v_add_nc_u64_e32 v[4:5], v[4:5], v[6:7]
	v_dual_mov_b32 v20, 48 :: v_dual_mov_b32 v21, 52
	v_dual_mov_b32 v22, 56 :: v_dual_mov_b32 v23, 60
	;; [unrolled: 1-line block ×3, first 2 shown]
	v_mov_b32_e32 v26, 0x48
	v_mov_b32_e32 v27, 0x4c
	;; [unrolled: 1-line block ×14, first 2 shown]
	v_lshl_add_u64 v[6:7], v[8:9], 1, v[40:41]
	v_lshl_add_u64 v[8:9], v[4:5], 2, s[14:15]
	v_mov_b32_e32 v40, 0
	s_mul_u64 s[16:17], s[6:7], s[12:13]
	s_lshl_b64 s[18:19], s[6:7], 1
	s_lshl_b64 s[14:15], s[16:17], 1
	;; [unrolled: 1-line block ×3, first 2 shown]
	s_branch .LBB198_3
.LBB198_2:                              ;   in Loop: Header=BB198_3 Depth=1
	s_wait_xcnt 0x0
	s_or_b32 exec_lo, exec_lo, s22
	v_add_nc_u64_e32 v[42:43], s[8:9], v[6:7]
	v_add_nc_u64_e32 v[44:45], s[10:11], v[6:7]
	s_wait_loadcnt 0x0
	ds_bpermute_b32 v56, v1, v41
	ds_bpermute_b32 v59, v3, v41
	s_add_nc_u64 s[2:3], s[2:3], s[12:13]
	v_add_nc_u64_e32 v[6:7], s[14:15], v[6:7]
	v_cmp_lt_i64_e64 s22, s[2:3], s[4:5]
	global_load_u16 v46, v[42:43], off
	global_load_u16 v47, v[44:45], off
	s_wait_xcnt 0x1
	v_add_nc_u64_e32 v[42:43], s[18:19], v[42:43]
	s_wait_xcnt 0x0
	v_add_nc_u64_e32 v[44:45], s[18:19], v[44:45]
	v_add_nc_u64_e32 v[8:9], s[16:17], v[8:9]
	v_add_nc_u64_e32 v[4:5], s[12:13], v[4:5]
	global_load_u16 v48, v[42:43], off
	global_load_u16 v49, v[44:45], off
	s_wait_xcnt 0x1
	v_add_nc_u64_e32 v[42:43], s[18:19], v[42:43]
	s_wait_xcnt 0x0
	v_add_nc_u64_e32 v[44:45], s[18:19], v[44:45]
	s_and_b32 vcc_lo, exec_lo, s22
	global_load_u16 v50, v[42:43], off
	global_load_u16 v51, v[44:45], off
	s_wait_xcnt 0x1
	v_add_nc_u64_e32 v[42:43], s[18:19], v[42:43]
	s_wait_xcnt 0x0
	v_add_nc_u64_e32 v[44:45], s[18:19], v[44:45]
	global_load_u16 v52, v[42:43], off
	global_load_u16 v53, v[44:45], off
	s_wait_xcnt 0x1
	v_add_nc_u64_e32 v[42:43], s[18:19], v[42:43]
	s_wait_xcnt 0x0
	v_add_nc_u64_e32 v[44:45], s[18:19], v[44:45]
	;; [unrolled: 6-line block ×4, first 2 shown]
	global_load_u16 v60, v[42:43], off
	s_wait_xcnt 0x0
	v_add_nc_u64_e32 v[42:43], s[18:19], v[42:43]
	s_wait_loadcnt 0xb
	v_dual_lshlrev_b32 v46, 16, v46 :: v_dual_lshlrev_b32 v47, 16, v47
	s_delay_alu instid0(VALU_DEP_1)
	v_mul_f32_e32 v46, v46, v47
	global_load_u16 v47, v[44:45], off
	s_wait_xcnt 0x0
	v_add_nc_u64_e32 v[44:45], s[18:19], v[44:45]
	s_wait_loadcnt 0xa
	v_dual_lshlrev_b32 v48, 16, v48 :: v_dual_lshlrev_b32 v49, 16, v49
	s_wait_dscnt 0x1
	v_fmac_f32_e32 v40, v46, v56
	global_load_u16 v46, v[42:43], off
	global_load_u16 v56, v[44:45], off
	s_wait_xcnt 0x1
	v_add_nc_u64_e32 v[42:43], s[18:19], v[42:43]
	s_wait_xcnt 0x0
	v_add_nc_u64_e32 v[44:45], s[18:19], v[44:45]
	s_wait_loadcnt 0xb
	v_dual_mul_f32 v48, v48, v49 :: v_dual_lshlrev_b32 v50, 16, v50
	ds_bpermute_b32 v49, v11, v41
	s_wait_dscnt 0x1
	v_fmac_f32_e32 v40, v48, v59
	global_load_u16 v48, v[42:43], off
	global_load_u16 v59, v[44:45], off
	s_wait_xcnt 0x1
	v_add_nc_u64_e32 v[42:43], s[18:19], v[42:43]
	s_wait_loadcnt 0xb
	v_dual_lshlrev_b32 v52, 16, v52 :: v_dual_lshlrev_b32 v51, 16, v51
	s_wait_xcnt 0x0
	v_add_nc_u64_e32 v[44:45], s[18:19], v[44:45]
	s_wait_loadcnt 0xa
	s_delay_alu instid0(VALU_DEP_2)
	v_dual_mul_f32 v50, v50, v51 :: v_dual_lshlrev_b32 v53, 16, v53
	global_load_u16 v51, v[42:43], off
	s_wait_loadcnt 0xa
	v_dual_mul_f32 v52, v52, v53 :: v_dual_lshlrev_b32 v54, 16, v54
	ds_bpermute_b32 v53, v13, v41
	s_wait_xcnt 0x0
	v_add_nc_u64_e32 v[42:43], s[18:19], v[42:43]
	s_wait_dscnt 0x1
	v_fmac_f32_e32 v40, v50, v49
	ds_bpermute_b32 v50, v12, v41
	global_load_u16 v49, v[44:45], off
	s_wait_xcnt 0x0
	v_add_nc_u64_e32 v[44:45], s[18:19], v[44:45]
	s_wait_loadcnt 0x9
	v_dual_lshlrev_b32 v55, 16, v55 :: v_dual_lshlrev_b32 v57, 16, v57
	s_wait_loadcnt_dscnt 0x700
	v_dual_lshlrev_b32 v60, 16, v60 :: v_dual_fmac_f32 v40, v52, v50
	global_load_u16 v52, v[42:43], off
	v_mul_f32_e32 v54, v54, v55
	global_load_u16 v55, v[44:45], off
	ds_bpermute_b32 v50, v14, v41
	s_wait_xcnt 0x1
	v_add_nc_u64_e32 v[42:43], s[18:19], v[42:43]
	s_wait_xcnt 0x0
	v_add_nc_u64_e32 v[44:45], s[18:19], v[44:45]
	v_dual_lshlrev_b32 v58, 16, v58 :: v_dual_fmac_f32 v40, v54, v53
	ds_bpermute_b32 v53, v15, v41
	global_load_u16 v54, v[42:43], off
	v_mul_f32_e32 v57, v57, v58
	global_load_u16 v58, v[44:45], off
	s_wait_xcnt 0x1
	v_add_nc_u64_e32 v[42:43], s[18:19], v[42:43]
	s_wait_xcnt 0x0
	v_add_nc_u64_e32 v[44:45], s[18:19], v[44:45]
	s_wait_dscnt 0x1
	v_fmac_f32_e32 v40, v57, v50
	ds_bpermute_b32 v50, v16, v41
	global_load_u16 v57, v[42:43], off
	s_wait_xcnt 0x0
	v_add_nc_u64_e32 v[42:43], s[18:19], v[42:43]
	s_wait_loadcnt 0xb
	v_lshlrev_b32_e32 v47, 16, v47
	s_wait_loadcnt 0xa
	s_delay_alu instid0(VALU_DEP_1)
	v_dual_mul_f32 v47, v60, v47 :: v_dual_lshlrev_b32 v46, 16, v46
	global_load_u16 v60, v[44:45], off
	s_wait_xcnt 0x0
	v_add_nc_u64_e32 v[44:45], s[18:19], v[44:45]
	s_wait_loadcnt_dscnt 0xa01
	v_dual_lshlrev_b32 v56, 16, v56 :: v_dual_fmac_f32 v40, v47, v53
	global_load_u16 v53, v[42:43], off
	ds_bpermute_b32 v47, v0, v41
	s_wait_xcnt 0x0
	v_add_nc_u64_e32 v[42:43], s[18:19], v[42:43]
	v_mul_f32_e32 v46, v46, v56
	global_load_u16 v56, v[44:45], off
	s_wait_xcnt 0x0
	v_add_nc_u64_e32 v[44:45], s[18:19], v[44:45]
	s_wait_loadcnt 0xa
	v_dual_lshlrev_b32 v59, 16, v59 :: v_dual_lshlrev_b32 v48, 16, v48
	s_wait_dscnt 0x1
	v_fmac_f32_e32 v40, v46, v50
	global_load_u16 v50, v[42:43], off
	global_load_u16 v61, v[44:45], off
	s_wait_xcnt 0x1
	v_add_nc_u64_e32 v[42:43], s[18:19], v[42:43]
	s_wait_xcnt 0x0
	v_add_nc_u64_e32 v[44:45], s[18:19], v[44:45]
	v_mul_f32_e32 v46, v48, v59
	ds_bpermute_b32 v48, v17, v41
	global_load_u16 v59, v[42:43], off
	s_wait_xcnt 0x0
	v_add_nc_u64_e32 v[42:43], s[18:19], v[42:43]
	s_wait_dscnt 0x1
	v_fmac_f32_e32 v40, v46, v47
	s_wait_loadcnt 0xc
	v_lshlrev_b32_e32 v46, 16, v51
	global_load_u16 v51, v[44:45], off
	s_wait_xcnt 0x0
	v_add_nc_u64_e32 v[44:45], s[18:19], v[44:45]
	s_wait_loadcnt 0xc
	v_lshlrev_b32_e32 v47, 16, v49
	global_load_u16 v62, v[42:43], off
	s_wait_xcnt 0x0
	v_add_nc_u64_e32 v[42:43], s[18:19], v[42:43]
	v_mul_f32_e32 v46, v46, v47
	global_load_u16 v63, v[44:45], off
	s_wait_xcnt 0x0
	v_add_nc_u64_e32 v[44:45], s[18:19], v[44:45]
	s_wait_dscnt 0x0
	v_fmac_f32_e32 v40, v46, v48
	ds_bpermute_b32 v46, v18, v41
	s_wait_loadcnt 0xc
	v_dual_lshlrev_b32 v47, 16, v52 :: v_dual_lshlrev_b32 v48, 16, v55
	ds_bpermute_b32 v55, v22, v41
	v_mul_f32_e32 v47, v47, v48
	ds_bpermute_b32 v48, v19, v41
	s_wait_loadcnt 0xb
	v_lshlrev_b32_e32 v49, 16, v54
	global_load_u16 v54, v[44:45], off
	s_wait_dscnt 0x2
	v_fmac_f32_e32 v40, v47, v46
	s_wait_loadcnt 0xb
	v_lshlrev_b32_e32 v52, 16, v58
	ds_bpermute_b32 v46, v20, v41
	s_wait_xcnt 0x0
	v_add_nc_u64_e32 v[44:45], s[18:19], v[44:45]
	v_mul_f32_e32 v47, v49, v52
	ds_bpermute_b32 v49, v21, v41
	global_load_u16 v52, v[42:43], off
	s_wait_xcnt 0x0
	v_add_nc_u64_e32 v[42:43], s[18:19], v[42:43]
	s_wait_loadcnt_dscnt 0xb02
	v_dual_fmac_f32 v40, v47, v48 :: v_dual_lshlrev_b32 v47, 16, v57
	global_load_u16 v57, v[44:45], off
	s_wait_loadcnt 0xb
	v_lshlrev_b32_e32 v48, 16, v60
	s_wait_loadcnt 0xa
	s_delay_alu instid0(VALU_DEP_1)
	v_dual_mul_f32 v47, v47, v48 :: v_dual_lshlrev_b32 v48, 16, v53
	s_wait_loadcnt 0x9
	v_lshlrev_b32_e32 v53, 16, v56
	global_load_u16 v56, v[42:43], off
	s_wait_xcnt 0x0
	v_add_nc_u64_e32 v[42:43], s[18:19], v[42:43]
	s_wait_dscnt 0x1
	v_fmac_f32_e32 v40, v47, v46
	v_add_nc_u64_e32 v[46:47], s[18:19], v[44:45]
	s_wait_loadcnt 0x9
	v_dual_mul_f32 v48, v48, v53 :: v_dual_lshlrev_b32 v50, 16, v50
	global_load_u16 v58, v[42:43], off
	global_load_u16 v60, v[46:47], off
	s_wait_dscnt 0x0
	v_fmac_f32_e32 v40, v48, v49
	s_wait_loadcnt 0xa
	v_lshlrev_b32_e32 v53, 16, v61
	v_add_nc_u64_e32 v[44:45], s[18:19], v[42:43]
	v_add_nc_u64_e32 v[48:49], s[18:19], v[46:47]
	s_delay_alu instid0(VALU_DEP_3)
	v_mul_f32_e32 v50, v50, v53
	ds_bpermute_b32 v53, v23, v41
	s_wait_xcnt 0x1
	v_add_nc_u64_e32 v[42:43], s[18:19], v[44:45]
	s_wait_xcnt 0x0
	v_add_nc_u64_e32 v[46:47], s[18:19], v[48:49]
	v_fmac_f32_e32 v40, v50, v55
	global_load_u16 v50, v[44:45], off
	s_wait_loadcnt 0xa
	s_wait_xcnt 0x0
	v_lshlrev_b32_e32 v44, 16, v59
	s_wait_loadcnt 0x9
	v_lshlrev_b32_e32 v45, 16, v51
	global_load_u16 v55, v[48:49], off
	global_load_u16 v59, v[42:43], off
	s_wait_xcnt 0x0
	v_add_nc_u64_e32 v[42:43], s[18:19], v[42:43]
	global_load_u16 v61, v[46:47], off
	s_wait_loadcnt 0xb
	v_dual_mul_f32 v48, v44, v45 :: v_dual_lshlrev_b32 v49, 16, v62
	v_add_nc_u64_e32 v[44:45], s[18:19], v[46:47]
	s_wait_loadcnt 0xa
	v_lshlrev_b32_e32 v62, 16, v63
	ds_bpermute_b32 v51, v24, v41
	s_wait_xcnt 0x0
	v_add_nc_u64_e32 v[46:47], s[18:19], v[42:43]
	s_wait_dscnt 0x1
	v_fmac_f32_e32 v40, v48, v53
	global_load_u16 v53, v[42:43], off
	s_wait_xcnt 0x0
	v_add_nc_u64_e32 v[42:43], s[18:19], v[44:45]
	v_mul_f32_e32 v48, v49, v62
	global_load_u16 v62, v[44:45], off
	global_load_u16 v63, v[46:47], off
	s_wait_xcnt 0x1
	ds_bpermute_b32 v44, v25, v41
	global_load_u16 v64, v[42:43], off
	s_wait_xcnt 0x0
	v_add_nc_u64_e32 v[42:43], s[18:19], v[42:43]
	s_wait_loadcnt_dscnt 0xc01
	v_dual_fmac_f32 v40, v48, v51 :: v_dual_lshlrev_b32 v45, 16, v52
	v_lshlrev_b32_e32 v48, 16, v54
	ds_bpermute_b32 v51, v27, v41
	v_mul_f32_e32 v45, v45, v48
	ds_bpermute_b32 v48, v26, v41
	s_wait_loadcnt_dscnt 0xb02
	v_dual_lshlrev_b32 v52, 16, v57 :: v_dual_fmac_f32 v40, v45, v44
	v_add_nc_u64_e32 v[44:45], s[18:19], v[46:47]
	s_delay_alu instid0(VALU_DEP_1)
	v_add_nc_u64_e32 v[46:47], s[18:19], v[44:45]
	s_wait_loadcnt 0x8
	v_lshlrev_b32_e32 v54, 16, v60
	v_lshlrev_b32_e32 v49, 16, v56
	global_load_u16 v56, v[44:45], off
	s_wait_xcnt 0x0
	ds_bpermute_b32 v44, v28, v41
	ds_bpermute_b32 v45, v29, v41
	v_dual_mul_f32 v49, v49, v52 :: v_dual_lshlrev_b32 v52, 16, v58
	s_wait_dscnt 0x2
	s_delay_alu instid0(VALU_DEP_1) | instskip(SKIP_1) | instid1(VALU_DEP_3)
	v_fmac_f32_e32 v40, v49, v48
	v_add_nc_u64_e32 v[48:49], s[18:19], v[42:43]
	v_mul_f32_e32 v52, v52, v54
	global_load_u16 v54, v[42:43], off
	global_load_u16 v57, v[46:47], off
	s_wait_xcnt 0x1
	v_add_nc_u64_e32 v[42:43], s[18:19], v[46:47]
	global_load_u16 v58, v[48:49], off
	s_wait_xcnt 0x1
	v_add_nc_u64_e32 v[46:47], s[18:19], v[48:49]
	s_wait_loadcnt 0xa
	s_wait_xcnt 0x0
	v_dual_lshlrev_b32 v48, 16, v50 :: v_dual_lshlrev_b32 v50, 16, v55
	global_load_u16 v55, v[42:43], off
	s_wait_xcnt 0x0
	v_add_nc_u64_e32 v[42:43], s[18:19], v[42:43]
	s_wait_loadcnt 0xa
	v_lshlrev_b32_e32 v49, 16, v59
	s_wait_loadcnt 0x9
	v_dual_fmac_f32 v40, v52, v51 :: v_dual_lshlrev_b32 v51, 16, v61
	global_load_u16 v59, v[46:47], off
	global_load_u16 v60, v[42:43], off
	v_pk_mul_f32 v[48:49], v[48:49], v[50:51]
	v_add_nc_u64_e32 v[50:51], s[18:19], v[46:47]
	s_wait_xcnt 0x0
	v_add_nc_u64_e32 v[42:43], s[18:19], v[42:43]
	s_wait_loadcnt 0x8
	v_dual_lshlrev_b32 v46, 16, v53 :: v_dual_lshlrev_b32 v47, 16, v63
	s_wait_loadcnt 0x7
	v_dual_lshlrev_b32 v52, 16, v62 :: v_dual_lshlrev_b32 v53, 16, v64
	s_wait_dscnt 0x0
	v_pk_mul_f32 v[44:45], v[48:49], v[44:45]
	global_load_u16 v61, v[50:51], off
	global_load_u16 v62, v[42:43], off
	s_wait_xcnt 0x0
	v_add_nc_u64_e32 v[42:43], s[18:19], v[42:43]
	ds_bpermute_b32 v48, v30, v41
	v_pk_mul_f32 v[46:47], v[46:47], v[52:53]
	v_add_nc_u64_e32 v[52:53], s[18:19], v[50:51]
	v_add_f32_e32 v40, v40, v44
	global_load_u16 v63, v[52:53], off
	global_load_u16 v64, v[42:43], off
	v_add_f32_e32 v40, v40, v45
	v_add_nc_u64_e32 v[44:45], s[18:19], v[52:53]
	s_wait_xcnt 0x0
	v_add_nc_u64_e32 v[42:43], s[18:19], v[42:43]
	global_load_u16 v52, v[44:45], off
	global_load_u16 v53, v[42:43], off
	s_wait_xcnt 0x0
	v_add_nc_u64_e32 v[42:43], s[18:19], v[42:43]
	v_add_nc_u64_e32 v[44:45], s[18:19], v[44:45]
	global_load_u16 v65, v[42:43], off
	global_load_u16 v66, v[44:45], off
	s_wait_xcnt 0x1
	v_add_nc_u64_e32 v[42:43], s[18:19], v[44:45]
	ds_bpermute_b32 v49, v31, v41
	ds_bpermute_b32 v50, v36, v41
	;; [unrolled: 1-line block ×3, first 2 shown]
	global_load_u16 v67, v[42:43], off
	s_wait_dscnt 0x2
	v_pk_mul_f32 v[46:47], v[46:47], v[48:49]
	s_wait_loadcnt 0xf
	s_wait_xcnt 0x0
	s_delay_alu instid0(VALU_DEP_1)
	v_dual_lshlrev_b32 v42, 16, v56 :: v_dual_add_f32 v40, v40, v46
	ds_bpermute_b32 v46, v34, v41
	v_add_f32_e32 v40, v40, v47
	ds_bpermute_b32 v47, v35, v41
	s_wait_loadcnt 0xd
	v_dual_lshlrev_b32 v44, 16, v54 :: v_dual_lshlrev_b32 v43, 16, v57
	s_wait_loadcnt 0xb
	v_dual_lshlrev_b32 v45, 16, v58 :: v_dual_lshlrev_b32 v48, 16, v55
	s_delay_alu instid0(VALU_DEP_1)
	v_pk_mul_f32 v[42:43], v[42:43], v[44:45]
	ds_bpermute_b32 v44, v32, v41
	ds_bpermute_b32 v45, v33, v41
	s_wait_loadcnt 0x9
	v_lshlrev_b32_e32 v49, 16, v60
	s_wait_dscnt 0x0
	v_pk_mul_f32 v[42:43], v[42:43], v[44:45]
	s_wait_loadcnt 0x8
	v_dual_lshlrev_b32 v44, 16, v59 :: v_dual_lshlrev_b32 v45, 16, v61
	s_delay_alu instid0(VALU_DEP_2)
	v_add_f32_e32 v42, v40, v42
	ds_bpermute_b32 v40, v38, v41
	v_pk_mul_f32 v[44:45], v[48:49], v[44:45]
	ds_bpermute_b32 v41, v39, v41
	v_pk_mul_f32 v[44:45], v[44:45], v[46:47]
	s_wait_loadcnt 0x6
	v_lshlrev_b32_e32 v46, 16, v63
	v_dual_add_f32 v48, v42, v43 :: v_dual_lshlrev_b32 v42, 16, v62
	s_wait_loadcnt 0x4
	v_lshlrev_b32_e32 v47, 16, v52
	s_delay_alu instid0(VALU_DEP_2) | instskip(NEXT) | instid1(VALU_DEP_1)
	v_add_f32_e32 v44, v48, v44
	v_dual_add_f32 v48, v44, v45 :: v_dual_lshlrev_b32 v43, 16, v64
	s_wait_loadcnt 0x3
	v_lshlrev_b32_e32 v44, 16, v53
	s_delay_alu instid0(VALU_DEP_2)
	v_pk_mul_f32 v[42:43], v[42:43], v[46:47]
	s_wait_loadcnt 0x1
	v_dual_lshlrev_b32 v46, 16, v66 :: v_dual_lshlrev_b32 v45, 16, v65
	s_wait_loadcnt 0x0
	v_lshlrev_b32_e32 v47, 16, v67
	v_pk_mul_f32 v[42:43], v[42:43], v[50:51]
	s_delay_alu instid0(VALU_DEP_2) | instskip(NEXT) | instid1(VALU_DEP_2)
	v_pk_mul_f32 v[44:45], v[44:45], v[46:47]
	v_add_f32_e32 v42, v48, v42
	s_wait_dscnt 0x0
	s_delay_alu instid0(VALU_DEP_2) | instskip(NEXT) | instid1(VALU_DEP_2)
	v_pk_mul_f32 v[40:41], v[44:45], v[40:41]
	v_add_f32_e32 v42, v42, v43
	s_delay_alu instid0(VALU_DEP_1) | instskip(NEXT) | instid1(VALU_DEP_1)
	v_add_f32_e32 v40, v42, v40
	v_add_f32_e32 v40, v40, v41
	s_cbranch_vccz .LBB198_5
.LBB198_3:                              ; =>This Inner Loop Header: Depth=1
	v_mov_b32_e32 v41, 0
	s_mov_b32 s22, exec_lo
	v_cmpx_gt_i64_e64 s[4:5], v[4:5]
	s_cbranch_execz .LBB198_2
; %bb.4:                                ;   in Loop: Header=BB198_3 Depth=1
	global_load_b32 v41, v[8:9], off
	s_branch .LBB198_2
.LBB198_5:
	s_load_b64 s[2:3], s[0:1], 0x30
	s_wait_kmcnt 0x0
	s_cmp_eq_u64 s[2:3], 0
	s_cbranch_scc1 .LBB198_7
; %bb.6:
	s_load_u16 s0, s[0:1], 0x4e
	v_mov_b32_e32 v3, 0
	s_and_b32 s4, ttmp6, 15
	s_wait_xcnt 0x0
	s_mov_b32 s1, 0
	v_cmp_o_f32_e32 vcc_lo, v40, v40
	s_wait_kmcnt 0x0
	v_mad_nc_u64_u32 v[0:1], s0, s21, v[2:3]
	s_bfe_u32 s0, ttmp6, 0x4000c
	v_bfe_u32 v2, v40, 16, 1
	s_add_co_i32 s0, s0, 1
	s_delay_alu instid0(SALU_CYCLE_1) | instskip(NEXT) | instid1(SALU_CYCLE_1)
	s_mul_i32 s0, ttmp9, s0
	s_add_co_i32 s4, s4, s0
	s_cmp_eq_u32 s20, 0
	v_add3_u32 v4, v40, v2, 0x7fff
	s_cselect_b32 s0, ttmp9, s4
	s_delay_alu instid0(VALU_DEP_3) | instskip(SKIP_1) | instid1(VALU_DEP_2)
	v_mul_u64_e32 v[0:1], s[6:7], v[0:1]
	s_lshl_b64 s[0:1], s[0:1], 6
	v_dual_lshlrev_b32 v2, 1, v10 :: v_dual_lshrrev_b32 v4, 16, v4
	s_delay_alu instid0(VALU_DEP_2) | instskip(NEXT) | instid1(VALU_DEP_1)
	v_lshl_add_u64 v[0:1], v[0:1], 1, s[2:3]
	v_add_nc_u64_e32 v[0:1], s[0:1], v[0:1]
	s_delay_alu instid0(VALU_DEP_1) | instskip(NEXT) | instid1(VALU_DEP_4)
	v_add_nc_u64_e32 v[0:1], v[0:1], v[2:3]
	v_cndmask_b32_e32 v2, 0x7fc0, v4, vcc_lo
	global_store_b16 v[0:1], v2, off
.LBB198_7:
	s_sendmsg sendmsg(MSG_DEALLOC_VGPRS)
	s_endpgm
	.section	.rodata,"a",@progbits
	.p2align	6, 0x0
	.amdhsa_kernel _ZN2at6native12_GLOBAL__N_135GammaBetaBackwardCUDAKernelTemplateIN3c108BFloat16EfLj32ELj1ELj32ELb1ELb1ELb1EEEvllPKT_S7_PKT0_SA_PS5_SB_
		.amdhsa_group_segment_fixed_size 0
		.amdhsa_private_segment_fixed_size 0
		.amdhsa_kernarg_size 320
		.amdhsa_user_sgpr_count 2
		.amdhsa_user_sgpr_dispatch_ptr 0
		.amdhsa_user_sgpr_queue_ptr 0
		.amdhsa_user_sgpr_kernarg_segment_ptr 1
		.amdhsa_user_sgpr_dispatch_id 0
		.amdhsa_user_sgpr_kernarg_preload_length 0
		.amdhsa_user_sgpr_kernarg_preload_offset 0
		.amdhsa_user_sgpr_private_segment_size 0
		.amdhsa_wavefront_size32 1
		.amdhsa_uses_dynamic_stack 0
		.amdhsa_enable_private_segment 0
		.amdhsa_system_sgpr_workgroup_id_x 1
		.amdhsa_system_sgpr_workgroup_id_y 1
		.amdhsa_system_sgpr_workgroup_id_z 0
		.amdhsa_system_sgpr_workgroup_info 0
		.amdhsa_system_vgpr_workitem_id 1
		.amdhsa_next_free_vgpr 68
		.amdhsa_next_free_sgpr 23
		.amdhsa_named_barrier_count 0
		.amdhsa_reserve_vcc 1
		.amdhsa_float_round_mode_32 0
		.amdhsa_float_round_mode_16_64 0
		.amdhsa_float_denorm_mode_32 3
		.amdhsa_float_denorm_mode_16_64 3
		.amdhsa_fp16_overflow 0
		.amdhsa_memory_ordered 1
		.amdhsa_forward_progress 1
		.amdhsa_inst_pref_size 25
		.amdhsa_round_robin_scheduling 0
		.amdhsa_exception_fp_ieee_invalid_op 0
		.amdhsa_exception_fp_denorm_src 0
		.amdhsa_exception_fp_ieee_div_zero 0
		.amdhsa_exception_fp_ieee_overflow 0
		.amdhsa_exception_fp_ieee_underflow 0
		.amdhsa_exception_fp_ieee_inexact 0
		.amdhsa_exception_int_div_zero 0
	.end_amdhsa_kernel
	.section	.text._ZN2at6native12_GLOBAL__N_135GammaBetaBackwardCUDAKernelTemplateIN3c108BFloat16EfLj32ELj1ELj32ELb1ELb1ELb1EEEvllPKT_S7_PKT0_SA_PS5_SB_,"axG",@progbits,_ZN2at6native12_GLOBAL__N_135GammaBetaBackwardCUDAKernelTemplateIN3c108BFloat16EfLj32ELj1ELj32ELb1ELb1ELb1EEEvllPKT_S7_PKT0_SA_PS5_SB_,comdat
.Lfunc_end198:
	.size	_ZN2at6native12_GLOBAL__N_135GammaBetaBackwardCUDAKernelTemplateIN3c108BFloat16EfLj32ELj1ELj32ELb1ELb1ELb1EEEvllPKT_S7_PKT0_SA_PS5_SB_, .Lfunc_end198-_ZN2at6native12_GLOBAL__N_135GammaBetaBackwardCUDAKernelTemplateIN3c108BFloat16EfLj32ELj1ELj32ELb1ELb1ELb1EEEvllPKT_S7_PKT0_SA_PS5_SB_
                                        ; -- End function
	.set _ZN2at6native12_GLOBAL__N_135GammaBetaBackwardCUDAKernelTemplateIN3c108BFloat16EfLj32ELj1ELj32ELb1ELb1ELb1EEEvllPKT_S7_PKT0_SA_PS5_SB_.num_vgpr, 68
	.set _ZN2at6native12_GLOBAL__N_135GammaBetaBackwardCUDAKernelTemplateIN3c108BFloat16EfLj32ELj1ELj32ELb1ELb1ELb1EEEvllPKT_S7_PKT0_SA_PS5_SB_.num_agpr, 0
	.set _ZN2at6native12_GLOBAL__N_135GammaBetaBackwardCUDAKernelTemplateIN3c108BFloat16EfLj32ELj1ELj32ELb1ELb1ELb1EEEvllPKT_S7_PKT0_SA_PS5_SB_.numbered_sgpr, 23
	.set _ZN2at6native12_GLOBAL__N_135GammaBetaBackwardCUDAKernelTemplateIN3c108BFloat16EfLj32ELj1ELj32ELb1ELb1ELb1EEEvllPKT_S7_PKT0_SA_PS5_SB_.num_named_barrier, 0
	.set _ZN2at6native12_GLOBAL__N_135GammaBetaBackwardCUDAKernelTemplateIN3c108BFloat16EfLj32ELj1ELj32ELb1ELb1ELb1EEEvllPKT_S7_PKT0_SA_PS5_SB_.private_seg_size, 0
	.set _ZN2at6native12_GLOBAL__N_135GammaBetaBackwardCUDAKernelTemplateIN3c108BFloat16EfLj32ELj1ELj32ELb1ELb1ELb1EEEvllPKT_S7_PKT0_SA_PS5_SB_.uses_vcc, 1
	.set _ZN2at6native12_GLOBAL__N_135GammaBetaBackwardCUDAKernelTemplateIN3c108BFloat16EfLj32ELj1ELj32ELb1ELb1ELb1EEEvllPKT_S7_PKT0_SA_PS5_SB_.uses_flat_scratch, 0
	.set _ZN2at6native12_GLOBAL__N_135GammaBetaBackwardCUDAKernelTemplateIN3c108BFloat16EfLj32ELj1ELj32ELb1ELb1ELb1EEEvllPKT_S7_PKT0_SA_PS5_SB_.has_dyn_sized_stack, 0
	.set _ZN2at6native12_GLOBAL__N_135GammaBetaBackwardCUDAKernelTemplateIN3c108BFloat16EfLj32ELj1ELj32ELb1ELb1ELb1EEEvllPKT_S7_PKT0_SA_PS5_SB_.has_recursion, 0
	.set _ZN2at6native12_GLOBAL__N_135GammaBetaBackwardCUDAKernelTemplateIN3c108BFloat16EfLj32ELj1ELj32ELb1ELb1ELb1EEEvllPKT_S7_PKT0_SA_PS5_SB_.has_indirect_call, 0
	.section	.AMDGPU.csdata,"",@progbits
; Kernel info:
; codeLenInByte = 3196
; TotalNumSgprs: 25
; NumVgprs: 68
; ScratchSize: 0
; MemoryBound: 0
; FloatMode: 240
; IeeeMode: 1
; LDSByteSize: 0 bytes/workgroup (compile time only)
; SGPRBlocks: 0
; VGPRBlocks: 4
; NumSGPRsForWavesPerEU: 25
; NumVGPRsForWavesPerEU: 68
; NamedBarCnt: 0
; Occupancy: 12
; WaveLimiterHint : 0
; COMPUTE_PGM_RSRC2:SCRATCH_EN: 0
; COMPUTE_PGM_RSRC2:USER_SGPR: 2
; COMPUTE_PGM_RSRC2:TRAP_HANDLER: 0
; COMPUTE_PGM_RSRC2:TGID_X_EN: 1
; COMPUTE_PGM_RSRC2:TGID_Y_EN: 1
; COMPUTE_PGM_RSRC2:TGID_Z_EN: 0
; COMPUTE_PGM_RSRC2:TIDIG_COMP_CNT: 1
	.section	.text._ZN2at6native12_GLOBAL__N_135GammaBetaBackwardCUDAKernelTemplateIN3c108BFloat16EfLj32ELj1ELj32ELb1ELb0ELb1EEEvllPKT_S7_PKT0_SA_PS5_SB_,"axG",@progbits,_ZN2at6native12_GLOBAL__N_135GammaBetaBackwardCUDAKernelTemplateIN3c108BFloat16EfLj32ELj1ELj32ELb1ELb0ELb1EEEvllPKT_S7_PKT0_SA_PS5_SB_,comdat
	.globl	_ZN2at6native12_GLOBAL__N_135GammaBetaBackwardCUDAKernelTemplateIN3c108BFloat16EfLj32ELj1ELj32ELb1ELb0ELb1EEEvllPKT_S7_PKT0_SA_PS5_SB_ ; -- Begin function _ZN2at6native12_GLOBAL__N_135GammaBetaBackwardCUDAKernelTemplateIN3c108BFloat16EfLj32ELj1ELj32ELb1ELb0ELb1EEEvllPKT_S7_PKT0_SA_PS5_SB_
	.p2align	8
	.type	_ZN2at6native12_GLOBAL__N_135GammaBetaBackwardCUDAKernelTemplateIN3c108BFloat16EfLj32ELj1ELj32ELb1ELb0ELb1EEEvllPKT_S7_PKT0_SA_PS5_SB_,@function
_ZN2at6native12_GLOBAL__N_135GammaBetaBackwardCUDAKernelTemplateIN3c108BFloat16EfLj32ELj1ELj32ELb1ELb0ELb1EEEvllPKT_S7_PKT0_SA_PS5_SB_: ; @_ZN2at6native12_GLOBAL__N_135GammaBetaBackwardCUDAKernelTemplateIN3c108BFloat16EfLj32ELj1ELj32ELb1ELb0ELb1EEEvllPKT_S7_PKT0_SA_PS5_SB_
; %bb.0:
	s_load_b256 s[4:11], s[0:1], 0x0
	s_bfe_u32 s3, ttmp6, 0x4000c
	s_bfe_u32 s12, ttmp6, 0x40010
	s_add_co_i32 s3, s3, 1
	s_add_co_i32 s12, s12, 1
	s_and_b32 s2, ttmp6, 15
	s_bfe_u32 s13, ttmp6, 0x40004
	s_mul_i32 s3, ttmp9, s3
	s_mul_i32 s12, ttmp7, s12
	s_getreg_b32 s14, hwreg(HW_REG_IB_STS2, 6, 4)
	s_add_co_i32 s2, s2, s3
	s_add_co_i32 s13, s13, s12
	s_cmp_eq_u32 s14, 0
	s_mov_b32 s17, 0
	s_cselect_b32 s12, ttmp9, s2
	s_cselect_b32 s30, ttmp7, s13
	s_lshl_b32 s13, s12, 5
	s_load_b64 s[14:15], s[0:1], 0x28
	s_or_b32 s16, s13, 31
	s_wait_kmcnt 0x0
	v_cmp_le_i64_e64 s2, s[6:7], s[16:17]
	s_lshl_b32 s16, s30, 5
	s_delay_alu instid0(SALU_CYCLE_1) | instskip(SKIP_2) | instid1(VALU_DEP_1)
	v_cmp_gt_i64_e64 s31, s[4:5], s[16:17]
	s_and_b32 vcc_lo, exec_lo, s2
	v_cndmask_b32_e64 v1, 0, 1, s31
	v_cmp_ne_u32_e64 s2, 1, v1
	s_cbranch_vccz .LBB199_141
; %bb.1:
	s_set_vgpr_msb 64                       ;  msbs: dst=1 src0=0 src1=0 src2=0
	v_mov_b32_e32 v38 /*v294*/, 0
	s_and_b32 vcc_lo, exec_lo, s2
	s_set_vgpr_msb 0                        ;  msbs: dst=0 src0=0 src1=0 src2=0
	s_cbranch_vccnz .LBB199_142
; %bb.2:
	v_bfe_u32 v1, v0, 10, 10
	v_mov_b32_e32 v2, 0
	v_and_b32_e32 v182, 0x3ff, v0
	s_load_b32 s3, s[0:1], 0x44
	s_mov_b32 s19, 0
	s_delay_alu instid0(VALU_DEP_2) | instskip(NEXT) | instid1(VALU_DEP_2)
	v_dual_mov_b32 v37, v2 :: v_dual_lshlrev_b32 v36, 5, v1
	v_dual_mov_b32 v9, v2 :: v_dual_add_nc_u32 v8, s13, v182
	v_mov_b32_e32 v183, 0
	s_mov_b32 s23, s19
	s_delay_alu instid0(VALU_DEP_3)
	v_add_nc_u64_e32 v[4:5], s[16:17], v[36:37]
	s_add_nc_u64 s[20:21], s[0:1], 64
	v_cmp_gt_i64_e64 s2, s[6:7], v[8:9]
	v_lshlrev_b64_e32 v[38:39], 1, v[8:9]
	s_mov_b64 s[26:27], 31
	s_mov_b64 s[28:29], s[16:17]
	v_add_nc_u64_e32 v[10:11], 31, v[4:5]
	v_add_nc_u64_e32 v[14:15], 29, v[4:5]
	;; [unrolled: 1-line block ×7, first 2 shown]
	v_mul_u64_e32 v[10:11], s[6:7], v[10:11]
	v_mul_u64_e32 v[14:15], s[6:7], v[14:15]
	;; [unrolled: 1-line block ×6, first 2 shown]
	v_add_nc_u64_e32 v[18:19], 27, v[4:5]
	v_add_nc_u64_e32 v[22:23], 25, v[4:5]
	;; [unrolled: 1-line block ×3, first 2 shown]
	v_mul_u64_e32 v[24:25], s[6:7], v[24:25]
	v_add_nc_u64_e32 v[30:31], 20, v[4:5]
	v_add_nc_u64_e32 v[32:33], 19, v[4:5]
	;; [unrolled: 1-line block ×3, first 2 shown]
	v_mul_u64_e32 v[18:19], s[6:7], v[18:19]
	v_mul_u64_e32 v[22:23], s[6:7], v[22:23]
	;; [unrolled: 1-line block ×3, first 2 shown]
	v_add_nc_u64_e32 v[20:21], 26, v[4:5]
	v_mul_u64_e32 v[30:31], s[6:7], v[30:31]
	v_mul_u64_e32 v[32:33], s[6:7], v[32:33]
	;; [unrolled: 1-line block ×4, first 2 shown]
	s_wait_kmcnt 0x0
	s_lshl_b32 s22, s3, 5
	v_mul_u64_e32 v[20:21], s[6:7], v[20:21]
	s_mul_u64 s[24:25], s[6:7], s[22:23]
	s_delay_alu instid0(SALU_CYCLE_1)
	s_lshl_b64 s[24:25], s[24:25], 1
	v_lshlrev_b64_e32 v[10:11], 1, v[10:11]
	v_lshlrev_b64_e32 v[14:15], 1, v[14:15]
	;; [unrolled: 1-line block ×5, first 2 shown]
	v_add_nc_u64_e32 v[44:45], s[8:9], v[10:11]
	v_add_nc_u64_e32 v[46:47], s[10:11], v[10:11]
	;; [unrolled: 1-line block ×8, first 2 shown]
	v_lshlrev_b64_e32 v[16:17], 1, v[26:27]
	v_mul_u64_e32 v[10:11], s[6:7], v[10:11]
	v_add_nc_u64_e32 v[76:77], s[8:9], v[8:9]
	v_add_nc_u64_e32 v[78:79], s[10:11], v[8:9]
	;; [unrolled: 1-line block ×4, first 2 shown]
	v_mul_u64_e32 v[8:9], s[6:7], v[14:15]
	v_add_nc_u64_e32 v[80:81], s[8:9], v[16:17]
	v_add_nc_u64_e32 v[82:83], s[10:11], v[16:17]
	;; [unrolled: 1-line block ×3, first 2 shown]
	v_lshlrev_b64_e32 v[12:13], 1, v[24:25]
	v_lshlrev_b64_e32 v[18:19], 1, v[18:19]
	;; [unrolled: 1-line block ×3, first 2 shown]
	v_add_nc_u64_e32 v[14:15], 15, v[4:5]
	v_add_nc_u64_e32 v[24:25], 11, v[4:5]
	;; [unrolled: 1-line block ×3, first 2 shown]
	v_mul_u64_e32 v[16:17], s[6:7], v[16:17]
	v_add_nc_u64_e32 v[72:73], s[8:9], v[12:13]
	v_add_nc_u64_e32 v[74:75], s[10:11], v[12:13]
	v_lshlrev_b64_e32 v[12:13], 1, v[28:29]
	v_add_nc_u64_e32 v[60:61], s[8:9], v[18:19]
	v_add_nc_u64_e32 v[62:63], s[10:11], v[18:19]
	;; [unrolled: 1-line block ×4, first 2 shown]
	v_lshlrev_b64_e32 v[18:19], 1, v[30:31]
	v_lshlrev_b64_e32 v[22:23], 1, v[34:35]
	v_add_nc_u64_e32 v[84:85], s[8:9], v[12:13]
	v_add_nc_u64_e32 v[86:87], s[10:11], v[12:13]
	v_lshlrev_b64_e32 v[12:13], 1, v[32:33]
	v_lshlrev_b64_e32 v[20:21], 1, v[20:21]
	v_mul_u64_e32 v[14:15], s[6:7], v[14:15]
	v_add_nc_u64_e32 v[88:89], s[8:9], v[18:19]
	v_add_nc_u64_e32 v[90:91], s[10:11], v[18:19]
	;; [unrolled: 1-line block ×7, first 2 shown]
	v_mul_u64_e32 v[24:25], s[6:7], v[24:25]
	v_lshlrev_b64_e32 v[10:11], 1, v[10:11]
	v_add_nc_u64_e32 v[28:29], 8, v[4:5]
	v_add_nc_u64_e32 v[98:99], s[10:11], v[22:23]
	v_mul_u64_e32 v[22:23], s[6:7], v[26:27]
	v_add_nc_u64_e32 v[26:27], 6, v[4:5]
	v_add_nc_u64_e32 v[64:65], s[8:9], v[20:21]
	;; [unrolled: 1-line block ×4, first 2 shown]
	v_mul_u64_e32 v[18:19], s[6:7], v[18:19]
	v_mul_u64_e32 v[12:13], s[6:7], v[12:13]
	v_add_nc_u64_e32 v[30:31], 7, v[4:5]
	v_lshlrev_b64_e32 v[8:9], 1, v[8:9]
	v_mul_u64_e32 v[28:29], s[6:7], v[28:29]
	v_add_nc_u64_e32 v[100:101], s[8:9], v[10:11]
	v_add_nc_u64_e32 v[32:33], 5, v[4:5]
	;; [unrolled: 1-line block ×3, first 2 shown]
	v_mul_u64_e32 v[10:11], s[6:7], v[26:27]
	v_add_nc_u64_e32 v[26:27], 4, v[4:5]
	v_add_nc_u64_e32 v[34:35], 3, v[4:5]
	;; [unrolled: 1-line block ×3, first 2 shown]
	v_mul_u64_e32 v[20:21], s[6:7], v[20:21]
	v_mul_u64_e32 v[30:31], s[6:7], v[30:31]
	v_add_nc_u64_e32 v[104:105], s[8:9], v[8:9]
	v_mul_u64_e32 v[32:33], s[6:7], v[32:33]
	v_add_nc_u64_e32 v[106:107], s[10:11], v[8:9]
	v_lshlrev_b64_e32 v[8:9], 1, v[16:17]
	v_mul_u64_e32 v[16:17], s[6:7], v[26:27]
	v_mul_u64_e32 v[26:27], s[6:7], v[34:35]
	;; [unrolled: 1-line block ×3, first 2 shown]
	v_lshlrev_b64_e32 v[14:15], 1, v[14:15]
	v_lshlrev_b64_e32 v[42:43], 1, v[6:7]
	v_add_nc_u64_e32 v[6:7], s[6:7], v[6:7]
	v_add_nc_u64_e32 v[112:113], s[8:9], v[8:9]
	;; [unrolled: 1-line block ×3, first 2 shown]
	v_lshlrev_b64_e32 v[8:9], 1, v[24:25]
	v_add_nc_u64_e32 v[108:109], s[8:9], v[14:15]
	v_add_nc_u64_e32 v[110:111], s[10:11], v[14:15]
	v_lshlrev_b64_e32 v[6:7], 1, v[6:7]
	v_add_nc_u64_e32 v[40:41], s[8:9], v[42:43]
	v_lshlrev_b64_e32 v[14:15], 1, v[18:19]
	v_lshlrev_b64_e32 v[12:13], 1, v[12:13]
	v_add_nc_u64_e32 v[124:125], s[8:9], v[8:9]
	v_add_nc_u64_e32 v[126:127], s[10:11], v[8:9]
	v_lshlrev_b64_e32 v[8:9], 1, v[28:29]
	v_add_nc_u64_e32 v[42:43], s[10:11], v[42:43]
	v_add_nc_u64_e32 v[164:165], s[8:9], v[6:7]
	v_add_nc_u64_e32 v[120:121], s[8:9], v[14:15]
	v_lshlrev_b64_e32 v[10:11], 1, v[10:11]
	v_add_nc_u64_e32 v[122:123], s[10:11], v[14:15]
	v_lshlrev_b64_e32 v[14:15], 1, v[22:23]
	v_add_nc_u64_e32 v[128:129], s[8:9], v[12:13]
	v_lshlrev_b64_e32 v[20:21], 1, v[20:21]
	v_lshlrev_b64_e32 v[18:19], 1, v[30:31]
	v_add_nc_u64_e32 v[130:131], s[10:11], v[12:13]
	v_add_nc_u64_e32 v[136:137], s[8:9], v[8:9]
	;; [unrolled: 1-line block ×3, first 2 shown]
	v_lshlrev_b64_e32 v[8:9], 1, v[32:33]
	v_add_nc_u64_e32 v[144:145], s[8:9], v[10:11]
	v_lshlrev_b64_e32 v[12:13], 1, v[16:17]
	v_add_nc_u64_e32 v[146:147], s[10:11], v[10:11]
	v_lshlrev_b64_e32 v[10:11], 1, v[26:27]
	v_lshlrev_b64_e32 v[4:5], 1, v[4:5]
	v_add_nc_u64_e32 v[116:117], s[8:9], v[20:21]
	v_add_nc_u64_e32 v[118:119], s[10:11], v[20:21]
	;; [unrolled: 1-line block ×15, first 2 shown]
.LBB199_3:                              ; =>This Inner Loop Header: Depth=1
	s_add_nc_u64 s[34:35], s[16:17], s[26:27]
	v_add_nc_u64_e32 v[168:169], s[16:17], v[36:37]
	v_cmp_ge_i64_e64 s3, s[34:35], s[4:5]
                                        ; implicit-def: $vgpr294
                                        ; implicit-def: $vgpr203
                                        ; implicit-def: $vgpr4_vgpr5_vgpr6_vgpr7_vgpr8_vgpr9_vgpr10_vgpr11_vgpr12_vgpr13_vgpr14_vgpr15_vgpr16_vgpr17_vgpr18_vgpr19_vgpr20_vgpr21_vgpr22_vgpr23_vgpr24_vgpr25_vgpr26_vgpr27_vgpr28_vgpr29_vgpr30_vgpr31_vgpr32_vgpr33_vgpr34_vgpr35
                                        ; implicit-def: $vgpr3
	s_and_b32 vcc_lo, exec_lo, s3
	s_mov_b32 s3, -1
	s_cbranch_vccz .LBB199_71
; %bb.4:                                ;   in Loop: Header=BB199_3 Depth=1
	s_load_b32 s3, s[20:21], 0xc
	v_dual_mov_b32 v185, 0 :: v_dual_mov_b32 v184, 0
	v_mov_b32_e32 v5, v2
	s_wait_kmcnt 0x0
	s_and_b32 s3, s3, 0xffff
	s_delay_alu instid0(SALU_CYCLE_1) | instskip(SKIP_1) | instid1(VALU_DEP_1)
	v_mad_u32_u24 v3, v1, s3, v182
	s_mov_b32 s3, exec_lo
	v_and_b32_e32 v4, 31, v3
	s_delay_alu instid0(VALU_DEP_1) | instskip(NEXT) | instid1(VALU_DEP_1)
	v_add_nc_u64_e32 v[4:5], v[168:169], v[4:5]
	v_cmpx_gt_i64_e64 s[4:5], v[4:5]
	s_cbranch_execz .LBB199_6
; %bb.5:                                ;   in Loop: Header=BB199_3 Depth=1
	v_lshl_add_u64 v[4:5], v[4:5], 2, s[14:15]
	global_load_b32 v184, v[4:5], off
.LBB199_6:                              ;   in Loop: Header=BB199_3 Depth=1
	s_wait_xcnt 0x0
	s_or_b32 exec_lo, exec_lo, s3
	v_dual_mov_b32 v31, v2 :: v_dual_mov_b32 v32, v2
	v_dual_mov_b32 v33, v2 :: v_dual_mov_b32 v3, v2
	;; [unrolled: 1-line block ×15, first 2 shown]
	v_mov_b32_e32 v30, v2
	v_cmp_gt_i64_e32 vcc_lo, s[4:5], v[168:169]
	v_mov_b64_e32 v[34:35], v[32:33]
	s_delay_alu instid0(VALU_DEP_3)
	v_mov_b64_e32 v[32:33], v[30:31]
	v_mov_b64_e32 v[30:31], v[28:29]
	;; [unrolled: 1-line block ×15, first 2 shown]
	s_and_b32 s18, s2, vcc_lo
	s_delay_alu instid0(SALU_CYCLE_1)
	s_and_saveexec_b32 s3, s18
	s_cbranch_execz .LBB199_8
; %bb.7:                                ;   in Loop: Header=BB199_3 Depth=1
	v_add_nc_u64_e32 v[4:5], v[40:41], v[38:39]
	v_add_nc_u64_e32 v[6:7], v[42:43], v[38:39]
	v_dual_mov_b32 v9, v2 :: v_dual_mov_b32 v10, v2
	v_dual_mov_b32 v11, v2 :: v_dual_mov_b32 v12, v2
	;; [unrolled: 1-line block ×3, first 2 shown]
	global_load_u16 v3, v[4:5], off
	global_load_u16 v170, v[6:7], off
	s_wait_xcnt 0x0
	v_dual_mov_b32 v5, v2 :: v_dual_mov_b32 v6, v2
	v_dual_mov_b32 v7, v2 :: v_dual_mov_b32 v8, v2
	;; [unrolled: 1-line block ×12, first 2 shown]
	s_wait_loadcnt 0x1
	v_dual_mov_b32 v35, v2 :: v_dual_lshlrev_b32 v4, 16, v3
	s_wait_loadcnt 0x0
	v_lshlrev_b32_e32 v185, 16, v170
.LBB199_8:                              ;   in Loop: Header=BB199_3 Depth=1
	s_or_b32 exec_lo, exec_lo, s3
	v_add_nc_u64_e32 v[170:171], 1, v[168:169]
	v_dual_mov_b32 v3, 0 :: v_dual_mov_b32 v186, 0
	s_delay_alu instid0(VALU_DEP_2) | instskip(SKIP_1) | instid1(SALU_CYCLE_1)
	v_cmp_gt_i64_e32 vcc_lo, s[4:5], v[170:171]
	s_and_b32 s18, s2, vcc_lo
	s_and_saveexec_b32 s3, s18
	s_cbranch_execz .LBB199_10
; %bb.9:                                ;   in Loop: Header=BB199_3 Depth=1
	v_add_nc_u64_e32 v[170:171], v[164:165], v[38:39]
	v_add_nc_u64_e32 v[172:173], v[166:167], v[38:39]
	global_load_u16 v5, v[170:171], off
	global_load_u16 v174, v[172:173], off
	s_wait_loadcnt 0x0
	v_dual_lshlrev_b32 v5, 16, v5 :: v_dual_lshlrev_b32 v186, 16, v174
.LBB199_10:                             ;   in Loop: Header=BB199_3 Depth=1
	s_or_b32 exec_lo, exec_lo, s3
	v_add_nc_u64_e32 v[170:171], 2, v[168:169]
	s_delay_alu instid0(VALU_DEP_1) | instskip(SKIP_1) | instid1(SALU_CYCLE_1)
	v_cmp_gt_i64_e32 vcc_lo, s[4:5], v[170:171]
	s_and_b32 s18, s2, vcc_lo
	s_and_saveexec_b32 s3, s18
	s_cbranch_execz .LBB199_12
; %bb.11:                               ;   in Loop: Header=BB199_3 Depth=1
	v_add_nc_u64_e32 v[170:171], v[160:161], v[38:39]
	v_add_nc_u64_e32 v[172:173], v[162:163], v[38:39]
	global_load_u16 v3, v[170:171], off
	global_load_u16 v174, v[172:173], off
	s_wait_loadcnt 0x0
	v_dual_lshlrev_b32 v6, 16, v3 :: v_dual_lshlrev_b32 v3, 16, v174
.LBB199_12:                             ;   in Loop: Header=BB199_3 Depth=1
	s_or_b32 exec_lo, exec_lo, s3
	v_add_nc_u64_e32 v[170:171], 3, v[168:169]
	v_dual_mov_b32 v187, 0 :: v_dual_mov_b32 v188, 0
	s_delay_alu instid0(VALU_DEP_2) | instskip(SKIP_1) | instid1(SALU_CYCLE_1)
	v_cmp_gt_i64_e32 vcc_lo, s[4:5], v[170:171]
	s_and_b32 s18, s2, vcc_lo
	s_and_saveexec_b32 s3, s18
	s_cbranch_execz .LBB199_14
; %bb.13:                               ;   in Loop: Header=BB199_3 Depth=1
	v_add_nc_u64_e32 v[170:171], v[156:157], v[38:39]
	v_add_nc_u64_e32 v[172:173], v[158:159], v[38:39]
	global_load_u16 v7, v[170:171], off
	global_load_u16 v174, v[172:173], off
	s_wait_loadcnt 0x0
	v_dual_lshlrev_b32 v7, 16, v7 :: v_dual_lshlrev_b32 v188, 16, v174
.LBB199_14:                             ;   in Loop: Header=BB199_3 Depth=1
	s_or_b32 exec_lo, exec_lo, s3
	v_add_nc_u64_e32 v[170:171], 4, v[168:169]
	s_delay_alu instid0(VALU_DEP_1) | instskip(SKIP_1) | instid1(SALU_CYCLE_1)
	v_cmp_gt_i64_e32 vcc_lo, s[4:5], v[170:171]
	s_and_b32 s18, s2, vcc_lo
	s_and_saveexec_b32 s3, s18
	s_cbranch_execz .LBB199_16
; %bb.15:                               ;   in Loop: Header=BB199_3 Depth=1
	v_add_nc_u64_e32 v[170:171], v[152:153], v[38:39]
	v_add_nc_u64_e32 v[172:173], v[154:155], v[38:39]
	global_load_u16 v8, v[170:171], off
	global_load_u16 v174, v[172:173], off
	s_wait_loadcnt 0x0
	v_dual_lshlrev_b32 v8, 16, v8 :: v_dual_lshlrev_b32 v187, 16, v174
.LBB199_16:                             ;   in Loop: Header=BB199_3 Depth=1
	s_or_b32 exec_lo, exec_lo, s3
	v_add_nc_u64_e32 v[170:171], 5, v[168:169]
	v_dual_mov_b32 v189, 0 :: v_dual_mov_b32 v190, 0
	s_delay_alu instid0(VALU_DEP_2) | instskip(SKIP_1) | instid1(SALU_CYCLE_1)
	v_cmp_gt_i64_e32 vcc_lo, s[4:5], v[170:171]
	s_and_b32 s18, s2, vcc_lo
	s_and_saveexec_b32 s3, s18
	s_cbranch_execz .LBB199_18
; %bb.17:                               ;   in Loop: Header=BB199_3 Depth=1
	v_add_nc_u64_e32 v[170:171], v[148:149], v[38:39]
	v_add_nc_u64_e32 v[172:173], v[150:151], v[38:39]
	global_load_u16 v9, v[170:171], off
	global_load_u16 v174, v[172:173], off
	s_wait_loadcnt 0x0
	v_dual_lshlrev_b32 v9, 16, v9 :: v_dual_lshlrev_b32 v190, 16, v174
.LBB199_18:                             ;   in Loop: Header=BB199_3 Depth=1
	s_or_b32 exec_lo, exec_lo, s3
	v_add_nc_u64_e32 v[170:171], 6, v[168:169]
	s_delay_alu instid0(VALU_DEP_1) | instskip(SKIP_1) | instid1(SALU_CYCLE_1)
	v_cmp_gt_i64_e32 vcc_lo, s[4:5], v[170:171]
	s_and_b32 s18, s2, vcc_lo
	s_and_saveexec_b32 s3, s18
	s_cbranch_execz .LBB199_20
; %bb.19:                               ;   in Loop: Header=BB199_3 Depth=1
	v_add_nc_u64_e32 v[170:171], v[144:145], v[38:39]
	v_add_nc_u64_e32 v[172:173], v[146:147], v[38:39]
	global_load_u16 v10, v[170:171], off
	global_load_u16 v174, v[172:173], off
	s_wait_loadcnt 0x1
	v_lshlrev_b32_e32 v10, 16, v10
	s_wait_loadcnt 0x0
	v_lshlrev_b32_e32 v189, 16, v174
.LBB199_20:                             ;   in Loop: Header=BB199_3 Depth=1
	s_or_b32 exec_lo, exec_lo, s3
	v_add_nc_u64_e32 v[170:171], 7, v[168:169]
	v_dual_mov_b32 v191, 0 :: v_dual_mov_b32 v192, 0
	s_delay_alu instid0(VALU_DEP_2) | instskip(SKIP_1) | instid1(SALU_CYCLE_1)
	v_cmp_gt_i64_e32 vcc_lo, s[4:5], v[170:171]
	s_and_b32 s18, s2, vcc_lo
	s_and_saveexec_b32 s3, s18
	s_cbranch_execz .LBB199_22
; %bb.21:                               ;   in Loop: Header=BB199_3 Depth=1
	v_add_nc_u64_e32 v[170:171], v[140:141], v[38:39]
	v_add_nc_u64_e32 v[172:173], v[142:143], v[38:39]
	global_load_u16 v11, v[170:171], off
	global_load_u16 v174, v[172:173], off
	s_wait_loadcnt 0x0
	v_dual_lshlrev_b32 v11, 16, v11 :: v_dual_lshlrev_b32 v192, 16, v174
.LBB199_22:                             ;   in Loop: Header=BB199_3 Depth=1
	s_or_b32 exec_lo, exec_lo, s3
	v_add_nc_u64_e32 v[170:171], 8, v[168:169]
	s_delay_alu instid0(VALU_DEP_1) | instskip(SKIP_1) | instid1(SALU_CYCLE_1)
	v_cmp_gt_i64_e32 vcc_lo, s[4:5], v[170:171]
	s_and_b32 s18, s2, vcc_lo
	s_and_saveexec_b32 s3, s18
	s_cbranch_execz .LBB199_24
; %bb.23:                               ;   in Loop: Header=BB199_3 Depth=1
	v_add_nc_u64_e32 v[170:171], v[136:137], v[38:39]
	v_add_nc_u64_e32 v[172:173], v[138:139], v[38:39]
	global_load_u16 v12, v[170:171], off
	global_load_u16 v174, v[172:173], off
	s_wait_loadcnt 0x0
	v_dual_lshlrev_b32 v12, 16, v12 :: v_dual_lshlrev_b32 v191, 16, v174
.LBB199_24:                             ;   in Loop: Header=BB199_3 Depth=1
	s_or_b32 exec_lo, exec_lo, s3
	v_add_nc_u64_e32 v[170:171], 9, v[168:169]
	v_dual_mov_b32 v193, 0 :: v_dual_mov_b32 v194, 0
	s_delay_alu instid0(VALU_DEP_2) | instskip(SKIP_1) | instid1(SALU_CYCLE_1)
	v_cmp_gt_i64_e32 vcc_lo, s[4:5], v[170:171]
	s_and_b32 s18, s2, vcc_lo
	s_and_saveexec_b32 s3, s18
	s_cbranch_execz .LBB199_26
; %bb.25:                               ;   in Loop: Header=BB199_3 Depth=1
	v_add_nc_u64_e32 v[170:171], v[132:133], v[38:39]
	v_add_nc_u64_e32 v[172:173], v[134:135], v[38:39]
	global_load_u16 v13, v[170:171], off
	global_load_u16 v174, v[172:173], off
	s_wait_loadcnt 0x0
	v_dual_lshlrev_b32 v13, 16, v13 :: v_dual_lshlrev_b32 v194, 16, v174
.LBB199_26:                             ;   in Loop: Header=BB199_3 Depth=1
	s_or_b32 exec_lo, exec_lo, s3
	v_add_nc_u64_e32 v[170:171], 10, v[168:169]
	s_delay_alu instid0(VALU_DEP_1) | instskip(SKIP_1) | instid1(SALU_CYCLE_1)
	v_cmp_gt_i64_e32 vcc_lo, s[4:5], v[170:171]
	s_and_b32 s18, s2, vcc_lo
	s_and_saveexec_b32 s3, s18
	s_cbranch_execz .LBB199_28
; %bb.27:                               ;   in Loop: Header=BB199_3 Depth=1
	v_add_nc_u64_e32 v[170:171], v[128:129], v[38:39]
	v_add_nc_u64_e32 v[172:173], v[130:131], v[38:39]
	global_load_u16 v14, v[170:171], off
	global_load_u16 v174, v[172:173], off
	s_wait_loadcnt 0x1
	v_lshlrev_b32_e32 v14, 16, v14
	s_wait_loadcnt 0x0
	v_lshlrev_b32_e32 v193, 16, v174
.LBB199_28:                             ;   in Loop: Header=BB199_3 Depth=1
	;; [unrolled: 64-line block ×4, first 2 shown]
	s_or_b32 exec_lo, exec_lo, s3
	v_add_nc_u64_e32 v[170:171], 19, v[168:169]
	s_delay_alu instid0(VALU_DEP_1) | instskip(SKIP_2) | instid1(SALU_CYCLE_1)
	v_cmp_gt_i64_e32 vcc_lo, s[4:5], v[170:171]
	v_dual_mov_b32 v171, 0 :: v_dual_mov_b32 v170, 0
	s_and_b32 s18, s2, vcc_lo
	s_and_saveexec_b32 s3, s18
	s_cbranch_execz .LBB199_46
; %bb.45:                               ;   in Loop: Header=BB199_3 Depth=1
	v_add_nc_u64_e32 v[172:173], v[92:93], v[38:39]
	v_add_nc_u64_e32 v[174:175], v[94:95], v[38:39]
	global_load_u16 v23, v[172:173], off
	global_load_u16 v170, v[174:175], off
	s_wait_loadcnt 0x0
	v_dual_lshlrev_b32 v23, 16, v23 :: v_dual_lshlrev_b32 v170, 16, v170
.LBB199_46:                             ;   in Loop: Header=BB199_3 Depth=1
	s_or_b32 exec_lo, exec_lo, s3
	v_add_nc_u64_e32 v[172:173], 20, v[168:169]
	s_delay_alu instid0(VALU_DEP_1) | instskip(SKIP_1) | instid1(SALU_CYCLE_1)
	v_cmp_gt_i64_e32 vcc_lo, s[4:5], v[172:173]
	s_and_b32 s18, s2, vcc_lo
	s_and_saveexec_b32 s3, s18
	s_cbranch_execz .LBB199_48
; %bb.47:                               ;   in Loop: Header=BB199_3 Depth=1
	v_add_nc_u64_e32 v[172:173], v[88:89], v[38:39]
	v_add_nc_u64_e32 v[174:175], v[90:91], v[38:39]
	global_load_u16 v24, v[172:173], off
	global_load_u16 v171, v[174:175], off
	s_wait_loadcnt 0x0
	v_dual_lshlrev_b32 v24, 16, v24 :: v_dual_lshlrev_b32 v171, 16, v171
.LBB199_48:                             ;   in Loop: Header=BB199_3 Depth=1
	s_or_b32 exec_lo, exec_lo, s3
	v_add_nc_u64_e32 v[172:173], 21, v[168:169]
	s_delay_alu instid0(VALU_DEP_1) | instskip(SKIP_2) | instid1(SALU_CYCLE_1)
	v_cmp_gt_i64_e32 vcc_lo, s[4:5], v[172:173]
	v_dual_mov_b32 v173, 0 :: v_dual_mov_b32 v172, 0
	s_and_b32 s18, s2, vcc_lo
	s_and_saveexec_b32 s3, s18
	s_cbranch_execz .LBB199_50
; %bb.49:                               ;   in Loop: Header=BB199_3 Depth=1
	v_add_nc_u64_e32 v[174:175], v[84:85], v[38:39]
	v_add_nc_u64_e32 v[176:177], v[86:87], v[38:39]
	global_load_u16 v25, v[174:175], off
	global_load_u16 v172, v[176:177], off
	s_wait_loadcnt 0x0
	v_dual_lshlrev_b32 v25, 16, v25 :: v_dual_lshlrev_b32 v172, 16, v172
.LBB199_50:                             ;   in Loop: Header=BB199_3 Depth=1
	s_or_b32 exec_lo, exec_lo, s3
	v_add_nc_u64_e32 v[174:175], 22, v[168:169]
	s_delay_alu instid0(VALU_DEP_1) | instskip(SKIP_1) | instid1(SALU_CYCLE_1)
	v_cmp_gt_i64_e32 vcc_lo, s[4:5], v[174:175]
	s_and_b32 s18, s2, vcc_lo
	s_and_saveexec_b32 s3, s18
	s_cbranch_execz .LBB199_52
; %bb.51:                               ;   in Loop: Header=BB199_3 Depth=1
	v_add_nc_u64_e32 v[174:175], v[80:81], v[38:39]
	v_add_nc_u64_e32 v[176:177], v[82:83], v[38:39]
	global_load_u16 v26, v[174:175], off
	global_load_u16 v173, v[176:177], off
	s_wait_loadcnt 0x0
	v_dual_lshlrev_b32 v26, 16, v26 :: v_dual_lshlrev_b32 v173, 16, v173
.LBB199_52:                             ;   in Loop: Header=BB199_3 Depth=1
	;; [unrolled: 31-line block ×6, first 2 shown]
	s_or_b32 exec_lo, exec_lo, s3
	v_add_nc_u64_e32 v[204:205], 31, v[168:169]
	v_mov_b32_e32 v203, 0
	s_delay_alu instid0(VALU_DEP_2) | instskip(SKIP_1) | instid1(SALU_CYCLE_1)
	v_cmp_gt_i64_e32 vcc_lo, s[4:5], v[204:205]
	s_and_b32 s18, s2, vcc_lo
	s_and_saveexec_b32 s3, s18
	s_cbranch_execz .LBB199_70
; %bb.69:                               ;   in Loop: Header=BB199_3 Depth=1
	v_add_nc_u64_e32 v[204:205], v[44:45], v[38:39]
	v_add_nc_u64_e32 v[206:207], v[46:47], v[38:39]
	global_load_u16 v35, v[204:205], off
	global_load_u16 v203, v[206:207], off
	s_wait_loadcnt 0x1
	v_lshlrev_b32_e32 v35, 16, v35
	s_wait_loadcnt 0x0
	v_lshlrev_b32_e32 v203, 16, v203
.LBB199_70:                             ;   in Loop: Header=BB199_3 Depth=1
	s_or_b32 exec_lo, exec_lo, s3
	s_wait_loadcnt 0x0
	ds_bpermute_b32 v204, v2, v184
	ds_bpermute_b32 v205, v2, v184 offset:4
	ds_bpermute_b32 v206, v2, v184 offset:8
	v_dual_mul_f32 v4, v185, v4 :: v_dual_mul_f32 v5, v186, v5
	ds_bpermute_b32 v185, v2, v184 offset:12
	ds_bpermute_b32 v186, v2, v184 offset:16
	s_mov_b32 s3, 0
	v_mul_f32_e32 v3, v3, v6
	ds_bpermute_b32 v6, v2, v184 offset:24
	s_wait_dscnt 0x5
	v_fma_f32 v204, v4, v204, v183
	ds_bpermute_b32 v4, v2, v184 offset:20
	s_wait_dscnt 0x5
	v_dual_fmac_f32 v204, v5, v205 :: v_dual_mul_f32 v5, v188, v7
	ds_bpermute_b32 v7, v2, v184 offset:28
	s_wait_dscnt 0x5
	v_fmac_f32_e32 v204, v3, v206
	v_mul_f32_e32 v3, v187, v8
	ds_bpermute_b32 v8, v2, v184 offset:32
	s_wait_dscnt 0x5
	v_fmac_f32_e32 v204, v5, v185
	v_mul_f32_e32 v5, v190, v9
	ds_bpermute_b32 v9, v2, v184 offset:36
	s_wait_dscnt 0x5
	v_fmac_f32_e32 v204, v3, v186
	s_wait_dscnt 0x3
	s_delay_alu instid0(VALU_DEP_1)
	v_dual_fmac_f32 v204, v5, v4 :: v_dual_mul_f32 v4, v192, v11
	v_mul_f32_e32 v3, v189, v10
	ds_bpermute_b32 v5, v2, v184 offset:40
	ds_bpermute_b32 v10, v2, v184 offset:60
	;; [unrolled: 1-line block ×3, first 2 shown]
	v_fmac_f32_e32 v204, v3, v6
	ds_bpermute_b32 v6, v2, v184 offset:44
	s_wait_dscnt 0x6
	v_dual_fmac_f32 v204, v4, v7 :: v_dual_mul_f32 v4, v194, v13
	v_mul_f32_e32 v3, v191, v12
	ds_bpermute_b32 v7, v2, v184 offset:48
	ds_bpermute_b32 v12, v2, v184 offset:68
	s_wait_dscnt 0x7
	v_dual_mul_f32 v13, v202, v21 :: v_dual_fmac_f32 v204, v3, v8
	v_mul_f32_e32 v3, v193, v14
	ds_bpermute_b32 v8, v2, v184 offset:52
	ds_bpermute_b32 v14, v2, v184 offset:72
	s_wait_dscnt 0x8
	v_fmac_f32_e32 v204, v4, v9
	v_mul_f32_e32 v4, v196, v15
	ds_bpermute_b32 v9, v2, v184 offset:56
	ds_bpermute_b32 v15, v2, v184 offset:104
	s_wait_dscnt 0x9
	v_fmac_f32_e32 v204, v3, v5
	v_mul_f32_e32 v3, v195, v16
	ds_bpermute_b32 v5, v2, v184 offset:80
	s_wait_dscnt 0x7
	v_dual_fmac_f32 v204, v4, v6 :: v_dual_mul_f32 v4, v198, v17
	s_wait_dscnt 0x6
	s_delay_alu instid0(VALU_DEP_1) | instskip(SKIP_2) | instid1(VALU_DEP_2)
	v_dual_fmac_f32 v204, v3, v7 :: v_dual_mul_f32 v3, v197, v18
	v_mov_b32_e32 v7, v24
	s_wait_dscnt 0x4
	v_fmac_f32_e32 v204, v4, v8
	v_mul_f32_e32 v6, v200, v19
	ds_bpermute_b32 v4, v2, v184 offset:76
	ds_bpermute_b32 v8, v2, v184 offset:84
	s_wait_dscnt 0x4
	v_fmac_f32_e32 v204, v3, v9
	v_mul_f32_e32 v3, v199, v20
	ds_bpermute_b32 v9, v2, v184 offset:88
	v_dual_fmac_f32 v204, v6, v10 :: v_dual_mov_b32 v6, v23
	s_delay_alu instid0(VALU_DEP_1) | instskip(SKIP_1) | instid1(VALU_DEP_3)
	v_dual_mov_b32 v10, v25 :: v_dual_fmac_f32 v204, v3, v11
	v_mul_f32_e32 v3, v201, v22
	v_pk_mul_f32 v[6:7], v[170:171], v[6:7]
	s_delay_alu instid0(VALU_DEP_3)
	v_dual_mov_b32 v11, v26 :: v_dual_fmac_f32 v204, v13, v12
	ds_bpermute_b32 v12, v2, v184 offset:92
	ds_bpermute_b32 v13, v2, v184 offset:96
	s_wait_dscnt 0x4
	v_pk_mul_f32 v[4:5], v[6:7], v[4:5]
	v_mov_b32_e32 v6, v27
	v_dual_fmac_f32 v204, v3, v14 :: v_dual_mov_b32 v7, v28
	v_pk_mul_f32 v[10:11], v[172:173], v[10:11]
	ds_bpermute_b32 v14, v2, v184 offset:100
	v_dual_add_f32 v3, v204, v4 :: v_dual_mov_b32 v4, v29
	s_wait_dscnt 0x3
	v_pk_mul_f32 v[8:9], v[10:11], v[8:9]
	ds_bpermute_b32 v10, v2, v184 offset:108
	ds_bpermute_b32 v11, v2, v184 offset:112
	v_dual_add_f32 v3, v3, v5 :: v_dual_mov_b32 v5, v30
	v_pk_mul_f32 v[6:7], v[174:175], v[6:7]
	s_delay_alu instid0(VALU_DEP_2) | instskip(SKIP_2) | instid1(VALU_DEP_3)
	v_add_f32_e32 v3, v3, v8
	v_mov_b32_e32 v8, v31
	s_wait_dscnt 0x3
	v_pk_mul_f32 v[6:7], v[6:7], v[12:13]
	v_pk_mul_f32 v[4:5], v[176:177], v[4:5]
	v_dual_add_f32 v3, v3, v9 :: v_dual_mov_b32 v9, v32
	s_wait_dscnt 0x2
	s_delay_alu instid0(VALU_DEP_2) | instskip(NEXT) | instid1(VALU_DEP_2)
	v_pk_mul_f32 v[4:5], v[4:5], v[14:15]
	v_add_f32_e32 v3, v3, v6
	s_delay_alu instid0(VALU_DEP_3)
	v_pk_mul_f32 v[8:9], v[178:179], v[8:9]
	ds_bpermute_b32 v6, v2, v184 offset:116
	s_wait_dscnt 0x1
	v_pk_mul_f32 v[8:9], v[8:9], v[10:11]
	v_add_f32_e32 v3, v3, v7
	ds_bpermute_b32 v7, v2, v184 offset:120
	v_dual_add_f32 v3, v3, v4 :: v_dual_mov_b32 v4, v33
	s_delay_alu instid0(VALU_DEP_1) | instskip(SKIP_3) | instid1(VALU_DEP_2)
	v_dual_add_f32 v10, v3, v5 :: v_dual_mov_b32 v5, v34
	ds_bpermute_b32 v3, v2, v184 offset:124
	v_add_f32_e32 v8, v10, v8
	v_pk_mul_f32 v[4:5], v[180:181], v[4:5]
	v_add_f32_e32 v8, v8, v9
	s_wait_dscnt 0x1
	s_delay_alu instid0(VALU_DEP_2) | instskip(NEXT) | instid1(VALU_DEP_1)
	v_pk_mul_f32 v[4:5], v[4:5], v[6:7]
	v_add_f32_e32 v4, v8, v4
	s_set_vgpr_msb 64                       ;  msbs: dst=1 src0=0 src1=0 src2=0
	s_delay_alu instid0(VALU_DEP_1)
	v_add_f32_e32 v38 /*v294*/, v4, v5
.LBB199_71:                             ;   in Loop: Header=BB199_3 Depth=1
	s_and_b32 vcc_lo, exec_lo, s3
	s_set_vgpr_msb 0                        ;  msbs: dst=0 src0=0 src1=0 src2=0
	s_cbranch_vccz .LBB199_137
; %bb.72:                               ;   in Loop: Header=BB199_3 Depth=1
	s_load_b32 s3, s[20:21], 0x0
	v_dual_mov_b32 v181, 0 :: v_dual_mov_b32 v180, 0
	v_mov_b32_e32 v5, v2
	s_wait_kmcnt 0x0
	s_cmp_lt_u32 s12, s3
	s_cselect_b32 s18, 12, 18
	s_delay_alu instid0(SALU_CYCLE_1)
	s_add_nc_u64 s[34:35], s[20:21], s[18:19]
	s_load_u16 s3, s[34:35], 0x0
	s_wait_dscnt 0x0
	s_wait_kmcnt 0x0
	v_mad_u32_u24 v3, v1, s3, v182
	s_mov_b32 s3, exec_lo
	s_delay_alu instid0(VALU_DEP_1) | instskip(NEXT) | instid1(VALU_DEP_1)
	v_and_b32_e32 v4, 31, v3
	v_add_nc_u64_e32 v[4:5], v[168:169], v[4:5]
	s_delay_alu instid0(VALU_DEP_1)
	v_cmpx_gt_i64_e64 s[4:5], v[4:5]
	s_cbranch_execz .LBB199_74
; %bb.73:                               ;   in Loop: Header=BB199_3 Depth=1
	v_lshl_add_u64 v[4:5], v[4:5], 2, s[14:15]
	global_load_b32 v180, v[4:5], off
.LBB199_74:                             ;   in Loop: Header=BB199_3 Depth=1
	s_wait_xcnt 0x0
	s_or_b32 exec_lo, exec_lo, s3
	v_dual_mov_b32 v31, v2 :: v_dual_mov_b32 v32, v2
	v_dual_mov_b32 v33, v2 :: v_dual_mov_b32 v3, v2
	;; [unrolled: 1-line block ×15, first 2 shown]
	v_mov_b32_e32 v30, v2
	v_mov_b64_e32 v[34:35], v[32:33]
	s_delay_alu instid0(VALU_DEP_2) | instskip(NEXT) | instid1(VALU_DEP_4)
	v_mov_b64_e32 v[32:33], v[30:31]
	v_mov_b64_e32 v[30:31], v[28:29]
	v_mov_b64_e32 v[28:29], v[26:27]
	v_mov_b64_e32 v[26:27], v[24:25]
	v_mov_b64_e32 v[24:25], v[22:23]
	v_mov_b64_e32 v[22:23], v[20:21]
	v_mov_b64_e32 v[20:21], v[18:19]
	v_mov_b64_e32 v[18:19], v[16:17]
	v_mov_b64_e32 v[16:17], v[14:15]
	v_mov_b64_e32 v[14:15], v[12:13]
	v_mov_b64_e32 v[12:13], v[10:11]
	v_mov_b64_e32 v[10:11], v[8:9]
	v_mov_b64_e32 v[8:9], v[6:7]
	v_mov_b64_e32 v[6:7], v[4:5]
	v_mov_b64_e32 v[4:5], v[2:3]
	s_and_saveexec_b32 s3, s2
	s_cbranch_execz .LBB199_76
; %bb.75:                               ;   in Loop: Header=BB199_3 Depth=1
	v_add_nc_u64_e32 v[4:5], v[40:41], v[38:39]
	v_add_nc_u64_e32 v[6:7], v[42:43], v[38:39]
	v_dual_mov_b32 v9, v2 :: v_dual_mov_b32 v10, v2
	v_dual_mov_b32 v11, v2 :: v_dual_mov_b32 v12, v2
	;; [unrolled: 1-line block ×3, first 2 shown]
	global_load_u16 v3, v[4:5], off
	global_load_u16 v168, v[6:7], off
	s_wait_xcnt 0x0
	v_dual_mov_b32 v5, v2 :: v_dual_mov_b32 v6, v2
	v_dual_mov_b32 v7, v2 :: v_dual_mov_b32 v8, v2
	;; [unrolled: 1-line block ×12, first 2 shown]
	s_wait_loadcnt 0x1
	v_dual_mov_b32 v35, v2 :: v_dual_lshlrev_b32 v4, 16, v3
	s_wait_loadcnt 0x0
	v_lshlrev_b32_e32 v181, 16, v168
.LBB199_76:                             ;   in Loop: Header=BB199_3 Depth=1
	s_or_b32 exec_lo, exec_lo, s3
	v_dual_mov_b32 v3, 0 :: v_dual_mov_b32 v184, 0
	s_and_saveexec_b32 s3, s2
	s_cbranch_execz .LBB199_78
; %bb.77:                               ;   in Loop: Header=BB199_3 Depth=1
	v_add_nc_u64_e32 v[168:169], v[164:165], v[38:39]
	v_add_nc_u64_e32 v[170:171], v[166:167], v[38:39]
	global_load_u16 v5, v[168:169], off
	global_load_u16 v172, v[170:171], off
	s_wait_loadcnt 0x0
	v_dual_lshlrev_b32 v5, 16, v5 :: v_dual_lshlrev_b32 v184, 16, v172
.LBB199_78:                             ;   in Loop: Header=BB199_3 Depth=1
	s_or_b32 exec_lo, exec_lo, s3
	s_and_saveexec_b32 s3, s2
	s_cbranch_execz .LBB199_80
; %bb.79:                               ;   in Loop: Header=BB199_3 Depth=1
	v_add_nc_u64_e32 v[168:169], v[160:161], v[38:39]
	v_add_nc_u64_e32 v[170:171], v[162:163], v[38:39]
	global_load_u16 v3, v[168:169], off
	global_load_u16 v172, v[170:171], off
	s_wait_loadcnt 0x0
	v_dual_lshlrev_b32 v6, 16, v3 :: v_dual_lshlrev_b32 v3, 16, v172
.LBB199_80:                             ;   in Loop: Header=BB199_3 Depth=1
	s_or_b32 exec_lo, exec_lo, s3
	v_dual_mov_b32 v185, 0 :: v_dual_mov_b32 v186, 0
	s_and_saveexec_b32 s3, s2
	s_cbranch_execz .LBB199_82
; %bb.81:                               ;   in Loop: Header=BB199_3 Depth=1
	v_add_nc_u64_e32 v[168:169], v[156:157], v[38:39]
	v_add_nc_u64_e32 v[170:171], v[158:159], v[38:39]
	global_load_u16 v7, v[168:169], off
	global_load_u16 v172, v[170:171], off
	s_wait_loadcnt 0x0
	v_dual_lshlrev_b32 v7, 16, v7 :: v_dual_lshlrev_b32 v186, 16, v172
.LBB199_82:                             ;   in Loop: Header=BB199_3 Depth=1
	s_or_b32 exec_lo, exec_lo, s3
	s_and_saveexec_b32 s3, s2
	s_cbranch_execz .LBB199_84
; %bb.83:                               ;   in Loop: Header=BB199_3 Depth=1
	v_add_nc_u64_e32 v[168:169], v[152:153], v[38:39]
	v_add_nc_u64_e32 v[170:171], v[154:155], v[38:39]
	global_load_u16 v8, v[168:169], off
	global_load_u16 v172, v[170:171], off
	s_wait_loadcnt 0x1
	v_lshlrev_b32_e32 v8, 16, v8
	s_wait_loadcnt 0x0
	v_lshlrev_b32_e32 v185, 16, v172
.LBB199_84:                             ;   in Loop: Header=BB199_3 Depth=1
	s_or_b32 exec_lo, exec_lo, s3
	v_dual_mov_b32 v187, 0 :: v_dual_mov_b32 v188, 0
	s_and_saveexec_b32 s3, s2
	s_cbranch_execz .LBB199_86
; %bb.85:                               ;   in Loop: Header=BB199_3 Depth=1
	v_add_nc_u64_e32 v[168:169], v[148:149], v[38:39]
	v_add_nc_u64_e32 v[170:171], v[150:151], v[38:39]
	global_load_u16 v9, v[168:169], off
	global_load_u16 v172, v[170:171], off
	s_wait_loadcnt 0x0
	v_dual_lshlrev_b32 v9, 16, v9 :: v_dual_lshlrev_b32 v188, 16, v172
.LBB199_86:                             ;   in Loop: Header=BB199_3 Depth=1
	s_or_b32 exec_lo, exec_lo, s3
	s_and_saveexec_b32 s3, s2
	s_cbranch_execz .LBB199_88
; %bb.87:                               ;   in Loop: Header=BB199_3 Depth=1
	v_add_nc_u64_e32 v[168:169], v[144:145], v[38:39]
	v_add_nc_u64_e32 v[170:171], v[146:147], v[38:39]
	global_load_u16 v10, v[168:169], off
	global_load_u16 v172, v[170:171], off
	s_wait_loadcnt 0x0
	v_dual_lshlrev_b32 v10, 16, v10 :: v_dual_lshlrev_b32 v187, 16, v172
.LBB199_88:                             ;   in Loop: Header=BB199_3 Depth=1
	s_or_b32 exec_lo, exec_lo, s3
	v_dual_mov_b32 v189, 0 :: v_dual_mov_b32 v190, 0
	s_and_saveexec_b32 s3, s2
	s_cbranch_execz .LBB199_90
; %bb.89:                               ;   in Loop: Header=BB199_3 Depth=1
	v_add_nc_u64_e32 v[168:169], v[140:141], v[38:39]
	v_add_nc_u64_e32 v[170:171], v[142:143], v[38:39]
	global_load_u16 v11, v[168:169], off
	global_load_u16 v172, v[170:171], off
	s_wait_loadcnt 0x0
	v_dual_lshlrev_b32 v11, 16, v11 :: v_dual_lshlrev_b32 v190, 16, v172
.LBB199_90:                             ;   in Loop: Header=BB199_3 Depth=1
	s_or_b32 exec_lo, exec_lo, s3
	s_and_saveexec_b32 s3, s2
	s_cbranch_execz .LBB199_92
; %bb.91:                               ;   in Loop: Header=BB199_3 Depth=1
	v_add_nc_u64_e32 v[168:169], v[136:137], v[38:39]
	v_add_nc_u64_e32 v[170:171], v[138:139], v[38:39]
	global_load_u16 v12, v[168:169], off
	global_load_u16 v172, v[170:171], off
	s_wait_loadcnt 0x1
	v_lshlrev_b32_e32 v12, 16, v12
	s_wait_loadcnt 0x0
	v_lshlrev_b32_e32 v189, 16, v172
.LBB199_92:                             ;   in Loop: Header=BB199_3 Depth=1
	s_or_b32 exec_lo, exec_lo, s3
	v_dual_mov_b32 v191, 0 :: v_dual_mov_b32 v192, 0
	s_and_saveexec_b32 s3, s2
	s_cbranch_execz .LBB199_94
; %bb.93:                               ;   in Loop: Header=BB199_3 Depth=1
	v_add_nc_u64_e32 v[168:169], v[132:133], v[38:39]
	v_add_nc_u64_e32 v[170:171], v[134:135], v[38:39]
	global_load_u16 v13, v[168:169], off
	global_load_u16 v172, v[170:171], off
	s_wait_loadcnt 0x0
	v_dual_lshlrev_b32 v13, 16, v13 :: v_dual_lshlrev_b32 v192, 16, v172
.LBB199_94:                             ;   in Loop: Header=BB199_3 Depth=1
	s_or_b32 exec_lo, exec_lo, s3
	s_and_saveexec_b32 s3, s2
	s_cbranch_execz .LBB199_96
; %bb.95:                               ;   in Loop: Header=BB199_3 Depth=1
	v_add_nc_u64_e32 v[168:169], v[128:129], v[38:39]
	v_add_nc_u64_e32 v[170:171], v[130:131], v[38:39]
	global_load_u16 v14, v[168:169], off
	global_load_u16 v172, v[170:171], off
	s_wait_loadcnt 0x0
	v_dual_lshlrev_b32 v14, 16, v14 :: v_dual_lshlrev_b32 v191, 16, v172
.LBB199_96:                             ;   in Loop: Header=BB199_3 Depth=1
	s_or_b32 exec_lo, exec_lo, s3
	v_dual_mov_b32 v193, 0 :: v_dual_mov_b32 v194, 0
	s_and_saveexec_b32 s3, s2
	s_cbranch_execz .LBB199_98
; %bb.97:                               ;   in Loop: Header=BB199_3 Depth=1
	v_add_nc_u64_e32 v[168:169], v[124:125], v[38:39]
	v_add_nc_u64_e32 v[170:171], v[126:127], v[38:39]
	global_load_u16 v15, v[168:169], off
	global_load_u16 v172, v[170:171], off
	s_wait_loadcnt 0x0
	v_dual_lshlrev_b32 v15, 16, v15 :: v_dual_lshlrev_b32 v194, 16, v172
.LBB199_98:                             ;   in Loop: Header=BB199_3 Depth=1
	s_or_b32 exec_lo, exec_lo, s3
	s_and_saveexec_b32 s3, s2
	s_cbranch_execz .LBB199_100
; %bb.99:                               ;   in Loop: Header=BB199_3 Depth=1
	v_add_nc_u64_e32 v[168:169], v[120:121], v[38:39]
	v_add_nc_u64_e32 v[170:171], v[122:123], v[38:39]
	global_load_u16 v16, v[168:169], off
	global_load_u16 v172, v[170:171], off
	s_wait_loadcnt 0x1
	v_lshlrev_b32_e32 v16, 16, v16
	s_wait_loadcnt 0x0
	v_lshlrev_b32_e32 v193, 16, v172
.LBB199_100:                            ;   in Loop: Header=BB199_3 Depth=1
	s_or_b32 exec_lo, exec_lo, s3
	v_dual_mov_b32 v195, 0 :: v_dual_mov_b32 v196, 0
	s_and_saveexec_b32 s3, s2
	s_cbranch_execz .LBB199_102
; %bb.101:                              ;   in Loop: Header=BB199_3 Depth=1
	v_add_nc_u64_e32 v[168:169], v[116:117], v[38:39]
	v_add_nc_u64_e32 v[170:171], v[118:119], v[38:39]
	global_load_u16 v17, v[168:169], off
	global_load_u16 v172, v[170:171], off
	s_wait_loadcnt 0x0
	v_dual_lshlrev_b32 v17, 16, v17 :: v_dual_lshlrev_b32 v196, 16, v172
.LBB199_102:                            ;   in Loop: Header=BB199_3 Depth=1
	s_or_b32 exec_lo, exec_lo, s3
	s_and_saveexec_b32 s3, s2
	s_cbranch_execz .LBB199_104
; %bb.103:                              ;   in Loop: Header=BB199_3 Depth=1
	v_add_nc_u64_e32 v[168:169], v[112:113], v[38:39]
	v_add_nc_u64_e32 v[170:171], v[114:115], v[38:39]
	global_load_u16 v18, v[168:169], off
	global_load_u16 v172, v[170:171], off
	s_wait_loadcnt 0x0
	v_dual_lshlrev_b32 v18, 16, v18 :: v_dual_lshlrev_b32 v195, 16, v172
.LBB199_104:                            ;   in Loop: Header=BB199_3 Depth=1
	s_or_b32 exec_lo, exec_lo, s3
	v_dual_mov_b32 v197, 0 :: v_dual_mov_b32 v198, 0
	s_and_saveexec_b32 s3, s2
	s_cbranch_execz .LBB199_106
; %bb.105:                              ;   in Loop: Header=BB199_3 Depth=1
	v_add_nc_u64_e32 v[168:169], v[108:109], v[38:39]
	v_add_nc_u64_e32 v[170:171], v[110:111], v[38:39]
	global_load_u16 v19, v[168:169], off
	global_load_u16 v172, v[170:171], off
	s_wait_loadcnt 0x0
	v_dual_lshlrev_b32 v19, 16, v19 :: v_dual_lshlrev_b32 v198, 16, v172
.LBB199_106:                            ;   in Loop: Header=BB199_3 Depth=1
	s_or_b32 exec_lo, exec_lo, s3
	s_and_saveexec_b32 s3, s2
	s_cbranch_execz .LBB199_108
; %bb.107:                              ;   in Loop: Header=BB199_3 Depth=1
	v_add_nc_u64_e32 v[168:169], v[104:105], v[38:39]
	v_add_nc_u64_e32 v[170:171], v[106:107], v[38:39]
	global_load_u16 v20, v[168:169], off
	global_load_u16 v172, v[170:171], off
	s_wait_loadcnt 0x1
	v_lshlrev_b32_e32 v20, 16, v20
	s_wait_loadcnt 0x0
	v_lshlrev_b32_e32 v197, 16, v172
.LBB199_108:                            ;   in Loop: Header=BB199_3 Depth=1
	s_or_b32 exec_lo, exec_lo, s3
	v_dual_mov_b32 v199, 0 :: v_dual_mov_b32 v200, 0
	s_and_saveexec_b32 s3, s2
	s_cbranch_execz .LBB199_110
; %bb.109:                              ;   in Loop: Header=BB199_3 Depth=1
	v_add_nc_u64_e32 v[168:169], v[100:101], v[38:39]
	v_add_nc_u64_e32 v[170:171], v[102:103], v[38:39]
	global_load_u16 v21, v[168:169], off
	global_load_u16 v172, v[170:171], off
	s_wait_loadcnt 0x0
	v_dual_lshlrev_b32 v21, 16, v21 :: v_dual_lshlrev_b32 v200, 16, v172
.LBB199_110:                            ;   in Loop: Header=BB199_3 Depth=1
	s_or_b32 exec_lo, exec_lo, s3
	s_and_saveexec_b32 s3, s2
	s_cbranch_execz .LBB199_112
; %bb.111:                              ;   in Loop: Header=BB199_3 Depth=1
	v_add_nc_u64_e32 v[168:169], v[96:97], v[38:39]
	v_add_nc_u64_e32 v[170:171], v[98:99], v[38:39]
	global_load_u16 v22, v[168:169], off
	global_load_u16 v172, v[170:171], off
	s_wait_loadcnt 0x0
	v_dual_lshlrev_b32 v22, 16, v22 :: v_dual_lshlrev_b32 v199, 16, v172
.LBB199_112:                            ;   in Loop: Header=BB199_3 Depth=1
	s_or_b32 exec_lo, exec_lo, s3
	v_dual_mov_b32 v169, 0 :: v_dual_mov_b32 v168, 0
	s_and_saveexec_b32 s3, s2
	s_cbranch_execz .LBB199_114
; %bb.113:                              ;   in Loop: Header=BB199_3 Depth=1
	v_add_nc_u64_e32 v[170:171], v[92:93], v[38:39]
	v_add_nc_u64_e32 v[172:173], v[94:95], v[38:39]
	global_load_u16 v23, v[170:171], off
	global_load_u16 v168, v[172:173], off
	s_wait_loadcnt 0x0
	v_dual_lshlrev_b32 v23, 16, v23 :: v_dual_lshlrev_b32 v168, 16, v168
.LBB199_114:                            ;   in Loop: Header=BB199_3 Depth=1
	s_or_b32 exec_lo, exec_lo, s3
	s_and_saveexec_b32 s3, s2
	s_cbranch_execz .LBB199_116
; %bb.115:                              ;   in Loop: Header=BB199_3 Depth=1
	v_add_nc_u64_e32 v[170:171], v[88:89], v[38:39]
	v_add_nc_u64_e32 v[172:173], v[90:91], v[38:39]
	global_load_u16 v24, v[170:171], off
	global_load_u16 v169, v[172:173], off
	s_wait_loadcnt 0x0
	v_dual_lshlrev_b32 v24, 16, v24 :: v_dual_lshlrev_b32 v169, 16, v169
.LBB199_116:                            ;   in Loop: Header=BB199_3 Depth=1
	;; [unrolled: 23-line block ×6, first 2 shown]
	s_or_b32 exec_lo, exec_lo, s3
	v_dual_mov_b32 v179, 0 :: v_dual_mov_b32 v178, 0
	s_and_saveexec_b32 s3, s2
	s_cbranch_execnz .LBB199_139
; %bb.133:                              ;   in Loop: Header=BB199_3 Depth=1
	s_or_b32 exec_lo, exec_lo, s3
	s_and_saveexec_b32 s3, s2
	s_cbranch_execnz .LBB199_140
.LBB199_134:                            ;   in Loop: Header=BB199_3 Depth=1
	s_or_b32 exec_lo, exec_lo, s3
	v_mov_b32_e32 v203, 0
	s_and_saveexec_b32 s3, s2
	s_cbranch_execz .LBB199_136
.LBB199_135:                            ;   in Loop: Header=BB199_3 Depth=1
	v_add_nc_u64_e32 v[202:203], v[44:45], v[38:39]
	v_add_nc_u64_e32 v[204:205], v[46:47], v[38:39]
	global_load_u16 v35, v[202:203], off
	global_load_u16 v201, v[204:205], off
	s_wait_loadcnt 0x0
	v_dual_lshlrev_b32 v35, 16, v35 :: v_dual_lshlrev_b32 v203, 16, v201
.LBB199_136:                            ;   in Loop: Header=BB199_3 Depth=1
	s_or_b32 exec_lo, exec_lo, s3
	s_wait_loadcnt 0x0
	ds_bpermute_b32 v201, v2, v180
	ds_bpermute_b32 v202, v2, v180 offset:4
	ds_bpermute_b32 v204, v2, v180 offset:8
	v_dual_mul_f32 v4, v181, v4 :: v_dual_mul_f32 v5, v184, v5
	ds_bpermute_b32 v181, v2, v180 offset:12
	ds_bpermute_b32 v184, v2, v180 offset:16
	v_mul_f32_e32 v3, v3, v6
	ds_bpermute_b32 v6, v2, v180 offset:24
	s_wait_dscnt 0x5
	v_fmac_f32_e32 v183, v4, v201
	ds_bpermute_b32 v4, v2, v180 offset:20
	s_wait_dscnt 0x5
	v_dual_fmac_f32 v183, v5, v202 :: v_dual_mul_f32 v5, v186, v7
	ds_bpermute_b32 v7, v2, v180 offset:28
	s_wait_dscnt 0x5
	v_fmac_f32_e32 v183, v3, v204
	v_mul_f32_e32 v3, v185, v8
	ds_bpermute_b32 v8, v2, v180 offset:32
	s_wait_dscnt 0x5
	v_fmac_f32_e32 v183, v5, v181
	v_mul_f32_e32 v5, v188, v9
	;; [unrolled: 4-line block ×3, first 2 shown]
	ds_bpermute_b32 v10, v2, v180 offset:60
	s_wait_dscnt 0x4
	v_dual_fmac_f32 v183, v5, v4 :: v_dual_mul_f32 v4, v190, v11
	ds_bpermute_b32 v5, v2, v180 offset:40
	ds_bpermute_b32 v11, v2, v180 offset:64
	v_dual_fmac_f32 v183, v3, v6 :: v_dual_mul_f32 v3, v189, v12
	ds_bpermute_b32 v6, v2, v180 offset:44
	ds_bpermute_b32 v12, v2, v180 offset:68
	s_wait_dscnt 0x7
	v_fmac_f32_e32 v183, v4, v7
	v_mul_f32_e32 v4, v192, v13
	ds_bpermute_b32 v7, v2, v180 offset:48
	s_wait_dscnt 0x7
	v_fmac_f32_e32 v183, v3, v8
	v_mul_f32_e32 v3, v191, v14
	ds_bpermute_b32 v8, v2, v180 offset:52
	ds_bpermute_b32 v14, v2, v180 offset:72
	s_wait_dscnt 0x8
	v_dual_fmac_f32 v183, v4, v9 :: v_dual_mul_f32 v4, v194, v15
	ds_bpermute_b32 v9, v2, v180 offset:56
	ds_bpermute_b32 v15, v2, v180 offset:104
	s_wait_dscnt 0x8
	v_dual_fmac_f32 v183, v3, v5 :: v_dual_mul_f32 v3, v193, v16
	ds_bpermute_b32 v5, v2, v180 offset:80
	s_wait_dscnt 0x7
	v_fmac_f32_e32 v183, v4, v6
	v_dual_mul_f32 v4, v196, v17 :: v_dual_mul_f32 v6, v198, v19
	s_wait_dscnt 0x5
	s_delay_alu instid0(VALU_DEP_2) | instskip(SKIP_2) | instid1(VALU_DEP_2)
	v_fmac_f32_e32 v183, v3, v7
	v_dual_mul_f32 v3, v195, v18 :: v_dual_mov_b32 v7, v24
	s_wait_dscnt 0x4
	v_fmac_f32_e32 v183, v4, v8
	ds_bpermute_b32 v4, v2, v180 offset:76
	ds_bpermute_b32 v8, v2, v180 offset:84
	s_wait_dscnt 0x4
	v_dual_fmac_f32 v183, v3, v9 :: v_dual_mul_f32 v3, v197, v20
	v_mul_f32_e32 v13, v200, v21
	ds_bpermute_b32 v9, v2, v180 offset:88
	v_dual_fmac_f32 v183, v6, v10 :: v_dual_mov_b32 v6, v23
	s_delay_alu instid0(VALU_DEP_1) | instskip(SKIP_1) | instid1(VALU_DEP_3)
	v_dual_mov_b32 v10, v25 :: v_dual_fmac_f32 v183, v3, v11
	v_mul_f32_e32 v3, v199, v22
	v_pk_mul_f32 v[6:7], v[168:169], v[6:7]
	s_delay_alu instid0(VALU_DEP_3)
	v_dual_fmac_f32 v183, v13, v12 :: v_dual_mov_b32 v11, v26
	ds_bpermute_b32 v12, v2, v180 offset:92
	ds_bpermute_b32 v13, v2, v180 offset:96
	s_wait_dscnt 0x4
	v_pk_mul_f32 v[4:5], v[6:7], v[4:5]
	v_fmac_f32_e32 v183, v3, v14
	v_pk_mul_f32 v[10:11], v[170:171], v[10:11]
	v_dual_mov_b32 v6, v27 :: v_dual_mov_b32 v7, v28
	ds_bpermute_b32 v14, v2, v180 offset:100
	v_dual_add_f32 v3, v183, v4 :: v_dual_mov_b32 v4, v29
	s_wait_dscnt 0x3
	v_pk_mul_f32 v[8:9], v[10:11], v[8:9]
	ds_bpermute_b32 v10, v2, v180 offset:108
	ds_bpermute_b32 v11, v2, v180 offset:112
	v_dual_add_f32 v3, v3, v5 :: v_dual_mov_b32 v5, v30
	v_pk_mul_f32 v[6:7], v[172:173], v[6:7]
	s_delay_alu instid0(VALU_DEP_2) | instskip(SKIP_1) | instid1(VALU_DEP_4)
	v_add_f32_e32 v3, v3, v8
	v_mov_b32_e32 v8, v31
	v_pk_mul_f32 v[4:5], v[174:175], v[4:5]
	s_wait_dscnt 0x3
	v_pk_mul_f32 v[6:7], v[6:7], v[12:13]
	v_dual_add_f32 v3, v3, v9 :: v_dual_mov_b32 v9, v32
	s_wait_dscnt 0x2
	v_pk_mul_f32 v[4:5], v[4:5], v[14:15]
	s_delay_alu instid0(VALU_DEP_2) | instskip(NEXT) | instid1(VALU_DEP_3)
	v_add_f32_e32 v3, v3, v6
	v_pk_mul_f32 v[8:9], v[176:177], v[8:9]
	ds_bpermute_b32 v6, v2, v180 offset:116
	s_wait_dscnt 0x1
	v_pk_mul_f32 v[8:9], v[8:9], v[10:11]
	v_add_f32_e32 v3, v3, v7
	ds_bpermute_b32 v7, v2, v180 offset:120
	v_dual_add_f32 v3, v3, v4 :: v_dual_mov_b32 v4, v33
	s_delay_alu instid0(VALU_DEP_1) | instskip(SKIP_3) | instid1(VALU_DEP_2)
	v_dual_add_f32 v10, v3, v5 :: v_dual_mov_b32 v5, v34
	ds_bpermute_b32 v3, v2, v180 offset:124
	v_add_f32_e32 v8, v10, v8
	v_pk_mul_f32 v[4:5], v[178:179], v[4:5]
	v_add_f32_e32 v8, v8, v9
	s_wait_dscnt 0x1
	s_delay_alu instid0(VALU_DEP_2) | instskip(NEXT) | instid1(VALU_DEP_1)
	v_pk_mul_f32 v[4:5], v[4:5], v[6:7]
	v_add_f32_e32 v4, v8, v4
	s_set_vgpr_msb 64                       ;  msbs: dst=1 src0=0 src1=0 src2=0
	s_delay_alu instid0(VALU_DEP_1)
	v_add_f32_e32 v38 /*v294*/, v4, v5
.LBB199_137:                            ;   in Loop: Header=BB199_3 Depth=1
	s_add_nc_u64 s[28:29], s[28:29], s[22:23]
	s_set_vgpr_msb 0                        ;  msbs: dst=0 src0=0 src1=0 src2=0
	v_mul_f32_e32 v4, v203, v35
	v_cmp_lt_i64_e64 s3, s[28:29], s[4:5]
	v_add_nc_u64_e32 v[40:41], s[24:25], v[40:41]
	v_add_nc_u64_e32 v[42:43], s[24:25], v[42:43]
	;; [unrolled: 1-line block ×65, first 2 shown]
	s_wait_dscnt 0x0
	s_set_vgpr_msb 64                       ;  msbs: dst=1 src0=0 src1=0 src2=0
	v_fmac_f32_e32 v38 /*v294*/, v4, v3
	s_and_b32 vcc_lo, exec_lo, s3
	s_add_nc_u64 s[26:27], s[26:27], s[22:23]
	s_set_vgpr_msb 0                        ;  msbs: dst=0 src0=0 src1=0 src2=0
	s_cbranch_vccz .LBB199_142
; %bb.138:                              ;   in Loop: Header=BB199_3 Depth=1
	s_set_vgpr_msb 1                        ;  msbs: dst=0 src0=1 src1=0 src2=0
	v_mov_b32_e32 v183, v38 /*v294*/
	s_set_vgpr_msb 0                        ;  msbs: dst=0 src0=0 src1=0 src2=0
	s_branch .LBB199_3
.LBB199_139:                            ;   in Loop: Header=BB199_3 Depth=1
	v_add_nc_u64_e32 v[202:203], v[52:53], v[38:39]
	v_add_nc_u64_e32 v[204:205], v[54:55], v[38:39]
	global_load_u16 v33, v[202:203], off
	global_load_u16 v178, v[204:205], off
	s_wait_loadcnt 0x0
	v_dual_lshlrev_b32 v33, 16, v33 :: v_dual_lshlrev_b32 v178, 16, v178
	s_or_b32 exec_lo, exec_lo, s3
	s_and_saveexec_b32 s3, s2
	s_cbranch_execz .LBB199_134
.LBB199_140:                            ;   in Loop: Header=BB199_3 Depth=1
	v_add_nc_u64_e32 v[202:203], v[48:49], v[38:39]
	v_add_nc_u64_e32 v[204:205], v[50:51], v[38:39]
	global_load_u16 v34, v[202:203], off
	global_load_u16 v179, v[204:205], off
	s_wait_loadcnt 0x0
	v_dual_lshlrev_b32 v34, 16, v34 :: v_dual_lshlrev_b32 v179, 16, v179
	s_or_b32 exec_lo, exec_lo, s3
	v_mov_b32_e32 v203, 0
	s_and_saveexec_b32 s3, s2
	s_cbranch_execnz .LBB199_135
	s_branch .LBB199_136
.LBB199_141:
                                        ; implicit-def: $vgpr294
	s_load_b64 s[2:3], s[0:1], 0x30
	s_branch .LBB199_143
.LBB199_142:
	s_load_b64 s[2:3], s[0:1], 0x30
	s_cbranch_execnz .LBB199_219
.LBB199_143:
	s_set_vgpr_msb 64                       ;  msbs: dst=1 src0=0 src1=0 src2=0
	v_mov_b32_e32 v38 /*v294*/, 0
	s_and_not1_b32 vcc_lo, exec_lo, s31
	s_set_vgpr_msb 0                        ;  msbs: dst=0 src0=0 src1=0 src2=0
	s_cbranch_vccnz .LBB199_219
; %bb.144:
	v_bfe_u32 v1, v0, 10, 10
	v_mov_b32_e32 v2, 0
	s_set_vgpr_msb 64                       ;  msbs: dst=1 src0=0 src1=0 src2=0
	v_and_b32_e32 v50 /*v306*/, 0x3ff, v0
	s_load_b32 s18, s[0:1], 0x44
	s_mov_b32 s19, 0
	s_set_vgpr_msb 0                        ;  msbs: dst=0 src0=0 src1=0 src2=0
	v_dual_mov_b32 v5, v2 :: v_dual_lshlrev_b32 v4, 6, v1
	v_dual_mov_b32 v145, v2 :: v_dual_lshlrev_b32 v144, 5, v1
	s_mov_b32 s21, s19
	s_set_vgpr_msb 64                       ;  msbs: dst=1 src0=0 src1=0 src2=0
	v_mov_b32_e32 v51 /*v307*/, 0
	s_set_vgpr_msb 0                        ;  msbs: dst=0 src0=0 src1=0 src2=0
	v_lshl_add_u64 v[4:5], s[16:17], 1, v[4:5]
	s_add_nc_u64 s[22:23], s[0:1], 64
	s_mov_b64 s[24:25], s[16:17]
	s_delay_alu instid0(VALU_DEP_1)
	v_add_nc_u64_e32 v[6:7], 2, v[4:5]
	v_add_nc_u64_e32 v[8:9], 4, v[4:5]
	;; [unrolled: 1-line block ×7, first 2 shown]
	v_mad_nc_u64_u32 v[36:37], s6, v6, s[8:9]
	v_mul_lo_u32 v3, s6, v7
	v_mul_lo_u32 v7, s7, v6
	v_mad_nc_u64_u32 v[38:39], s6, v6, s[10:11]
	v_mad_nc_u64_u32 v[40:41], s6, v8, s[8:9]
	v_mul_lo_u32 v6, s6, v9
	v_mul_lo_u32 v9, s7, v8
	v_mad_nc_u64_u32 v[44:45], s6, v8, s[10:11]
	;; [unrolled: 4-line block ×4, first 2 shown]
	v_mad_nc_u64_u32 v[52:53], s6, v14, s[8:9]
	v_mul_lo_u32 v12, s6, v15
	v_add3_u32 v37, v7, v37, v3
	v_add3_u32 v39, v7, v39, v3
	v_mul_lo_u32 v3, s7, v14
	v_mad_nc_u64_u32 v[54:55], s6, v14, s[10:11]
	v_add3_u32 v41, v9, v41, v6
	v_add3_u32 v45, v9, v45, v6
	v_add_nc_u64_e32 v[6:7], 16, v[4:5]
	v_mul_lo_u32 v14, s7, v16
	v_mad_nc_u64_u32 v[56:57], s6, v16, s[8:9]
	v_mad_nc_u64_u32 v[58:59], s6, v16, s[10:11]
	v_mul_lo_u32 v15, s6, v19
	v_mul_lo_u32 v16, s7, v18
	v_mad_nc_u64_u32 v[60:61], s6, v18, s[8:9]
	v_mad_nc_u64_u32 v[62:63], s6, v18, s[10:11]
	v_add3_u32 v43, v11, v43, v8
	v_add3_u32 v47, v11, v47, v8
	;; [unrolled: 1-line block ×6, first 2 shown]
	v_mul_lo_u32 v3, s6, v7
	v_mul_lo_u32 v12, s7, v6
	v_mad_nc_u64_u32 v[64:65], s6, v6, s[8:9]
	v_add_nc_u64_e32 v[10:11], 20, v[4:5]
	v_mad_nc_u64_u32 v[66:67], s6, v6, s[10:11]
	v_add_nc_u64_e32 v[6:7], 22, v[4:5]
	v_mul_lo_u32 v9, s6, v17
	v_add3_u32 v61, v16, v61, v15
	v_add3_u32 v63, v16, v63, v15
	s_wait_kmcnt 0x0
	s_lshl_b32 s20, s18, 5
	v_mul_lo_u32 v11, s6, v11
	v_mul_lo_u32 v15, s7, v10
	v_mad_nc_u64_u32 v[72:73], s6, v10, s[8:9]
	v_mad_nc_u64_u32 v[74:75], s6, v10, s[10:11]
	v_mul_lo_u32 v10, s6, v7
	v_mul_lo_u32 v16, s7, v6
	v_mad_nc_u64_u32 v[76:77], s6, v6, s[8:9]
	v_mad_nc_u64_u32 v[78:79], s6, v6, s[10:11]
	v_add_nc_u64_e32 v[6:7], 26, v[4:5]
	v_add3_u32 v57, v14, v57, v9
	v_add3_u32 v59, v14, v59, v9
	v_add_nc_u64_e32 v[8:9], 18, v[4:5]
	v_add3_u32 v65, v12, v65, v3
	v_add3_u32 v67, v12, v67, v3
	v_add3_u32 v73, v15, v73, v11
	v_add3_u32 v75, v15, v75, v11
	v_mul_lo_u32 v3, s6, v7
	v_add3_u32 v77, v16, v77, v10
	v_add3_u32 v79, v16, v79, v10
	v_mul_lo_u32 v12, s7, v6
	v_mad_nc_u64_u32 v[84:85], s6, v6, s[8:9]
	v_add_nc_u64_e32 v[10:11], 30, v[4:5]
	v_mad_nc_u64_u32 v[86:87], s6, v6, s[10:11]
	v_add_nc_u64_e32 v[6:7], 32, v[4:5]
	v_mul_lo_u32 v13, s6, v9
	v_mul_lo_u32 v14, s7, v8
	v_mad_nc_u64_u32 v[68:69], s6, v8, s[8:9]
	v_mad_nc_u64_u32 v[70:71], s6, v8, s[10:11]
	v_add_nc_u64_e32 v[8:9], 24, v[4:5]
	v_mul_lo_u32 v11, s6, v11
	v_mul_lo_u32 v15, s7, v10
	v_mad_nc_u64_u32 v[92:93], s6, v10, s[8:9]
	v_mad_nc_u64_u32 v[94:95], s6, v10, s[10:11]
	v_mul_lo_u32 v10, s6, v7
	v_mul_lo_u32 v16, s7, v6
	v_mad_nc_u64_u32 v[96:97], s6, v6, s[8:9]
	v_mad_nc_u64_u32 v[98:99], s6, v6, s[10:11]
	v_add_nc_u64_e32 v[6:7], 36, v[4:5]
	v_mul_lo_u32 v17, s6, v9
	v_mul_lo_u32 v18, s7, v8
	v_mad_nc_u64_u32 v[80:81], s6, v8, s[8:9]
	v_mad_nc_u64_u32 v[82:83], s6, v8, s[10:11]
	v_add_nc_u64_e32 v[8:9], 28, v[4:5]
	v_add3_u32 v85, v12, v85, v3
	v_add3_u32 v87, v12, v87, v3
	;; [unrolled: 1-line block ×6, first 2 shown]
	v_mul_lo_u32 v3, s6, v7
	v_mul_lo_u32 v12, s7, v6
	v_mad_nc_u64_u32 v[104:105], s6, v6, s[8:9]
	v_add_nc_u64_e32 v[10:11], 40, v[4:5]
	v_mad_nc_u64_u32 v[106:107], s6, v6, s[10:11]
	v_add_nc_u64_e32 v[6:7], 42, v[4:5]
	v_add3_u32 v69, v14, v69, v13
	v_add3_u32 v71, v14, v71, v13
	v_mul_lo_u32 v13, s6, v9
	v_mul_lo_u32 v14, s7, v8
	v_mad_nc_u64_u32 v[88:89], s6, v8, s[8:9]
	v_mad_nc_u64_u32 v[90:91], s6, v8, s[10:11]
	v_add_nc_u64_e32 v[8:9], 34, v[4:5]
	v_mul_lo_u32 v11, s6, v11
	v_mul_lo_u32 v15, s7, v10
	v_mad_nc_u64_u32 v[112:113], s6, v10, s[8:9]
	v_mad_nc_u64_u32 v[114:115], s6, v10, s[10:11]
	v_mul_lo_u32 v10, s6, v7
	v_mul_lo_u32 v16, s7, v6
	v_mad_nc_u64_u32 v[116:117], s6, v6, s[8:9]
	v_mad_nc_u64_u32 v[118:119], s6, v6, s[10:11]
	v_add3_u32 v81, v18, v81, v17
	v_add3_u32 v83, v18, v83, v17
	v_mul_lo_u32 v17, s6, v9
	v_mul_lo_u32 v18, s7, v8
	v_mad_nc_u64_u32 v[100:101], s6, v8, s[8:9]
	v_mad_nc_u64_u32 v[102:103], s6, v8, s[10:11]
	v_add_nc_u64_e32 v[8:9], 38, v[4:5]
	v_add_nc_u64_e32 v[6:7], 46, v[4:5]
	v_add3_u32 v89, v14, v89, v13
	v_add3_u32 v91, v14, v91, v13
	;; [unrolled: 1-line block ×5, first 2 shown]
	v_mul_lo_u32 v13, s6, v9
	v_mul_lo_u32 v14, s7, v8
	v_mad_nc_u64_u32 v[108:109], s6, v8, s[8:9]
	v_mad_nc_u64_u32 v[110:111], s6, v8, s[10:11]
	v_add_nc_u64_e32 v[8:9], 44, v[4:5]
	v_add3_u32 v115, v15, v115, v11
	v_add3_u32 v117, v16, v117, v10
	;; [unrolled: 1-line block ×3, first 2 shown]
	v_mul_lo_u32 v3, s6, v7
	v_mul_lo_u32 v12, s7, v6
	v_mad_nc_u64_u32 v[124:125], s6, v6, s[8:9]
	v_add_nc_u64_e32 v[10:11], 50, v[4:5]
	v_mad_nc_u64_u32 v[126:127], s6, v6, s[10:11]
	v_add_nc_u64_e32 v[6:7], 52, v[4:5]
	v_add3_u32 v101, v18, v101, v17
	v_add3_u32 v103, v18, v103, v17
	v_mul_lo_u32 v17, s6, v9
	v_mul_lo_u32 v18, s7, v8
	v_mad_nc_u64_u32 v[120:121], s6, v8, s[8:9]
	v_mad_nc_u64_u32 v[122:123], s6, v8, s[10:11]
	v_add_nc_u64_e32 v[8:9], 48, v[4:5]
	v_mul_lo_u32 v11, s6, v11
	v_mul_lo_u32 v15, s7, v10
	v_mad_nc_u64_u32 v[132:133], s6, v10, s[8:9]
	v_mad_nc_u64_u32 v[134:135], s6, v10, s[10:11]
	v_mul_lo_u32 v10, s6, v7
	v_mul_lo_u32 v16, s7, v6
	v_mad_nc_u64_u32 v[136:137], s6, v6, s[8:9]
	v_mad_nc_u64_u32 v[138:139], s6, v6, s[10:11]
	v_add3_u32 v109, v14, v109, v13
	v_add3_u32 v111, v14, v111, v13
	v_mul_lo_u32 v13, s6, v9
	v_mul_lo_u32 v14, s7, v8
	v_mad_nc_u64_u32 v[128:129], s6, v8, s[8:9]
	v_mad_nc_u64_u32 v[130:131], s6, v8, s[10:11]
	v_add_nc_u64_e32 v[8:9], 54, v[4:5]
	v_add3_u32 v121, v18, v121, v17
	v_add3_u32 v123, v18, v123, v17
	;; [unrolled: 1-line block ×6, first 2 shown]
	v_mul_lo_u32 v9, s6, v9
	v_mul_lo_u32 v17, s7, v8
	v_mad_nc_u64_u32 v[140:141], s6, v8, s[8:9]
	v_mad_nc_u64_u32 v[142:143], s6, v8, s[10:11]
	v_add_nc_u64_e32 v[10:11], s[16:17], v[144:145]
	v_add3_u32 v129, v14, v129, v13
	v_add3_u32 v131, v14, v131, v13
	v_add_nc_u64_e32 v[6:7], 56, v[4:5]
	v_add3_u32 v125, v12, v125, v3
	v_add3_u32 v127, v12, v127, v3
	v_add_nc_u64_e32 v[12:13], 60, v[4:5]
	v_mul_u64_e32 v[14:15], s[6:7], v[10:11]
	v_add_nc_u64_e32 v[26:27], 23, v[10:11]
	v_add3_u32 v141, v17, v141, v9
	v_add3_u32 v143, v17, v143, v9
	v_add_nc_u64_e32 v[8:9], 58, v[4:5]
	v_mul_lo_u32 v3, s6, v7
	v_mul_lo_u32 v18, s7, v6
	v_mad_nc_u64_u32 v[146:147], s6, v6, s[8:9]
	v_mad_nc_u64_u32 v[148:149], s6, v6, s[10:11]
	v_add_nc_u64_e32 v[6:7], 31, v[10:11]
	v_add_nc_u64_e32 v[4:5], 62, v[4:5]
	v_mul_lo_u32 v19, s6, v9
	v_mul_lo_u32 v20, s7, v8
	v_mad_nc_u64_u32 v[150:151], s6, v8, s[8:9]
	v_mad_nc_u64_u32 v[152:153], s6, v8, s[10:11]
	v_add_nc_u64_e32 v[8:9], 30, v[10:11]
	v_mul_lo_u32 v21, s6, v13
	v_mul_lo_u32 v22, s7, v12
	v_mad_nc_u64_u32 v[154:155], s6, v12, s[8:9]
	v_mad_nc_u64_u32 v[156:157], s6, v12, s[10:11]
	v_add_nc_u64_e32 v[12:13], 29, v[10:11]
	v_add_nc_u64_e32 v[16:17], 28, v[10:11]
	v_mul_u64_e32 v[6:7], s[6:7], v[6:7]
	v_mul_u64_e32 v[8:9], s[6:7], v[8:9]
	v_mul_lo_u32 v23, s6, v5
	v_mul_lo_u32 v24, s7, v4
	v_mad_nc_u64_u32 v[158:159], s6, v4, s[8:9]
	v_mad_nc_u64_u32 v[160:161], s6, v4, s[10:11]
	v_mul_u64_e32 v[4:5], s[6:7], v[12:13]
	v_mul_u64_e32 v[12:13], s[6:7], v[16:17]
	s_set_vgpr_msb 4                        ;  msbs: dst=0 src0=0 src1=1 src2=0
	v_dual_mov_b32 v17, v2 :: v_dual_add_nc_u32 v16, s13, v50 /*v306*/
	s_set_vgpr_msb 0                        ;  msbs: dst=0 src0=0 src1=0 src2=0
	v_add3_u32 v151, v20, v151, v19
	v_add3_u32 v153, v20, v153, v19
	;; [unrolled: 1-line block ×4, first 2 shown]
	v_lshlrev_b64_e32 v[162:163], 1, v[16:17]
	v_add_nc_u64_e32 v[16:17], 26, v[10:11]
	v_add3_u32 v159, v24, v159, v23
	v_add3_u32 v161, v24, v161, v23
	v_add_nc_u64_e32 v[20:21], 25, v[10:11]
	v_lshlrev_b64_e32 v[22:23], 1, v[14:15]
	v_add3_u32 v147, v18, v147, v3
	v_add3_u32 v149, v18, v149, v3
	v_mul_u64_e32 v[16:17], s[6:7], v[16:17]
	v_add_nc_u64_e32 v[18:19], 27, v[10:11]
	v_mul_u64_e32 v[26:27], s[6:7], v[26:27]
	v_mul_u64_e32 v[20:21], s[6:7], v[20:21]
	v_add_nc_u64_e32 v[164:165], s[8:9], v[22:23]
	v_add_nc_u64_e32 v[166:167], s[10:11], v[22:23]
	;; [unrolled: 1-line block ×4, first 2 shown]
	v_mul_u64_e32 v[18:19], s[6:7], v[18:19]
	v_add_nc_u64_e32 v[30:31], 20, v[10:11]
	v_lshlrev_b64_e32 v[6:7], 1, v[6:7]
	v_lshlrev_b64_e32 v[8:9], 1, v[8:9]
	v_add_nc_u64_e32 v[32:33], 19, v[10:11]
	v_mul_u64_e32 v[22:23], s[6:7], v[22:23]
	v_mul_u64_e32 v[24:25], s[6:7], v[24:25]
	v_add_nc_u64_e32 v[28:29], 21, v[10:11]
	v_add_nc_u64_e32 v[34:35], 18, v[10:11]
	;; [unrolled: 1-line block ×4, first 2 shown]
	v_mul_u64_e32 v[6:7], s[6:7], v[30:31]
	v_add_nc_u64_e32 v[172:173], s[8:9], v[8:9]
	v_add_nc_u64_e32 v[174:175], s[10:11], v[8:9]
	v_mul_u64_e32 v[8:9], s[6:7], v[32:33]
	v_lshlrev_b64_e32 v[12:13], 1, v[12:13]
	v_lshlrev_b64_e32 v[4:5], 1, v[4:5]
	v_mul_u64_e32 v[28:29], s[6:7], v[28:29]
	v_add_nc_u64_e32 v[30:31], 17, v[10:11]
	v_mul_u64_e32 v[32:33], s[6:7], v[34:35]
	v_add_nc_u64_e32 v[34:35], 15, v[10:11]
	v_add_nc_u64_e32 v[180:181], s[8:9], v[12:13]
	;; [unrolled: 1-line block ×3, first 2 shown]
	v_lshlrev_b64_e32 v[12:13], 1, v[16:17]
	v_add_nc_u64_e32 v[176:177], s[8:9], v[4:5]
	v_add_nc_u64_e32 v[178:179], s[10:11], v[4:5]
	v_mul_u64_e32 v[4:5], s[6:7], v[30:31]
	v_add_nc_u64_e32 v[30:31], 16, v[10:11]
	v_lshlrev_b64_e32 v[16:17], 1, v[20:21]
	v_add_nc_u64_e32 v[188:189], s[8:9], v[12:13]
	v_add_nc_u64_e32 v[190:191], s[10:11], v[12:13]
	v_lshlrev_b64_e32 v[12:13], 1, v[26:27]
	v_lshlrev_b64_e32 v[18:19], 1, v[18:19]
	v_mul_u64_e32 v[20:21], s[6:7], v[30:31]
	v_add_nc_u64_e32 v[192:193], s[8:9], v[16:17]
	v_add_nc_u64_e32 v[194:195], s[10:11], v[16:17]
	v_lshlrev_b64_e32 v[16:17], 1, v[22:23]
	v_add_nc_u64_e32 v[22:23], 13, v[10:11]
	v_add_nc_u64_e32 v[200:201], s[8:9], v[12:13]
	;; [unrolled: 1-line block ×6, first 2 shown]
	v_lshlrev_b64_e32 v[18:19], 1, v[24:25]
	v_mul_u64_e32 v[22:23], s[6:7], v[22:23]
	v_lshlrev_b64_e32 v[6:7], 1, v[6:7]
	v_lshlrev_b64_e32 v[8:9], 1, v[8:9]
	v_mul_u64_e32 v[12:13], s[6:7], v[12:13]
	v_add_nc_u64_e32 v[24:25], 11, v[10:11]
	v_add_nc_u64_e32 v[204:205], s[8:9], v[16:17]
	;; [unrolled: 1-line block ×4, first 2 shown]
	v_lshlrev_b64_e32 v[18:19], 1, v[28:29]
	v_add_nc_u64_e32 v[206:207], s[10:11], v[16:17]
	v_lshlrev_b64_e32 v[16:17], 1, v[32:33]
	v_add_nc_u64_e32 v[212:213], s[8:9], v[6:7]
	v_add_nc_u64_e32 v[214:215], s[10:11], v[6:7]
	;; [unrolled: 1-line block ×4, first 2 shown]
	v_mul_u64_e32 v[24:25], s[6:7], v[24:25]
	v_add_nc_u64_e32 v[26:27], 9, v[10:11]
	v_add_nc_u64_e32 v[28:29], 8, v[10:11]
	;; [unrolled: 1-line block ×4, first 2 shown]
	v_lshlrev_b64_e32 v[4:5], 1, v[4:5]
	v_mul_u64_e32 v[6:7], s[6:7], v[6:7]
	v_add_nc_u64_e32 v[220:221], s[8:9], v[16:17]
	v_add_nc_u64_e32 v[222:223], s[10:11], v[16:17]
	v_mul_u64_e32 v[16:17], s[6:7], v[26:27]
	v_mul_u64_e32 v[26:27], s[6:7], v[28:29]
	v_add_nc_u64_e32 v[28:29], 6, v[10:11]
	v_mul_u64_e32 v[8:9], s[6:7], v[8:9]
	v_add_nc_u64_e32 v[32:33], 5, v[10:11]
	;; [unrolled: 2-line block ×3, first 2 shown]
	v_add_nc_u64_e32 v[210:211], s[10:11], v[18:19]
	v_add_nc_u64_e32 v[18:19], 12, v[10:11]
	;; [unrolled: 1-line block ×5, first 2 shown]
	v_lshlrev_b64_e32 v[20:21], 1, v[20:21]
	v_mul_u64_e32 v[28:29], s[6:7], v[28:29]
	v_mul_u64_e32 v[32:33], s[6:7], v[32:33]
	v_add_nc_u64_e32 v[34:35], 3, v[10:11]
	v_add_nc_u64_e32 v[10:11], 2, v[10:11]
	v_mul_u64_e32 v[18:19], s[6:7], v[18:19]
	v_mul_u64_e32 v[4:5], s[6:7], v[4:5]
	v_add_nc_u64_e32 v[228:229], s[8:9], v[20:21]
	v_add_nc_u64_e32 v[230:231], s[10:11], v[20:21]
	v_lshlrev_b64_e32 v[20:21], 1, v[22:23]
	v_mul_u64_e32 v[22:23], s[6:7], v[34:35]
	v_mul_u64_e32 v[10:11], s[6:7], v[10:11]
	v_lshlrev_b64_e32 v[12:13], 1, v[12:13]
	s_delay_alu instid0(VALU_DEP_4) | instskip(SKIP_2) | instid1(VALU_DEP_4)
	v_add_nc_u64_e32 v[240:241], s[8:9], v[20:21]
	v_lshlrev_b64_e32 v[6:7], 1, v[6:7]
	v_add_nc_u64_e32 v[242:243], s[10:11], v[20:21]
	v_add_nc_u64_e32 v[236:237], s[8:9], v[12:13]
	;; [unrolled: 1-line block ×3, first 2 shown]
	v_lshlrev_b64_e32 v[12:13], 1, v[24:25]
	v_lshlrev_b64_e32 v[16:17], 1, v[16:17]
	;; [unrolled: 1-line block ×3, first 2 shown]
	v_add_nc_u64_e32 v[252:253], s[8:9], v[6:7]
	v_add_nc_u64_e32 v[254:255], s[10:11], v[6:7]
	v_lshlrev_b64_e32 v[30:31], 1, v[30:31]
	v_add_nc_u64_e32 v[248:249], s[8:9], v[12:13]
	v_add_nc_u64_e32 v[250:251], s[10:11], v[12:13]
	v_lshlrev_b64_e32 v[12:13], 1, v[26:27]
	s_set_vgpr_msb 64                       ;  msbs: dst=1 src0=0 src1=0 src2=0
	v_add_nc_u64_e32 v[8:9] /*v[264:265]*/, s[8:9], v[8:9]
	v_add_nc_u64_e32 v[10:11] /*v[266:267]*/, s[10:11], v[8:9]
	s_set_vgpr_msb 0                        ;  msbs: dst=0 src0=0 src1=0 src2=0
	v_lshlrev_b64_e32 v[6:7], 1, v[28:29]
	v_lshlrev_b64_e32 v[8:9], 1, v[32:33]
	v_add_nc_u64_e32 v[232:233], s[8:9], v[30:31]
	v_add_nc_u64_e32 v[234:235], s[10:11], v[30:31]
	s_set_vgpr_msb 64                       ;  msbs: dst=1 src0=0 src1=0 src2=0
	v_add_nc_u64_e32 v[4:5] /*v[260:261]*/, s[8:9], v[12:13]
	v_add_nc_u64_e32 v[6:7] /*v[262:263]*/, s[10:11], v[12:13]
	s_set_vgpr_msb 0                        ;  msbs: dst=0 src0=0 src1=0 src2=0
	v_add_nc_u64_e32 v[12:13], s[6:7], v[14:15]
	v_lshlrev_b64_e32 v[18:19], 1, v[18:19]
	v_lshlrev_b64_e32 v[4:5], 1, v[4:5]
	s_set_vgpr_msb 64                       ;  msbs: dst=1 src0=0 src1=0 src2=0
	v_add_nc_u64_e32 v[12:13] /*v[268:269]*/, s[8:9], v[6:7]
	v_add_nc_u64_e32 v[14:15] /*v[270:271]*/, s[10:11], v[6:7]
	s_set_vgpr_msb 0                        ;  msbs: dst=0 src0=0 src1=0 src2=0
	v_lshlrev_b64_e32 v[6:7], 1, v[22:23]
	v_lshlrev_b64_e32 v[10:11], 1, v[10:11]
	s_set_vgpr_msb 64                       ;  msbs: dst=1 src0=0 src1=0 src2=0
	v_add_nc_u64_e32 v[16:17] /*v[272:273]*/, s[8:9], v[8:9]
	v_add_nc_u64_e32 v[18:19] /*v[274:275]*/, s[10:11], v[8:9]
	s_set_vgpr_msb 0                        ;  msbs: dst=0 src0=0 src1=0 src2=0
	v_lshlrev_b64_e32 v[8:9], 1, v[12:13]
	v_add_nc_u64_e32 v[244:245], s[8:9], v[18:19]
	v_add_nc_u64_e32 v[246:247], s[10:11], v[18:19]
	s_set_vgpr_msb 64                       ;  msbs: dst=1 src0=0 src1=0 src2=0
	v_add_nc_u64_e32 v[0:1] /*v[256:257]*/, s[8:9], v[16:17]
	v_add_nc_u64_e32 v[2:3] /*v[258:259]*/, s[10:11], v[16:17]
	;; [unrolled: 1-line block ×10, first 2 shown]
	s_mul_u64 s[8:9], s[6:7], s[20:21]
	s_mov_b64 s[10:11], 31
	s_lshl_b64 s[8:9], s[8:9], 1
.LBB199_145:                            ; =>This Inner Loop Header: Depth=1
	s_add_nc_u64 s[26:27], s[16:17], s[10:11]
	s_set_vgpr_msb 64                       ;  msbs: dst=1 src0=0 src1=0 src2=0
	v_add_nc_u64_e32 v[36:37] /*v[292:293]*/, s[16:17], v[144:145]
	v_cmp_ge_i64_e64 s13, s[26:27], s[4:5]
                                        ; implicit-def: $vgpr294
	s_and_b32 vcc_lo, exec_lo, s13
	s_mov_b32 s13, -1
	s_set_vgpr_msb 0                        ;  msbs: dst=0 src0=0 src1=0 src2=0
	s_cbranch_vccz .LBB199_213
; %bb.146:                              ;   in Loop: Header=BB199_145 Depth=1
	s_load_b32 s13, s[22:23], 0xc
	s_set_vgpr_msb 64                       ;  msbs: dst=1 src0=0 src1=0 src2=0
	v_dual_mov_b32 v53 /*v309*/, 0 :: v_dual_mov_b32 v52 /*v308*/, 0
	s_set_vgpr_msb 16                       ;  msbs: dst=0 src0=0 src1=0 src2=1
	v_mov_b32_e32 v5, v2
	s_wait_kmcnt 0x0
	s_and_b32 s13, s13, 0xffff
	s_delay_alu instid0(SALU_CYCLE_1) | instskip(SKIP_1) | instid1(VALU_DEP_1)
	v_mad_u32_u24 v3, v1, s13, v50 /*v306*/
	s_mov_b32 s13, exec_lo
	v_and_b32_e32 v4, 31, v3
	s_set_vgpr_msb 1                        ;  msbs: dst=0 src0=1 src1=0 src2=0
	s_delay_alu instid0(VALU_DEP_1) | instskip(NEXT) | instid1(VALU_DEP_1)
	v_add_nc_u64_e32 v[4:5], v[36:37] /*v[292:293]*/, v[4:5]
	v_cmpx_gt_i64_e64 s[4:5], v[4:5]
	s_set_vgpr_msb 0                        ;  msbs: dst=0 src0=0 src1=0 src2=0
	s_cbranch_execz .LBB199_148
; %bb.147:                              ;   in Loop: Header=BB199_145 Depth=1
	v_lshl_add_u64 v[4:5], v[4:5], 2, s[14:15]
	s_set_vgpr_msb 64                       ;  msbs: dst=1 src0=0 src1=0 src2=0
	global_load_b32 v52 /*v308*/, v[4:5], off
.LBB199_148:                            ;   in Loop: Header=BB199_145 Depth=1
	s_wait_xcnt 0x0
	s_or_b32 exec_lo, exec_lo, s13
	s_set_vgpr_msb 4                        ;  msbs: dst=0 src0=0 src1=1 src2=0
	v_dual_mov_b32 v31, v2 :: v_dual_mov_b32 v32, v2
	v_dual_mov_b32 v33, v2 :: v_dual_mov_b32 v3, v2
	;; [unrolled: 1-line block ×15, first 2 shown]
	v_mov_b32_e32 v30, v2
	v_mov_b64_e32 v[34:35], v[32:33]
	s_delay_alu instid0(VALU_DEP_2) | instskip(NEXT) | instid1(VALU_DEP_4)
	v_mov_b64_e32 v[32:33], v[30:31]
	v_mov_b64_e32 v[30:31], v[28:29]
	;; [unrolled: 1-line block ×15, first 2 shown]
	s_mov_b32 s13, exec_lo
	v_cmpx_gt_i64_e64 s[4:5], v[36:37] /*v[292:293]*/
	s_set_vgpr_msb 0                        ;  msbs: dst=0 src0=0 src1=0 src2=0
	s_cbranch_execz .LBB199_150
; %bb.149:                              ;   in Loop: Header=BB199_145 Depth=1
	v_add_nc_u64_e32 v[4:5], v[164:165], v[162:163]
	v_add_nc_u64_e32 v[6:7], v[166:167], v[162:163]
	v_dual_mov_b32 v9, v2 :: v_dual_mov_b32 v10, v2
	v_dual_mov_b32 v11, v2 :: v_dual_mov_b32 v12, v2
	;; [unrolled: 1-line block ×3, first 2 shown]
	global_load_u16 v3, v[4:5], off
	s_set_vgpr_msb 64                       ;  msbs: dst=1 src0=0 src1=0 src2=0
	global_load_u16 v38 /*v294*/, v[6:7], off
	s_wait_xcnt 0x0
	s_set_vgpr_msb 0                        ;  msbs: dst=0 src0=0 src1=0 src2=0
	v_dual_mov_b32 v5, v2 :: v_dual_mov_b32 v6, v2
	v_dual_mov_b32 v7, v2 :: v_dual_mov_b32 v8, v2
	v_dual_mov_b32 v15, v2 :: v_dual_mov_b32 v16, v2
	v_dual_mov_b32 v17, v2 :: v_dual_mov_b32 v18, v2
	v_dual_mov_b32 v19, v2 :: v_dual_mov_b32 v20, v2
	v_dual_mov_b32 v21, v2 :: v_dual_mov_b32 v22, v2
	v_dual_mov_b32 v23, v2 :: v_dual_mov_b32 v24, v2
	v_dual_mov_b32 v25, v2 :: v_dual_mov_b32 v26, v2
	v_dual_mov_b32 v27, v2 :: v_dual_mov_b32 v28, v2
	v_dual_mov_b32 v29, v2 :: v_dual_mov_b32 v30, v2
	v_dual_mov_b32 v31, v2 :: v_dual_mov_b32 v32, v2
	v_dual_mov_b32 v33, v2 :: v_dual_mov_b32 v34, v2
	s_wait_loadcnt 0x1
	v_dual_mov_b32 v35, v2 :: v_dual_lshlrev_b32 v4, 16, v3
	s_wait_loadcnt 0x0
	s_set_vgpr_msb 0x44                     ;  msbs: dst=1 src0=0 src1=1 src2=0
	v_lshlrev_b32_e32 v53 /*v309*/, 16, v38 /*v294*/
.LBB199_150:                            ;   in Loop: Header=BB199_145 Depth=1
	s_or_b32 exec_lo, exec_lo, s13
	s_set_vgpr_msb 0x44                     ;  msbs: dst=1 src0=0 src1=1 src2=0
	v_add_nc_u64_e32 v[38:39] /*v[294:295]*/, 1, v[36:37] /*v[292:293]*/
	s_set_vgpr_msb 0                        ;  msbs: dst=0 src0=0 src1=0 src2=0
	v_mov_b32_e32 v3, 0
	s_set_vgpr_msb 64                       ;  msbs: dst=1 src0=0 src1=0 src2=0
	v_mov_b32_e32 v54 /*v310*/, 0
	s_mov_b32 s13, exec_lo
	s_set_vgpr_msb 4                        ;  msbs: dst=0 src0=0 src1=1 src2=0
	v_cmpx_gt_i64_e64 s[4:5], v[38:39] /*v[294:295]*/
	s_set_vgpr_msb 0                        ;  msbs: dst=0 src0=0 src1=0 src2=0
	s_cbranch_execz .LBB199_152
; %bb.151:                              ;   in Loop: Header=BB199_145 Depth=1
	s_set_vgpr_msb 0x41                     ;  msbs: dst=1 src0=1 src1=0 src2=0
	v_add_nc_u64_e32 v[38:39] /*v[294:295]*/, v[32:33] /*v[288:289]*/, v[162:163]
	v_add_nc_u64_e32 v[40:41] /*v[296:297]*/, v[34:35] /*v[290:291]*/, v[162:163]
	s_set_vgpr_msb 1                        ;  msbs: dst=0 src0=1 src1=0 src2=0
	global_load_u16 v5, v[38:39] /*v[294:295]*/, off
	s_set_vgpr_msb 0x41                     ;  msbs: dst=1 src0=1 src1=0 src2=0
	global_load_u16 v42 /*v298*/, v[40:41] /*v[296:297]*/, off
	s_wait_loadcnt 0x1
	s_set_vgpr_msb 0                        ;  msbs: dst=0 src0=0 src1=0 src2=0
	v_lshlrev_b32_e32 v5, 16, v5
	s_wait_loadcnt 0x0
	s_set_vgpr_msb 0x44                     ;  msbs: dst=1 src0=0 src1=1 src2=0
	v_lshlrev_b32_e32 v54 /*v310*/, 16, v42 /*v298*/
.LBB199_152:                            ;   in Loop: Header=BB199_145 Depth=1
	s_or_b32 exec_lo, exec_lo, s13
	s_set_vgpr_msb 0x44                     ;  msbs: dst=1 src0=0 src1=1 src2=0
	v_add_nc_u64_e32 v[38:39] /*v[294:295]*/, 2, v[36:37] /*v[292:293]*/
	s_mov_b32 s13, exec_lo
	s_delay_alu instid0(VALU_DEP_1)
	v_cmpx_gt_i64_e64 s[4:5], v[38:39] /*v[294:295]*/
	s_set_vgpr_msb 0                        ;  msbs: dst=0 src0=0 src1=0 src2=0
	s_cbranch_execz .LBB199_154
; %bb.153:                              ;   in Loop: Header=BB199_145 Depth=1
	s_set_vgpr_msb 0x41                     ;  msbs: dst=1 src0=1 src1=0 src2=0
	v_add_nc_u64_e32 v[38:39] /*v[294:295]*/, v[28:29] /*v[284:285]*/, v[162:163]
	v_add_nc_u64_e32 v[40:41] /*v[296:297]*/, v[30:31] /*v[286:287]*/, v[162:163]
	s_set_vgpr_msb 1                        ;  msbs: dst=0 src0=1 src1=0 src2=0
	global_load_u16 v3, v[38:39] /*v[294:295]*/, off
	s_set_vgpr_msb 0x41                     ;  msbs: dst=1 src0=1 src1=0 src2=0
	global_load_u16 v42 /*v298*/, v[40:41] /*v[296:297]*/, off
	s_wait_loadcnt 0x1
	s_set_vgpr_msb 0                        ;  msbs: dst=0 src0=0 src1=0 src2=0
	v_lshlrev_b32_e32 v6, 16, v3
	s_wait_loadcnt 0x0
	s_set_vgpr_msb 4                        ;  msbs: dst=0 src0=0 src1=1 src2=0
	v_lshlrev_b32_e32 v3, 16, v42 /*v298*/
.LBB199_154:                            ;   in Loop: Header=BB199_145 Depth=1
	s_or_b32 exec_lo, exec_lo, s13
	s_set_vgpr_msb 0x44                     ;  msbs: dst=1 src0=0 src1=1 src2=0
	v_add_nc_u64_e32 v[38:39] /*v[294:295]*/, 3, v[36:37] /*v[292:293]*/
	v_dual_mov_b32 v55 /*v311*/, 0 :: v_dual_mov_b32 v56 /*v312*/, 0
	s_mov_b32 s13, exec_lo
	s_delay_alu instid0(VALU_DEP_2)
	v_cmpx_gt_i64_e64 s[4:5], v[38:39] /*v[294:295]*/
	s_set_vgpr_msb 0                        ;  msbs: dst=0 src0=0 src1=0 src2=0
	s_cbranch_execz .LBB199_156
; %bb.155:                              ;   in Loop: Header=BB199_145 Depth=1
	s_set_vgpr_msb 0x41                     ;  msbs: dst=1 src0=1 src1=0 src2=0
	v_add_nc_u64_e32 v[38:39] /*v[294:295]*/, v[24:25] /*v[280:281]*/, v[162:163]
	v_add_nc_u64_e32 v[40:41] /*v[296:297]*/, v[26:27] /*v[282:283]*/, v[162:163]
	s_set_vgpr_msb 1                        ;  msbs: dst=0 src0=1 src1=0 src2=0
	global_load_u16 v7, v[38:39] /*v[294:295]*/, off
	s_set_vgpr_msb 0x41                     ;  msbs: dst=1 src0=1 src1=0 src2=0
	global_load_u16 v42 /*v298*/, v[40:41] /*v[296:297]*/, off
	s_wait_loadcnt 0x1
	s_set_vgpr_msb 0                        ;  msbs: dst=0 src0=0 src1=0 src2=0
	v_lshlrev_b32_e32 v7, 16, v7
	s_wait_loadcnt 0x0
	s_set_vgpr_msb 0x44                     ;  msbs: dst=1 src0=0 src1=1 src2=0
	v_lshlrev_b32_e32 v56 /*v312*/, 16, v42 /*v298*/
.LBB199_156:                            ;   in Loop: Header=BB199_145 Depth=1
	s_or_b32 exec_lo, exec_lo, s13
	s_set_vgpr_msb 0x44                     ;  msbs: dst=1 src0=0 src1=1 src2=0
	v_add_nc_u64_e32 v[38:39] /*v[294:295]*/, 4, v[36:37] /*v[292:293]*/
	s_mov_b32 s13, exec_lo
	s_delay_alu instid0(VALU_DEP_1)
	v_cmpx_gt_i64_e64 s[4:5], v[38:39] /*v[294:295]*/
	s_set_vgpr_msb 0                        ;  msbs: dst=0 src0=0 src1=0 src2=0
	s_cbranch_execz .LBB199_158
; %bb.157:                              ;   in Loop: Header=BB199_145 Depth=1
	s_set_vgpr_msb 0x41                     ;  msbs: dst=1 src0=1 src1=0 src2=0
	v_add_nc_u64_e32 v[38:39] /*v[294:295]*/, v[20:21] /*v[276:277]*/, v[162:163]
	v_add_nc_u64_e32 v[40:41] /*v[296:297]*/, v[22:23] /*v[278:279]*/, v[162:163]
	s_set_vgpr_msb 1                        ;  msbs: dst=0 src0=1 src1=0 src2=0
	global_load_u16 v8, v[38:39] /*v[294:295]*/, off
	s_set_vgpr_msb 0x41                     ;  msbs: dst=1 src0=1 src1=0 src2=0
	global_load_u16 v42 /*v298*/, v[40:41] /*v[296:297]*/, off
	s_wait_loadcnt 0x1
	s_set_vgpr_msb 0                        ;  msbs: dst=0 src0=0 src1=0 src2=0
	v_lshlrev_b32_e32 v8, 16, v8
	s_wait_loadcnt 0x0
	s_set_vgpr_msb 0x44                     ;  msbs: dst=1 src0=0 src1=1 src2=0
	v_lshlrev_b32_e32 v55 /*v311*/, 16, v42 /*v298*/
.LBB199_158:                            ;   in Loop: Header=BB199_145 Depth=1
	s_or_b32 exec_lo, exec_lo, s13
	s_set_vgpr_msb 0x44                     ;  msbs: dst=1 src0=0 src1=1 src2=0
	v_add_nc_u64_e32 v[38:39] /*v[294:295]*/, 5, v[36:37] /*v[292:293]*/
	v_dual_mov_b32 v57 /*v313*/, 0 :: v_dual_mov_b32 v58 /*v314*/, 0
	s_mov_b32 s13, exec_lo
	s_delay_alu instid0(VALU_DEP_2)
	v_cmpx_gt_i64_e64 s[4:5], v[38:39] /*v[294:295]*/
	s_set_vgpr_msb 0                        ;  msbs: dst=0 src0=0 src1=0 src2=0
	s_cbranch_execz .LBB199_160
; %bb.159:                              ;   in Loop: Header=BB199_145 Depth=1
	s_set_vgpr_msb 0x41                     ;  msbs: dst=1 src0=1 src1=0 src2=0
	v_add_nc_u64_e32 v[38:39] /*v[294:295]*/, v[16:17] /*v[272:273]*/, v[162:163]
	v_add_nc_u64_e32 v[40:41] /*v[296:297]*/, v[18:19] /*v[274:275]*/, v[162:163]
	s_set_vgpr_msb 1                        ;  msbs: dst=0 src0=1 src1=0 src2=0
	global_load_u16 v9, v[38:39] /*v[294:295]*/, off
	s_set_vgpr_msb 0x41                     ;  msbs: dst=1 src0=1 src1=0 src2=0
	global_load_u16 v42 /*v298*/, v[40:41] /*v[296:297]*/, off
	s_wait_loadcnt 0x1
	s_set_vgpr_msb 0                        ;  msbs: dst=0 src0=0 src1=0 src2=0
	v_lshlrev_b32_e32 v9, 16, v9
	s_wait_loadcnt 0x0
	s_set_vgpr_msb 0x44                     ;  msbs: dst=1 src0=0 src1=1 src2=0
	v_lshlrev_b32_e32 v58 /*v314*/, 16, v42 /*v298*/
.LBB199_160:                            ;   in Loop: Header=BB199_145 Depth=1
	s_or_b32 exec_lo, exec_lo, s13
	s_set_vgpr_msb 0x44                     ;  msbs: dst=1 src0=0 src1=1 src2=0
	v_add_nc_u64_e32 v[38:39] /*v[294:295]*/, 6, v[36:37] /*v[292:293]*/
	s_mov_b32 s13, exec_lo
	s_delay_alu instid0(VALU_DEP_1)
	v_cmpx_gt_i64_e64 s[4:5], v[38:39] /*v[294:295]*/
	s_set_vgpr_msb 0                        ;  msbs: dst=0 src0=0 src1=0 src2=0
	s_cbranch_execz .LBB199_162
; %bb.161:                              ;   in Loop: Header=BB199_145 Depth=1
	s_set_vgpr_msb 0x41                     ;  msbs: dst=1 src0=1 src1=0 src2=0
	v_add_nc_u64_e32 v[38:39] /*v[294:295]*/, v[12:13] /*v[268:269]*/, v[162:163]
	v_add_nc_u64_e32 v[40:41] /*v[296:297]*/, v[14:15] /*v[270:271]*/, v[162:163]
	s_set_vgpr_msb 1                        ;  msbs: dst=0 src0=1 src1=0 src2=0
	global_load_u16 v10, v[38:39] /*v[294:295]*/, off
	s_set_vgpr_msb 0x41                     ;  msbs: dst=1 src0=1 src1=0 src2=0
	global_load_u16 v42 /*v298*/, v[40:41] /*v[296:297]*/, off
	s_wait_loadcnt 0x1
	s_set_vgpr_msb 0                        ;  msbs: dst=0 src0=0 src1=0 src2=0
	v_lshlrev_b32_e32 v10, 16, v10
	s_wait_loadcnt 0x0
	s_set_vgpr_msb 0x44                     ;  msbs: dst=1 src0=0 src1=1 src2=0
	v_lshlrev_b32_e32 v57 /*v313*/, 16, v42 /*v298*/
.LBB199_162:                            ;   in Loop: Header=BB199_145 Depth=1
	;; [unrolled: 47-line block ×3, first 2 shown]
	s_or_b32 exec_lo, exec_lo, s13
	s_set_vgpr_msb 0x44                     ;  msbs: dst=1 src0=0 src1=1 src2=0
	v_add_nc_u64_e32 v[38:39] /*v[294:295]*/, 9, v[36:37] /*v[292:293]*/
	v_dual_mov_b32 v61 /*v317*/, 0 :: v_dual_mov_b32 v62 /*v318*/, 0
	s_mov_b32 s13, exec_lo
	s_delay_alu instid0(VALU_DEP_2)
	v_cmpx_gt_i64_e64 s[4:5], v[38:39] /*v[294:295]*/
	s_set_vgpr_msb 0                        ;  msbs: dst=0 src0=0 src1=0 src2=0
	s_cbranch_execz .LBB199_168
; %bb.167:                              ;   in Loop: Header=BB199_145 Depth=1
	s_set_vgpr_msb 0x41                     ;  msbs: dst=1 src0=1 src1=0 src2=0
	v_add_nc_u64_e32 v[38:39] /*v[294:295]*/, v[0:1] /*v[256:257]*/, v[162:163]
	v_add_nc_u64_e32 v[40:41] /*v[296:297]*/, v[2:3] /*v[258:259]*/, v[162:163]
	s_set_vgpr_msb 1                        ;  msbs: dst=0 src0=1 src1=0 src2=0
	global_load_u16 v13, v[38:39] /*v[294:295]*/, off
	s_set_vgpr_msb 0x41                     ;  msbs: dst=1 src0=1 src1=0 src2=0
	global_load_u16 v42 /*v298*/, v[40:41] /*v[296:297]*/, off
	s_wait_loadcnt 0x1
	s_set_vgpr_msb 0                        ;  msbs: dst=0 src0=0 src1=0 src2=0
	v_lshlrev_b32_e32 v13, 16, v13
	s_wait_loadcnt 0x0
	s_set_vgpr_msb 0x44                     ;  msbs: dst=1 src0=0 src1=1 src2=0
	v_lshlrev_b32_e32 v62 /*v318*/, 16, v42 /*v298*/
.LBB199_168:                            ;   in Loop: Header=BB199_145 Depth=1
	s_or_b32 exec_lo, exec_lo, s13
	s_set_vgpr_msb 0x44                     ;  msbs: dst=1 src0=0 src1=1 src2=0
	v_add_nc_u64_e32 v[38:39] /*v[294:295]*/, 10, v[36:37] /*v[292:293]*/
	s_mov_b32 s13, exec_lo
	s_delay_alu instid0(VALU_DEP_1)
	v_cmpx_gt_i64_e64 s[4:5], v[38:39] /*v[294:295]*/
	s_set_vgpr_msb 0                        ;  msbs: dst=0 src0=0 src1=0 src2=0
	s_cbranch_execz .LBB199_170
; %bb.169:                              ;   in Loop: Header=BB199_145 Depth=1
	s_set_vgpr_msb 64                       ;  msbs: dst=1 src0=0 src1=0 src2=0
	v_add_nc_u64_e32 v[38:39] /*v[294:295]*/, v[252:253], v[162:163]
	v_add_nc_u64_e32 v[40:41] /*v[296:297]*/, v[254:255], v[162:163]
	s_set_vgpr_msb 1                        ;  msbs: dst=0 src0=1 src1=0 src2=0
	global_load_u16 v14, v[38:39] /*v[294:295]*/, off
	s_set_vgpr_msb 0x41                     ;  msbs: dst=1 src0=1 src1=0 src2=0
	global_load_u16 v42 /*v298*/, v[40:41] /*v[296:297]*/, off
	s_wait_loadcnt 0x1
	s_set_vgpr_msb 0                        ;  msbs: dst=0 src0=0 src1=0 src2=0
	v_lshlrev_b32_e32 v14, 16, v14
	s_wait_loadcnt 0x0
	s_set_vgpr_msb 0x44                     ;  msbs: dst=1 src0=0 src1=1 src2=0
	v_lshlrev_b32_e32 v61 /*v317*/, 16, v42 /*v298*/
.LBB199_170:                            ;   in Loop: Header=BB199_145 Depth=1
	s_or_b32 exec_lo, exec_lo, s13
	s_set_vgpr_msb 0x44                     ;  msbs: dst=1 src0=0 src1=1 src2=0
	v_add_nc_u64_e32 v[38:39] /*v[294:295]*/, 11, v[36:37] /*v[292:293]*/
	v_dual_mov_b32 v63 /*v319*/, 0 :: v_dual_mov_b32 v64 /*v320*/, 0
	s_mov_b32 s13, exec_lo
	s_delay_alu instid0(VALU_DEP_2)
	v_cmpx_gt_i64_e64 s[4:5], v[38:39] /*v[294:295]*/
	s_set_vgpr_msb 0                        ;  msbs: dst=0 src0=0 src1=0 src2=0
	s_cbranch_execz .LBB199_172
; %bb.171:                              ;   in Loop: Header=BB199_145 Depth=1
	s_set_vgpr_msb 64                       ;  msbs: dst=1 src0=0 src1=0 src2=0
	v_add_nc_u64_e32 v[38:39] /*v[294:295]*/, v[248:249], v[162:163]
	v_add_nc_u64_e32 v[40:41] /*v[296:297]*/, v[250:251], v[162:163]
	s_set_vgpr_msb 1                        ;  msbs: dst=0 src0=1 src1=0 src2=0
	global_load_u16 v15, v[38:39] /*v[294:295]*/, off
	s_set_vgpr_msb 0x41                     ;  msbs: dst=1 src0=1 src1=0 src2=0
	global_load_u16 v42 /*v298*/, v[40:41] /*v[296:297]*/, off
	s_wait_loadcnt 0x1
	s_set_vgpr_msb 0                        ;  msbs: dst=0 src0=0 src1=0 src2=0
	v_lshlrev_b32_e32 v15, 16, v15
	s_wait_loadcnt 0x0
	s_set_vgpr_msb 0x44                     ;  msbs: dst=1 src0=0 src1=1 src2=0
	v_lshlrev_b32_e32 v64 /*v320*/, 16, v42 /*v298*/
.LBB199_172:                            ;   in Loop: Header=BB199_145 Depth=1
	s_or_b32 exec_lo, exec_lo, s13
	s_set_vgpr_msb 0x44                     ;  msbs: dst=1 src0=0 src1=1 src2=0
	v_add_nc_u64_e32 v[38:39] /*v[294:295]*/, 12, v[36:37] /*v[292:293]*/
	s_mov_b32 s13, exec_lo
	s_delay_alu instid0(VALU_DEP_1)
	v_cmpx_gt_i64_e64 s[4:5], v[38:39] /*v[294:295]*/
	s_set_vgpr_msb 0                        ;  msbs: dst=0 src0=0 src1=0 src2=0
	s_cbranch_execz .LBB199_174
; %bb.173:                              ;   in Loop: Header=BB199_145 Depth=1
	s_set_vgpr_msb 64                       ;  msbs: dst=1 src0=0 src1=0 src2=0
	v_add_nc_u64_e32 v[38:39] /*v[294:295]*/, v[244:245], v[162:163]
	v_add_nc_u64_e32 v[40:41] /*v[296:297]*/, v[246:247], v[162:163]
	s_set_vgpr_msb 1                        ;  msbs: dst=0 src0=1 src1=0 src2=0
	global_load_u16 v16, v[38:39] /*v[294:295]*/, off
	s_set_vgpr_msb 0x41                     ;  msbs: dst=1 src0=1 src1=0 src2=0
	global_load_u16 v42 /*v298*/, v[40:41] /*v[296:297]*/, off
	s_wait_loadcnt 0x1
	s_set_vgpr_msb 0                        ;  msbs: dst=0 src0=0 src1=0 src2=0
	v_lshlrev_b32_e32 v16, 16, v16
	s_wait_loadcnt 0x0
	s_set_vgpr_msb 0x44                     ;  msbs: dst=1 src0=0 src1=1 src2=0
	v_lshlrev_b32_e32 v63 /*v319*/, 16, v42 /*v298*/
.LBB199_174:                            ;   in Loop: Header=BB199_145 Depth=1
	s_or_b32 exec_lo, exec_lo, s13
	s_set_vgpr_msb 0x44                     ;  msbs: dst=1 src0=0 src1=1 src2=0
	v_add_nc_u64_e32 v[38:39] /*v[294:295]*/, 13, v[36:37] /*v[292:293]*/
	v_dual_mov_b32 v65 /*v321*/, 0 :: v_dual_mov_b32 v66 /*v322*/, 0
	s_mov_b32 s13, exec_lo
	s_delay_alu instid0(VALU_DEP_2)
	v_cmpx_gt_i64_e64 s[4:5], v[38:39] /*v[294:295]*/
	s_set_vgpr_msb 0                        ;  msbs: dst=0 src0=0 src1=0 src2=0
	s_cbranch_execz .LBB199_176
; %bb.175:                              ;   in Loop: Header=BB199_145 Depth=1
	s_set_vgpr_msb 64                       ;  msbs: dst=1 src0=0 src1=0 src2=0
	v_add_nc_u64_e32 v[38:39] /*v[294:295]*/, v[240:241], v[162:163]
	v_add_nc_u64_e32 v[40:41] /*v[296:297]*/, v[242:243], v[162:163]
	s_set_vgpr_msb 1                        ;  msbs: dst=0 src0=1 src1=0 src2=0
	global_load_u16 v17, v[38:39] /*v[294:295]*/, off
	s_set_vgpr_msb 0x41                     ;  msbs: dst=1 src0=1 src1=0 src2=0
	global_load_u16 v42 /*v298*/, v[40:41] /*v[296:297]*/, off
	s_wait_loadcnt 0x1
	s_set_vgpr_msb 0                        ;  msbs: dst=0 src0=0 src1=0 src2=0
	v_lshlrev_b32_e32 v17, 16, v17
	s_wait_loadcnt 0x0
	s_set_vgpr_msb 0x44                     ;  msbs: dst=1 src0=0 src1=1 src2=0
	v_lshlrev_b32_e32 v66 /*v322*/, 16, v42 /*v298*/
.LBB199_176:                            ;   in Loop: Header=BB199_145 Depth=1
	s_or_b32 exec_lo, exec_lo, s13
	s_set_vgpr_msb 0x44                     ;  msbs: dst=1 src0=0 src1=1 src2=0
	v_add_nc_u64_e32 v[38:39] /*v[294:295]*/, 14, v[36:37] /*v[292:293]*/
	s_mov_b32 s13, exec_lo
	s_delay_alu instid0(VALU_DEP_1)
	v_cmpx_gt_i64_e64 s[4:5], v[38:39] /*v[294:295]*/
	s_set_vgpr_msb 0                        ;  msbs: dst=0 src0=0 src1=0 src2=0
	s_cbranch_execz .LBB199_178
; %bb.177:                              ;   in Loop: Header=BB199_145 Depth=1
	s_set_vgpr_msb 64                       ;  msbs: dst=1 src0=0 src1=0 src2=0
	v_add_nc_u64_e32 v[38:39] /*v[294:295]*/, v[236:237], v[162:163]
	v_add_nc_u64_e32 v[40:41] /*v[296:297]*/, v[238:239], v[162:163]
	s_set_vgpr_msb 1                        ;  msbs: dst=0 src0=1 src1=0 src2=0
	global_load_u16 v18, v[38:39] /*v[294:295]*/, off
	s_set_vgpr_msb 0x41                     ;  msbs: dst=1 src0=1 src1=0 src2=0
	global_load_u16 v42 /*v298*/, v[40:41] /*v[296:297]*/, off
	s_wait_loadcnt 0x1
	s_set_vgpr_msb 0                        ;  msbs: dst=0 src0=0 src1=0 src2=0
	v_lshlrev_b32_e32 v18, 16, v18
	s_wait_loadcnt 0x0
	s_set_vgpr_msb 0x44                     ;  msbs: dst=1 src0=0 src1=1 src2=0
	v_lshlrev_b32_e32 v65 /*v321*/, 16, v42 /*v298*/
.LBB199_178:                            ;   in Loop: Header=BB199_145 Depth=1
	s_or_b32 exec_lo, exec_lo, s13
	s_set_vgpr_msb 0x44                     ;  msbs: dst=1 src0=0 src1=1 src2=0
	v_add_nc_u64_e32 v[38:39] /*v[294:295]*/, 15, v[36:37] /*v[292:293]*/
	v_dual_mov_b32 v67 /*v323*/, 0 :: v_dual_mov_b32 v68 /*v324*/, 0
	s_mov_b32 s13, exec_lo
	s_delay_alu instid0(VALU_DEP_2)
	v_cmpx_gt_i64_e64 s[4:5], v[38:39] /*v[294:295]*/
	s_set_vgpr_msb 0                        ;  msbs: dst=0 src0=0 src1=0 src2=0
	s_cbranch_execz .LBB199_180
; %bb.179:                              ;   in Loop: Header=BB199_145 Depth=1
	s_set_vgpr_msb 64                       ;  msbs: dst=1 src0=0 src1=0 src2=0
	v_add_nc_u64_e32 v[38:39] /*v[294:295]*/, v[232:233], v[162:163]
	v_add_nc_u64_e32 v[40:41] /*v[296:297]*/, v[234:235], v[162:163]
	s_set_vgpr_msb 1                        ;  msbs: dst=0 src0=1 src1=0 src2=0
	global_load_u16 v19, v[38:39] /*v[294:295]*/, off
	s_set_vgpr_msb 0x41                     ;  msbs: dst=1 src0=1 src1=0 src2=0
	global_load_u16 v42 /*v298*/, v[40:41] /*v[296:297]*/, off
	s_wait_loadcnt 0x1
	s_set_vgpr_msb 0                        ;  msbs: dst=0 src0=0 src1=0 src2=0
	v_lshlrev_b32_e32 v19, 16, v19
	s_wait_loadcnt 0x0
	s_set_vgpr_msb 0x44                     ;  msbs: dst=1 src0=0 src1=1 src2=0
	v_lshlrev_b32_e32 v68 /*v324*/, 16, v42 /*v298*/
.LBB199_180:                            ;   in Loop: Header=BB199_145 Depth=1
	s_or_b32 exec_lo, exec_lo, s13
	s_set_vgpr_msb 0x44                     ;  msbs: dst=1 src0=0 src1=1 src2=0
	v_add_nc_u64_e32 v[38:39] /*v[294:295]*/, 16, v[36:37] /*v[292:293]*/
	s_mov_b32 s13, exec_lo
	s_delay_alu instid0(VALU_DEP_1)
	v_cmpx_gt_i64_e64 s[4:5], v[38:39] /*v[294:295]*/
	s_set_vgpr_msb 0                        ;  msbs: dst=0 src0=0 src1=0 src2=0
	s_cbranch_execz .LBB199_182
; %bb.181:                              ;   in Loop: Header=BB199_145 Depth=1
	s_set_vgpr_msb 64                       ;  msbs: dst=1 src0=0 src1=0 src2=0
	v_add_nc_u64_e32 v[38:39] /*v[294:295]*/, v[228:229], v[162:163]
	v_add_nc_u64_e32 v[40:41] /*v[296:297]*/, v[230:231], v[162:163]
	s_set_vgpr_msb 1                        ;  msbs: dst=0 src0=1 src1=0 src2=0
	global_load_u16 v20, v[38:39] /*v[294:295]*/, off
	s_set_vgpr_msb 0x41                     ;  msbs: dst=1 src0=1 src1=0 src2=0
	global_load_u16 v42 /*v298*/, v[40:41] /*v[296:297]*/, off
	s_wait_loadcnt 0x1
	s_set_vgpr_msb 0                        ;  msbs: dst=0 src0=0 src1=0 src2=0
	v_lshlrev_b32_e32 v20, 16, v20
	s_wait_loadcnt 0x0
	s_set_vgpr_msb 0x44                     ;  msbs: dst=1 src0=0 src1=1 src2=0
	v_lshlrev_b32_e32 v67 /*v323*/, 16, v42 /*v298*/
.LBB199_182:                            ;   in Loop: Header=BB199_145 Depth=1
	s_or_b32 exec_lo, exec_lo, s13
	s_set_vgpr_msb 0x44                     ;  msbs: dst=1 src0=0 src1=1 src2=0
	v_add_nc_u64_e32 v[38:39] /*v[294:295]*/, 17, v[36:37] /*v[292:293]*/
	v_dual_mov_b32 v69 /*v325*/, 0 :: v_dual_mov_b32 v70 /*v326*/, 0
	s_mov_b32 s13, exec_lo
	s_delay_alu instid0(VALU_DEP_2)
	v_cmpx_gt_i64_e64 s[4:5], v[38:39] /*v[294:295]*/
	s_set_vgpr_msb 0                        ;  msbs: dst=0 src0=0 src1=0 src2=0
	s_cbranch_execz .LBB199_184
; %bb.183:                              ;   in Loop: Header=BB199_145 Depth=1
	s_set_vgpr_msb 64                       ;  msbs: dst=1 src0=0 src1=0 src2=0
	v_add_nc_u64_e32 v[38:39] /*v[294:295]*/, v[224:225], v[162:163]
	v_add_nc_u64_e32 v[40:41] /*v[296:297]*/, v[226:227], v[162:163]
	s_set_vgpr_msb 1                        ;  msbs: dst=0 src0=1 src1=0 src2=0
	global_load_u16 v21, v[38:39] /*v[294:295]*/, off
	s_set_vgpr_msb 0x41                     ;  msbs: dst=1 src0=1 src1=0 src2=0
	global_load_u16 v42 /*v298*/, v[40:41] /*v[296:297]*/, off
	s_wait_loadcnt 0x1
	s_set_vgpr_msb 0                        ;  msbs: dst=0 src0=0 src1=0 src2=0
	v_lshlrev_b32_e32 v21, 16, v21
	s_wait_loadcnt 0x0
	s_set_vgpr_msb 0x44                     ;  msbs: dst=1 src0=0 src1=1 src2=0
	v_lshlrev_b32_e32 v70 /*v326*/, 16, v42 /*v298*/
.LBB199_184:                            ;   in Loop: Header=BB199_145 Depth=1
	s_or_b32 exec_lo, exec_lo, s13
	s_set_vgpr_msb 0x44                     ;  msbs: dst=1 src0=0 src1=1 src2=0
	v_add_nc_u64_e32 v[38:39] /*v[294:295]*/, 18, v[36:37] /*v[292:293]*/
	s_mov_b32 s13, exec_lo
	s_delay_alu instid0(VALU_DEP_1)
	v_cmpx_gt_i64_e64 s[4:5], v[38:39] /*v[294:295]*/
	s_set_vgpr_msb 0                        ;  msbs: dst=0 src0=0 src1=0 src2=0
	s_cbranch_execz .LBB199_186
; %bb.185:                              ;   in Loop: Header=BB199_145 Depth=1
	s_set_vgpr_msb 64                       ;  msbs: dst=1 src0=0 src1=0 src2=0
	v_add_nc_u64_e32 v[38:39] /*v[294:295]*/, v[220:221], v[162:163]
	v_add_nc_u64_e32 v[40:41] /*v[296:297]*/, v[222:223], v[162:163]
	s_set_vgpr_msb 1                        ;  msbs: dst=0 src0=1 src1=0 src2=0
	global_load_u16 v22, v[38:39] /*v[294:295]*/, off
	s_set_vgpr_msb 0x41                     ;  msbs: dst=1 src0=1 src1=0 src2=0
	global_load_u16 v42 /*v298*/, v[40:41] /*v[296:297]*/, off
	s_wait_loadcnt 0x1
	s_set_vgpr_msb 0                        ;  msbs: dst=0 src0=0 src1=0 src2=0
	v_lshlrev_b32_e32 v22, 16, v22
	s_wait_loadcnt 0x0
	s_set_vgpr_msb 0x44                     ;  msbs: dst=1 src0=0 src1=1 src2=0
	v_lshlrev_b32_e32 v69 /*v325*/, 16, v42 /*v298*/
.LBB199_186:                            ;   in Loop: Header=BB199_145 Depth=1
	s_or_b32 exec_lo, exec_lo, s13
	s_set_vgpr_msb 0x44                     ;  msbs: dst=1 src0=0 src1=1 src2=0
	v_add_nc_u64_e32 v[38:39] /*v[294:295]*/, 19, v[36:37] /*v[292:293]*/
	v_mov_b32_e32 v71 /*v327*/, 0
	s_delay_alu instid0(VALU_DEP_2)
	v_cmp_gt_i64_e32 vcc_lo, s[4:5], v[38:39] /*v[294:295]*/
	v_mov_b32_e32 v38 /*v294*/, 0
	s_and_saveexec_b32 s13, vcc_lo
	s_set_vgpr_msb 0                        ;  msbs: dst=0 src0=0 src1=0 src2=0
	s_cbranch_execz .LBB199_188
; %bb.187:                              ;   in Loop: Header=BB199_145 Depth=1
	s_set_vgpr_msb 64                       ;  msbs: dst=1 src0=0 src1=0 src2=0
	v_add_nc_u64_e32 v[40:41] /*v[296:297]*/, v[216:217], v[162:163]
	v_add_nc_u64_e32 v[42:43] /*v[298:299]*/, v[218:219], v[162:163]
	s_set_vgpr_msb 1                        ;  msbs: dst=0 src0=1 src1=0 src2=0
	global_load_u16 v23, v[40:41] /*v[296:297]*/, off
	s_set_vgpr_msb 0x41                     ;  msbs: dst=1 src0=1 src1=0 src2=0
	global_load_u16 v39 /*v295*/, v[42:43] /*v[298:299]*/, off
	s_wait_loadcnt 0x1
	s_set_vgpr_msb 0                        ;  msbs: dst=0 src0=0 src1=0 src2=0
	v_lshlrev_b32_e32 v23, 16, v23
	s_wait_loadcnt 0x0
	s_set_vgpr_msb 0x44                     ;  msbs: dst=1 src0=0 src1=1 src2=0
	v_lshlrev_b32_e32 v71 /*v327*/, 16, v39 /*v295*/
.LBB199_188:                            ;   in Loop: Header=BB199_145 Depth=1
	s_or_b32 exec_lo, exec_lo, s13
	s_set_vgpr_msb 0x44                     ;  msbs: dst=1 src0=0 src1=1 src2=0
	v_add_nc_u64_e32 v[40:41] /*v[296:297]*/, 20, v[36:37] /*v[292:293]*/
	s_mov_b32 s13, exec_lo
	s_delay_alu instid0(VALU_DEP_1)
	v_cmpx_gt_i64_e64 s[4:5], v[40:41] /*v[296:297]*/
	s_set_vgpr_msb 0                        ;  msbs: dst=0 src0=0 src1=0 src2=0
	s_cbranch_execz .LBB199_190
; %bb.189:                              ;   in Loop: Header=BB199_145 Depth=1
	s_set_vgpr_msb 64                       ;  msbs: dst=1 src0=0 src1=0 src2=0
	v_add_nc_u64_e32 v[38:39] /*v[294:295]*/, v[212:213], v[162:163]
	v_add_nc_u64_e32 v[40:41] /*v[296:297]*/, v[214:215], v[162:163]
	s_set_vgpr_msb 1                        ;  msbs: dst=0 src0=1 src1=0 src2=0
	global_load_u16 v24, v[38:39] /*v[294:295]*/, off
	s_set_vgpr_msb 0x41                     ;  msbs: dst=1 src0=1 src1=0 src2=0
	global_load_u16 v42 /*v298*/, v[40:41] /*v[296:297]*/, off
	s_wait_loadcnt 0x1
	s_set_vgpr_msb 0                        ;  msbs: dst=0 src0=0 src1=0 src2=0
	v_lshlrev_b32_e32 v24, 16, v24
	s_wait_loadcnt 0x0
	s_set_vgpr_msb 0x44                     ;  msbs: dst=1 src0=0 src1=1 src2=0
	v_lshlrev_b32_e32 v38 /*v294*/, 16, v42 /*v298*/
.LBB199_190:                            ;   in Loop: Header=BB199_145 Depth=1
	s_or_b32 exec_lo, exec_lo, s13
	s_set_vgpr_msb 0x44                     ;  msbs: dst=1 src0=0 src1=1 src2=0
	v_add_nc_u64_e32 v[40:41] /*v[296:297]*/, 21, v[36:37] /*v[292:293]*/
	v_mov_b32_e32 v39 /*v295*/, 0
	s_delay_alu instid0(VALU_DEP_2)
	v_cmp_gt_i64_e32 vcc_lo, s[4:5], v[40:41] /*v[296:297]*/
	v_mov_b32_e32 v40 /*v296*/, 0
	s_and_saveexec_b32 s13, vcc_lo
	s_set_vgpr_msb 0                        ;  msbs: dst=0 src0=0 src1=0 src2=0
	s_cbranch_execz .LBB199_192
; %bb.191:                              ;   in Loop: Header=BB199_145 Depth=1
	s_set_vgpr_msb 64                       ;  msbs: dst=1 src0=0 src1=0 src2=0
	v_add_nc_u64_e32 v[42:43] /*v[298:299]*/, v[208:209], v[162:163]
	v_add_nc_u64_e32 v[44:45] /*v[300:301]*/, v[210:211], v[162:163]
	s_set_vgpr_msb 1                        ;  msbs: dst=0 src0=1 src1=0 src2=0
	global_load_u16 v25, v[42:43] /*v[298:299]*/, off
	s_set_vgpr_msb 0x41                     ;  msbs: dst=1 src0=1 src1=0 src2=0
	global_load_u16 v39 /*v295*/, v[44:45] /*v[300:301]*/, off
	s_wait_loadcnt 0x1
	s_set_vgpr_msb 0                        ;  msbs: dst=0 src0=0 src1=0 src2=0
	v_lshlrev_b32_e32 v25, 16, v25
	s_wait_loadcnt 0x0
	s_set_vgpr_msb 0x44                     ;  msbs: dst=1 src0=0 src1=1 src2=0
	v_lshlrev_b32_e32 v39 /*v295*/, 16, v39 /*v295*/
.LBB199_192:                            ;   in Loop: Header=BB199_145 Depth=1
	;; [unrolled: 48-line block ×6, first 2 shown]
	s_or_b32 exec_lo, exec_lo, s13
	s_set_vgpr_msb 0x44                     ;  msbs: dst=1 src0=0 src1=1 src2=0
	v_add_nc_u64_e32 v[72:73] /*v[328:329]*/, 30, v[36:37] /*v[292:293]*/
	s_mov_b32 s13, exec_lo
	s_delay_alu instid0(VALU_DEP_1)
	v_cmpx_gt_i64_e64 s[4:5], v[72:73] /*v[328:329]*/
	s_set_vgpr_msb 0                        ;  msbs: dst=0 src0=0 src1=0 src2=0
	s_cbranch_execz .LBB199_210
; %bb.209:                              ;   in Loop: Header=BB199_145 Depth=1
	s_set_vgpr_msb 64                       ;  msbs: dst=1 src0=0 src1=0 src2=0
	v_add_nc_u64_e32 v[48:49] /*v[304:305]*/, v[172:173], v[162:163]
	v_add_nc_u64_e32 v[72:73] /*v[328:329]*/, v[174:175], v[162:163]
	s_set_vgpr_msb 1                        ;  msbs: dst=0 src0=1 src1=0 src2=0
	global_load_u16 v34, v[48:49] /*v[304:305]*/, off
	s_set_vgpr_msb 0x41                     ;  msbs: dst=1 src0=1 src1=0 src2=0
	global_load_u16 v74 /*v330*/, v[72:73] /*v[328:329]*/, off
	s_wait_loadcnt 0x1
	s_set_vgpr_msb 0                        ;  msbs: dst=0 src0=0 src1=0 src2=0
	v_lshlrev_b32_e32 v34, 16, v34
	s_wait_loadcnt 0x0
	s_set_vgpr_msb 0x44                     ;  msbs: dst=1 src0=0 src1=1 src2=0
	v_lshlrev_b32_e32 v48 /*v304*/, 16, v74 /*v330*/
.LBB199_210:                            ;   in Loop: Header=BB199_145 Depth=1
	s_or_b32 exec_lo, exec_lo, s13
	s_set_vgpr_msb 0x44                     ;  msbs: dst=1 src0=0 src1=1 src2=0
	v_add_nc_u64_e32 v[72:73] /*v[328:329]*/, 31, v[36:37] /*v[292:293]*/
	v_mov_b32_e32 v49 /*v305*/, 0
	s_mov_b32 s13, exec_lo
	s_delay_alu instid0(VALU_DEP_2)
	v_cmpx_gt_i64_e64 s[4:5], v[72:73] /*v[328:329]*/
	s_set_vgpr_msb 0                        ;  msbs: dst=0 src0=0 src1=0 src2=0
	s_cbranch_execz .LBB199_212
; %bb.211:                              ;   in Loop: Header=BB199_145 Depth=1
	s_set_vgpr_msb 64                       ;  msbs: dst=1 src0=0 src1=0 src2=0
	v_add_nc_u64_e32 v[72:73] /*v[328:329]*/, v[168:169], v[162:163]
	v_add_nc_u64_e32 v[74:75] /*v[330:331]*/, v[170:171], v[162:163]
	s_set_vgpr_msb 1                        ;  msbs: dst=0 src0=1 src1=0 src2=0
	global_load_u16 v35, v[72:73] /*v[328:329]*/, off
	s_set_vgpr_msb 0x41                     ;  msbs: dst=1 src0=1 src1=0 src2=0
	global_load_u16 v49 /*v305*/, v[74:75] /*v[330:331]*/, off
	s_wait_loadcnt 0x1
	s_set_vgpr_msb 0                        ;  msbs: dst=0 src0=0 src1=0 src2=0
	v_lshlrev_b32_e32 v35, 16, v35
	s_wait_loadcnt 0x0
	s_set_vgpr_msb 0x44                     ;  msbs: dst=1 src0=0 src1=1 src2=0
	v_lshlrev_b32_e32 v49 /*v305*/, 16, v49 /*v305*/
.LBB199_212:                            ;   in Loop: Header=BB199_145 Depth=1
	s_or_b32 exec_lo, exec_lo, s13
	s_wait_loadcnt 0x0
	s_set_vgpr_msb 0x44                     ;  msbs: dst=1 src0=0 src1=1 src2=0
	ds_bpermute_b32 v72 /*v328*/, v2, v52 /*v308*/
	ds_bpermute_b32 v73 /*v329*/, v2, v52 /*v308*/ offset:4
	ds_bpermute_b32 v74 /*v330*/, v2, v52 /*v308*/ offset:8
	s_set_vgpr_msb 1                        ;  msbs: dst=0 src0=1 src1=0 src2=0
	v_dual_mul_f32 v4, v53 /*v309*/, v4 :: v_dual_mul_f32 v5, v54 /*v310*/, v5
	s_set_vgpr_msb 0x44                     ;  msbs: dst=1 src0=0 src1=1 src2=0
	ds_bpermute_b32 v53 /*v309*/, v2, v52 /*v308*/ offset:12
	ds_bpermute_b32 v54 /*v310*/, v2, v52 /*v308*/ offset:16
	s_set_vgpr_msb 0                        ;  msbs: dst=0 src0=0 src1=0 src2=0
	v_mul_f32_e32 v3, v3, v6
	s_set_vgpr_msb 4                        ;  msbs: dst=0 src0=0 src1=1 src2=0
	ds_bpermute_b32 v6, v2, v52 /*v308*/ offset:24
	s_mov_b32 s13, 0
	s_wait_dscnt 0x5
	s_set_vgpr_msb 0x54                     ;  msbs: dst=1 src0=0 src1=1 src2=1
	v_fma_f32 v72 /*v328*/, v4, v72 /*v328*/, v51 /*v307*/
	s_set_vgpr_msb 4                        ;  msbs: dst=0 src0=0 src1=1 src2=0
	ds_bpermute_b32 v4, v2, v52 /*v308*/ offset:20
	s_wait_dscnt 0x5
	s_set_vgpr_msb 0x44                     ;  msbs: dst=1 src0=0 src1=1 src2=0
	v_fmac_f32_e32 v72 /*v328*/, v5, v73 /*v329*/
	s_set_vgpr_msb 1                        ;  msbs: dst=0 src0=1 src1=0 src2=0
	v_mul_f32_e32 v5, v56 /*v312*/, v7
	s_set_vgpr_msb 4                        ;  msbs: dst=0 src0=0 src1=1 src2=0
	ds_bpermute_b32 v7, v2, v52 /*v308*/ offset:28
	s_wait_dscnt 0x5
	s_set_vgpr_msb 0x44                     ;  msbs: dst=1 src0=0 src1=1 src2=0
	v_fmac_f32_e32 v72 /*v328*/, v3, v74 /*v330*/
	s_set_vgpr_msb 1                        ;  msbs: dst=0 src0=1 src1=0 src2=0
	v_mul_f32_e32 v3, v55 /*v311*/, v8
	;; [unrolled: 7-line block ×4, first 2 shown]
	s_set_vgpr_msb 4                        ;  msbs: dst=0 src0=0 src1=1 src2=0
	ds_bpermute_b32 v10, v2, v52 /*v308*/ offset:60
	s_wait_dscnt 0x4
	s_set_vgpr_msb 64                       ;  msbs: dst=1 src0=0 src1=0 src2=0
	v_fmac_f32_e32 v72 /*v328*/, v5, v4
	s_set_vgpr_msb 1                        ;  msbs: dst=0 src0=1 src1=0 src2=0
	v_mul_f32_e32 v4, v60 /*v316*/, v11
	s_set_vgpr_msb 4                        ;  msbs: dst=0 src0=0 src1=1 src2=0
	ds_bpermute_b32 v5, v2, v52 /*v308*/ offset:40
	ds_bpermute_b32 v11, v2, v52 /*v308*/ offset:68
	s_set_vgpr_msb 64                       ;  msbs: dst=1 src0=0 src1=0 src2=0
	v_fmac_f32_e32 v72 /*v328*/, v3, v6
	s_set_vgpr_msb 1                        ;  msbs: dst=0 src0=1 src1=0 src2=0
	v_mul_f32_e32 v3, v59 /*v315*/, v12
	s_set_vgpr_msb 4                        ;  msbs: dst=0 src0=0 src1=1 src2=0
	ds_bpermute_b32 v6, v2, v52 /*v308*/ offset:44
	ds_bpermute_b32 v12, v2, v52 /*v308*/ offset:72
	s_wait_dscnt 0x7
	s_set_vgpr_msb 64                       ;  msbs: dst=1 src0=0 src1=0 src2=0
	v_fmac_f32_e32 v72 /*v328*/, v4, v7
	s_set_vgpr_msb 1                        ;  msbs: dst=0 src0=1 src1=0 src2=0
	v_mul_f32_e32 v4, v62 /*v318*/, v13
	s_set_vgpr_msb 4                        ;  msbs: dst=0 src0=0 src1=1 src2=0
	ds_bpermute_b32 v7, v2, v52 /*v308*/ offset:48
	ds_bpermute_b32 v13, v2, v52 /*v308*/ offset:76
	s_wait_dscnt 0x8
	s_set_vgpr_msb 64                       ;  msbs: dst=1 src0=0 src1=0 src2=0
	v_fmac_f32_e32 v72 /*v328*/, v3, v8
	s_set_vgpr_msb 1                        ;  msbs: dst=0 src0=1 src1=0 src2=0
	v_mul_f32_e32 v3, v61 /*v317*/, v14
	s_set_vgpr_msb 4                        ;  msbs: dst=0 src0=0 src1=1 src2=0
	ds_bpermute_b32 v8, v2, v52 /*v308*/ offset:52
	s_wait_dscnt 0x8
	s_set_vgpr_msb 64                       ;  msbs: dst=1 src0=0 src1=0 src2=0
	v_fmac_f32_e32 v72 /*v328*/, v4, v9
	s_set_vgpr_msb 1                        ;  msbs: dst=0 src0=1 src1=0 src2=0
	v_mul_f32_e32 v4, v64 /*v320*/, v15
	s_set_vgpr_msb 4                        ;  msbs: dst=0 src0=0 src1=1 src2=0
	;; [unrolled: 7-line block ×4, first 2 shown]
	ds_bpermute_b32 v6, v2, v52 /*v308*/ offset:64
	s_wait_dscnt 0x5
	s_set_vgpr_msb 64                       ;  msbs: dst=1 src0=0 src1=0 src2=0
	v_fmac_f32_e32 v72 /*v328*/, v3, v7
	s_set_vgpr_msb 1                        ;  msbs: dst=0 src0=1 src1=0 src2=0
	v_dual_mul_f32 v3, v65 /*v321*/, v18 :: v_dual_mul_f32 v7, v68 /*v324*/, v19
	s_wait_dscnt 0x3
	s_set_vgpr_msb 64                       ;  msbs: dst=1 src0=0 src1=0 src2=0
	v_fmac_f32_e32 v72 /*v328*/, v4, v8
	s_set_vgpr_msb 4                        ;  msbs: dst=0 src0=0 src1=1 src2=0
	ds_bpermute_b32 v4, v2, v52 /*v308*/ offset:80
	s_set_vgpr_msb 1                        ;  msbs: dst=0 src0=1 src1=0 src2=0
	v_mul_f32_e32 v8, v70 /*v326*/, v21
	s_wait_dscnt 0x3
	s_set_vgpr_msb 64                       ;  msbs: dst=1 src0=0 src1=0 src2=0
	v_fmac_f32_e32 v72 /*v328*/, v3, v9
	s_set_vgpr_msb 1                        ;  msbs: dst=0 src0=1 src1=0 src2=0
	v_mul_f32_e32 v3, v67 /*v323*/, v20
	s_set_vgpr_msb 64                       ;  msbs: dst=1 src0=0 src1=0 src2=0
	s_delay_alu instid0(VALU_DEP_2)
	v_fmac_f32_e32 v72 /*v328*/, v7, v10
	s_set_vgpr_msb 4                        ;  msbs: dst=0 src0=0 src1=1 src2=0
	ds_bpermute_b32 v7, v2, v52 /*v308*/ offset:92
	ds_bpermute_b32 v10, v2, v52 /*v308*/ offset:96
	s_wait_dscnt 0x3
	s_set_vgpr_msb 64                       ;  msbs: dst=1 src0=0 src1=0 src2=0
	v_fmac_f32_e32 v72 /*v328*/, v3, v6
	s_set_vgpr_msb 1                        ;  msbs: dst=0 src0=1 src1=0 src2=0
	v_mul_f32_e32 v3, v69 /*v325*/, v22
	s_set_vgpr_msb 4                        ;  msbs: dst=0 src0=0 src1=1 src2=0
	ds_bpermute_b32 v6, v2, v52 /*v308*/ offset:88
	s_set_vgpr_msb 64                       ;  msbs: dst=1 src0=0 src1=0 src2=0
	v_fmac_f32_e32 v72 /*v328*/, v8, v11
	s_set_vgpr_msb 1                        ;  msbs: dst=0 src0=1 src1=0 src2=0
	v_pk_mul_f32 v[8:9], v[38:39] /*v[294:295]*/, v[24:25]
	s_set_vgpr_msb 4                        ;  msbs: dst=0 src0=0 src1=1 src2=0
	ds_bpermute_b32 v11, v2, v52 /*v308*/ offset:100
	s_set_vgpr_msb 64                       ;  msbs: dst=1 src0=0 src1=0 src2=0
	v_fmac_f32_e32 v72 /*v328*/, v3, v12
	s_wait_dscnt 0x4
	s_set_vgpr_msb 0                        ;  msbs: dst=0 src0=0 src1=0 src2=0
	v_pk_mul_f32 v[4:5], v[8:9], v[4:5]
	s_set_vgpr_msb 1                        ;  msbs: dst=0 src0=1 src1=0 src2=0
	v_mul_f32_e32 v14, v71 /*v327*/, v23
	v_pk_mul_f32 v[8:9], v[40:41] /*v[296:297]*/, v[26:27]
	s_set_vgpr_msb 4                        ;  msbs: dst=0 src0=0 src1=1 src2=0
	ds_bpermute_b32 v12, v2, v52 /*v308*/ offset:104
	s_set_vgpr_msb 64                       ;  msbs: dst=1 src0=0 src1=0 src2=0
	v_fmac_f32_e32 v72 /*v328*/, v14, v13
	s_set_vgpr_msb 4                        ;  msbs: dst=0 src0=0 src1=1 src2=0
	ds_bpermute_b32 v13, v2, v52 /*v308*/ offset:108
	s_set_vgpr_msb 1                        ;  msbs: dst=0 src0=1 src1=0 src2=0
	v_add_f32_e32 v3, v72 /*v328*/, v4
	s_wait_dscnt 0x3
	s_set_vgpr_msb 0                        ;  msbs: dst=0 src0=0 src1=0 src2=0
	v_pk_mul_f32 v[6:7], v[8:9], v[6:7]
	s_set_vgpr_msb 4                        ;  msbs: dst=0 src0=0 src1=1 src2=0
	ds_bpermute_b32 v8, v2, v52 /*v308*/ offset:112
	ds_bpermute_b32 v9, v2, v52 /*v308*/ offset:116
	s_set_vgpr_msb 0                        ;  msbs: dst=0 src0=0 src1=0 src2=0
	v_add_f32_e32 v3, v3, v5
	s_set_vgpr_msb 1                        ;  msbs: dst=0 src0=1 src1=0 src2=0
	v_pk_mul_f32 v[4:5], v[42:43] /*v[298:299]*/, v[28:29]
	s_set_vgpr_msb 0                        ;  msbs: dst=0 src0=0 src1=0 src2=0
	s_delay_alu instid0(VALU_DEP_2) | instskip(SKIP_1) | instid1(VALU_DEP_2)
	v_add_f32_e32 v3, v3, v6
	s_wait_dscnt 0x4
	v_pk_mul_f32 v[4:5], v[4:5], v[10:11]
	s_set_vgpr_msb 1                        ;  msbs: dst=0 src0=1 src1=0 src2=0
	v_pk_mul_f32 v[10:11], v[46:47] /*v[302:303]*/, v[32:33]
	s_set_vgpr_msb 0                        ;  msbs: dst=0 src0=0 src1=0 src2=0
	v_add_f32_e32 v3, v3, v7
	s_set_vgpr_msb 1                        ;  msbs: dst=0 src0=1 src1=0 src2=0
	v_pk_mul_f32 v[6:7], v[44:45] /*v[300:301]*/, v[30:31]
	s_set_vgpr_msb 0                        ;  msbs: dst=0 src0=0 src1=0 src2=0
	s_delay_alu instid0(VALU_DEP_2)
	v_add_f32_e32 v3, v3, v4
	s_set_vgpr_msb 4                        ;  msbs: dst=0 src0=0 src1=1 src2=0
	ds_bpermute_b32 v4, v2, v52 /*v308*/ offset:120
	s_wait_dscnt 0x3
	s_set_vgpr_msb 0                        ;  msbs: dst=0 src0=0 src1=0 src2=0
	v_pk_mul_f32 v[6:7], v[6:7], v[12:13]
	s_wait_dscnt 0x1
	v_pk_mul_f32 v[8:9], v[10:11], v[8:9]
	v_add_f32_e32 v3, v3, v5
	s_set_vgpr_msb 4                        ;  msbs: dst=0 src0=0 src1=1 src2=0
	ds_bpermute_b32 v5, v2, v52 /*v308*/ offset:124
	s_set_vgpr_msb 0                        ;  msbs: dst=0 src0=0 src1=0 src2=0
	v_add_f32_e32 v3, v3, v6
	s_delay_alu instid0(VALU_DEP_1) | instskip(SKIP_3) | instid1(VALU_DEP_2)
	v_add_f32_e32 v3, v3, v7
	s_set_vgpr_msb 1                        ;  msbs: dst=0 src0=1 src1=0 src2=0
	v_pk_mul_f32 v[6:7], v[48:49] /*v[304:305]*/, v[34:35]
	s_set_vgpr_msb 0                        ;  msbs: dst=0 src0=0 src1=0 src2=0
	v_add_f32_e32 v3, v3, v8
	s_delay_alu instid0(VALU_DEP_1) | instskip(SKIP_2) | instid1(VALU_DEP_1)
	v_add_f32_e32 v3, v3, v9
	s_wait_dscnt 0x0
	v_pk_mul_f32 v[4:5], v[6:7], v[4:5]
	v_add_f32_e32 v3, v3, v4
	s_set_vgpr_msb 64                       ;  msbs: dst=1 src0=0 src1=0 src2=0
	s_delay_alu instid0(VALU_DEP_1)
	v_add_f32_e32 v38 /*v294*/, v3, v5
.LBB199_213:                            ;   in Loop: Header=BB199_145 Depth=1
	s_and_b32 vcc_lo, exec_lo, s13
	s_set_vgpr_msb 0                        ;  msbs: dst=0 src0=0 src1=0 src2=0
	s_cbranch_vccz .LBB199_217
; %bb.214:                              ;   in Loop: Header=BB199_145 Depth=1
	s_load_b32 s13, s[22:23], 0x0
	v_mov_b32_e32 v5, v2
	s_wait_kmcnt 0x0
	s_cmp_lt_u32 s12, s13
	s_cselect_b32 s18, 12, 18
	s_delay_alu instid0(SALU_CYCLE_1)
	s_add_nc_u64 s[26:27], s[22:23], s[18:19]
	s_load_u16 s13, s[26:27], 0x0
	s_wait_kmcnt 0x0
	s_set_vgpr_msb 16                       ;  msbs: dst=0 src0=0 src1=0 src2=1
	v_mad_u32_u24 v3, v1, s13, v50 /*v306*/
	s_mov_b32 s13, exec_lo
	s_delay_alu instid0(VALU_DEP_1) | instskip(SKIP_1) | instid1(VALU_DEP_1)
	v_dual_mov_b32 v3, 0 :: v_dual_bitop2_b32 v4, 31, v3 bitop3:0x40
	s_set_vgpr_msb 1                        ;  msbs: dst=0 src0=1 src1=0 src2=0
	v_add_nc_u64_e32 v[4:5], v[36:37] /*v[292:293]*/, v[4:5]
	s_delay_alu instid0(VALU_DEP_1)
	v_cmpx_gt_i64_e64 s[4:5], v[4:5]
	s_set_vgpr_msb 0                        ;  msbs: dst=0 src0=0 src1=0 src2=0
	s_cbranch_execz .LBB199_216
; %bb.215:                              ;   in Loop: Header=BB199_145 Depth=1
	v_lshl_add_u64 v[4:5], v[4:5], 2, s[14:15]
	global_load_b32 v3, v[4:5], off
.LBB199_216:                            ;   in Loop: Header=BB199_145 Depth=1
	s_wait_xcnt 0x0
	s_or_b32 exec_lo, exec_lo, s13
	v_add_nc_u64_e32 v[4:5], v[164:165], v[162:163]
	v_add_nc_u64_e32 v[6:7], v[166:167], v[162:163]
	;; [unrolled: 1-line block ×7, first 2 shown]
	global_load_u16 v20, v[4:5], off
	global_load_u16 v21, v[6:7], off
	s_wait_xcnt 0x1
	v_add_nc_u64_e32 v[4:5], v[44:45], v[162:163]
	global_load_u16 v22, v[8:9], off
	global_load_u16 v23, v[10:11], off
	s_wait_xcnt 0x2
	v_add_nc_u64_e32 v[6:7], v[42:43], v[162:163]
	s_wait_xcnt 0x1
	v_add_nc_u64_e32 v[8:9], v[46:47], v[162:163]
	;; [unrolled: 2-line block ×3, first 2 shown]
	global_load_u16 v24, v[12:13], off
	global_load_u16 v25, v[4:5], off
	s_wait_xcnt 0x0
	v_add_nc_u64_e32 v[4:5], v[48:49], v[162:163]
	global_load_u16 v26, v[6:7], off
	global_load_u16 v27, v[8:9], off
	s_wait_xcnt 0x1
	v_add_nc_u64_e32 v[6:7], v[52:53], v[162:163]
	s_wait_xcnt 0x0
	v_add_nc_u64_e32 v[8:9], v[54:55], v[162:163]
	global_load_u16 v28, v[4:5], off
	global_load_u16 v29, v[10:11], off
	s_wait_xcnt 0x1
	v_add_nc_u64_e32 v[4:5], v[56:57], v[162:163]
	;; [unrolled: 6-line block ×5, first 2 shown]
	s_wait_xcnt 0x0
	v_add_nc_u64_e32 v[8:9], v[70:71], v[162:163]
	s_set_vgpr_msb 64                       ;  msbs: dst=1 src0=0 src1=0 src2=0
	global_load_u16 v36 /*v292*/, v[4:5], off
	global_load_u16 v37 /*v293*/, v[10:11], off
	s_wait_xcnt 0x1
	s_set_vgpr_msb 0                        ;  msbs: dst=0 src0=0 src1=0 src2=0
	v_add_nc_u64_e32 v[4:5], v[72:73], v[162:163]
	s_wait_xcnt 0x0
	v_add_nc_u64_e32 v[10:11], v[74:75], v[162:163]
	s_set_vgpr_msb 64                       ;  msbs: dst=1 src0=0 src1=0 src2=0
	global_load_u16 v38 /*v294*/, v[6:7], off
	global_load_u16 v39 /*v295*/, v[8:9], off
	s_wait_xcnt 0x1
	s_set_vgpr_msb 0                        ;  msbs: dst=0 src0=0 src1=0 src2=0
	v_add_nc_u64_e32 v[6:7], v[76:77], v[162:163]
	;; [unrolled: 8-line block ×4, first 2 shown]
	v_add_nc_u64_e32 v[12:13], v[88:89], v[162:163]
	s_wait_xcnt 0x0
	v_add_nc_u64_e32 v[8:9], v[86:87], v[162:163]
	s_set_vgpr_msb 64                       ;  msbs: dst=1 src0=0 src1=0 src2=0
	global_load_u16 v44 /*v300*/, v[4:5], off
	global_load_u16 v45 /*v301*/, v[10:11], off
	s_wait_xcnt 0x1
	s_set_vgpr_msb 0                        ;  msbs: dst=0 src0=0 src1=0 src2=0
	v_add_nc_u64_e32 v[4:5], v[90:91], v[162:163]
	s_wait_xcnt 0x0
	v_add_nc_u64_e32 v[10:11], v[92:93], v[162:163]
	s_set_vgpr_msb 64                       ;  msbs: dst=1 src0=0 src1=0 src2=0
	global_load_u16 v46 /*v302*/, v[6:7], off
	global_load_u16 v47 /*v303*/, v[8:9], off
	;; [unrolled: 1-line block ×6, first 2 shown]
	s_wait_xcnt 0x5
	s_set_vgpr_msb 0                        ;  msbs: dst=0 src0=0 src1=0 src2=0
	v_add_nc_u64_e32 v[6:7], v[96:97], v[162:163]
	s_wait_xcnt 0x4
	v_add_nc_u64_e32 v[8:9], v[98:99], v[162:163]
	s_wait_xcnt 0x2
	v_add_nc_u64_e32 v[4:5], v[102:103], v[162:163]
	v_add_nc_u64_e32 v[12:13], v[104:105], v[162:163]
	s_set_vgpr_msb 64                       ;  msbs: dst=1 src0=0 src1=0 src2=0
	global_load_u16 v54 /*v310*/, v[6:7], off
	global_load_u16 v55 /*v311*/, v[8:9], off
	;; [unrolled: 1-line block ×3, first 2 shown]
	s_set_vgpr_msb 0                        ;  msbs: dst=0 src0=0 src1=0 src2=0
	v_add_nc_u64_e32 v[18:19], v[106:107], v[162:163]
	s_wait_xcnt 0x4
	v_add_nc_u64_e32 v[10:11], v[108:109], v[162:163]
	s_wait_xcnt 0x3
	;; [unrolled: 2-line block ×3, first 2 shown]
	v_add_nc_u64_e32 v[8:9], v[116:117], v[162:163]
	global_load_u16 v16, v[4:5], off
	global_load_u16 v17, v[12:13], off
	s_set_vgpr_msb 64                       ;  msbs: dst=1 src0=0 src1=0 src2=0
	global_load_u16 v57 /*v313*/, v[18:19], off
	s_set_vgpr_msb 0                        ;  msbs: dst=0 src0=0 src1=0 src2=0
	v_add_nc_u64_e32 v[6:7], v[112:113], v[162:163]
	s_wait_xcnt 0x1
	v_add_nc_u64_e32 v[12:13], v[118:119], v[162:163]
	v_add_nc_u64_e32 v[4:5], v[114:115], v[162:163]
	global_load_u16 v18, v[10:11], off
	global_load_u16 v19, v[14:15], off
	s_set_vgpr_msb 64                       ;  msbs: dst=1 src0=0 src1=0 src2=0
	global_load_u16 v58 /*v314*/, v[8:9], off
	s_set_vgpr_msb 0                        ;  msbs: dst=0 src0=0 src1=0 src2=0
	global_load_u16 v14, v[6:7], off
	global_load_u16 v15, v[12:13], off
	s_set_vgpr_msb 64                       ;  msbs: dst=1 src0=0 src1=0 src2=0
	global_load_u16 v59 /*v315*/, v[4:5], off
	s_wait_xcnt 0x3
	s_set_vgpr_msb 0                        ;  msbs: dst=0 src0=0 src1=0 src2=0
	v_add_nc_u64_e32 v[8:9], v[124:125], v[162:163]
	s_wait_xcnt 0x0
	v_add_nc_u64_e32 v[4:5], v[120:121], v[162:163]
	v_add_nc_u64_e32 v[6:7], v[126:127], v[162:163]
	;; [unrolled: 1-line block ×3, first 2 shown]
	s_wait_loadcnt 0x2c
	ds_bpermute_b32 v12, v2, v3 offset:32
	s_set_vgpr_msb 64                       ;  msbs: dst=1 src0=0 src1=0 src2=0
	ds_bpermute_b32 v80 /*v336*/, v2, v3 offset:40
	global_load_u16 v60 /*v316*/, v[8:9], off
	s_wait_xcnt 0x0
	s_set_vgpr_msb 0                        ;  msbs: dst=0 src0=0 src1=0 src2=0
	v_add_nc_u64_e32 v[8:9], v[132:133], v[162:163]
	s_set_vgpr_msb 64                       ;  msbs: dst=1 src0=0 src1=0 src2=0
	global_load_u16 v61 /*v317*/, v[4:5], off
	global_load_u16 v62 /*v318*/, v[6:7], off
	global_load_u16 v63 /*v319*/, v[10:11], off
	s_wait_xcnt 0x2
	s_set_vgpr_msb 0                        ;  msbs: dst=0 src0=0 src1=0 src2=0
	v_add_nc_u64_e32 v[4:5], v[128:129], v[162:163]
	s_wait_xcnt 0x1
	v_add_nc_u64_e32 v[6:7], v[134:135], v[162:163]
	s_wait_xcnt 0x0
	v_add_nc_u64_e32 v[10:11], v[130:131], v[162:163]
	s_set_vgpr_msb 64                       ;  msbs: dst=1 src0=0 src1=0 src2=0
	global_load_u16 v64 /*v320*/, v[8:9], off
	global_load_u16 v65 /*v321*/, v[4:5], off
	global_load_u16 v66 /*v322*/, v[6:7], off
	global_load_u16 v67 /*v323*/, v[10:11], off
	s_wait_xcnt 0x3
	s_set_vgpr_msb 0                        ;  msbs: dst=0 src0=0 src1=0 src2=0
	v_add_nc_u64_e32 v[8:9], v[140:141], v[162:163]
	s_wait_xcnt 0x2
	v_add_nc_u64_e32 v[4:5], v[136:137], v[162:163]
	s_wait_xcnt 0x1
	v_add_nc_u64_e32 v[6:7], v[142:143], v[162:163]
	s_wait_xcnt 0x0
	v_add_nc_u64_e32 v[10:11], v[138:139], v[162:163]
	s_set_vgpr_msb 64                       ;  msbs: dst=1 src0=0 src1=0 src2=0
	global_load_u16 v68 /*v324*/, v[8:9], off
	global_load_u16 v69 /*v325*/, v[4:5], off
	global_load_u16 v70 /*v326*/, v[6:7], off
	global_load_u16 v71 /*v327*/, v[10:11], off
	s_wait_xcnt 0x3
	s_set_vgpr_msb 0                        ;  msbs: dst=0 src0=0 src1=0 src2=0
	v_add_nc_u64_e32 v[8:9], v[150:151], v[162:163]
	s_wait_xcnt 0x2
	;; [unrolled: 14-line block ×3, first 2 shown]
	v_add_nc_u64_e32 v[6:7], v[154:155], v[162:163]
	v_add_nc_u64_e32 v[8:9], v[160:161], v[162:163]
	s_wait_xcnt 0x0
	v_add_nc_u64_e32 v[10:11], v[156:157], v[162:163]
	s_set_vgpr_msb 64                       ;  msbs: dst=1 src0=0 src1=0 src2=0
	global_load_u16 v76 /*v332*/, v[4:5], off
	global_load_u16 v77 /*v333*/, v[6:7], off
	global_load_u16 v78 /*v334*/, v[8:9], off
	global_load_u16 v79 /*v335*/, v[10:11], off
	s_wait_xcnt 0x3
	s_set_vgpr_msb 0                        ;  msbs: dst=0 src0=0 src1=0 src2=0
	ds_bpermute_b32 v4, v2, v3
	ds_bpermute_b32 v5, v2, v3 offset:4
	s_wait_xcnt 0x2
	ds_bpermute_b32 v6, v2, v3 offset:8
	ds_bpermute_b32 v7, v2, v3 offset:12
	s_wait_xcnt 0x1
	ds_bpermute_b32 v8, v2, v3 offset:16
	;; [unrolled: 3-line block ×3, first 2 shown]
	ds_bpermute_b32 v11, v2, v3 offset:28
	s_wait_loadcnt 0x3e
	v_dual_lshlrev_b32 v13, 16, v20 :: v_dual_lshlrev_b32 v20, 16, v21
	s_wait_loadcnt 0x3c
	v_dual_lshlrev_b32 v22, 16, v22 :: v_dual_lshlrev_b32 v23, 16, v23
	ds_bpermute_b32 v21, v2, v3 offset:36
	v_mul_f32_e32 v13, v13, v20
	s_wait_loadcnt 0x3b
	v_dual_lshlrev_b32 v24, 16, v24 :: v_dual_mul_f32 v22, v22, v23
	s_wait_loadcnt 0x3a
	v_lshlrev_b32_e32 v25, 16, v25
	ds_bpermute_b32 v20, v2, v3 offset:44
	s_wait_dscnt 0x9
	s_set_vgpr_msb 64                       ;  msbs: dst=1 src0=0 src1=0 src2=0
	v_fmac_f32_e32 v51 /*v307*/, v13, v4
	s_wait_loadcnt 0x38
	s_set_vgpr_msb 0                        ;  msbs: dst=0 src0=0 src1=0 src2=0
	v_dual_lshlrev_b32 v4, 16, v26 :: v_dual_lshlrev_b32 v23, 16, v27
	v_mul_f32_e32 v24, v24, v25
	ds_bpermute_b32 v13, v2, v3 offset:48
	s_wait_dscnt 0x9
	s_set_vgpr_msb 64                       ;  msbs: dst=1 src0=0 src1=0 src2=0
	v_fmac_f32_e32 v51 /*v307*/, v22, v5
	s_wait_loadcnt 0x36
	s_set_vgpr_msb 0                        ;  msbs: dst=0 src0=0 src1=0 src2=0
	v_dual_lshlrev_b32 v5, 16, v28 :: v_dual_lshlrev_b32 v25, 16, v29
	v_mul_f32_e32 v4, v4, v23
	;; [unrolled: 8-line block ×5, first 2 shown]
	ds_bpermute_b32 v24, v2, v3 offset:64
	s_wait_dscnt 0x9
	s_set_vgpr_msb 64                       ;  msbs: dst=1 src0=0 src1=0 src2=0
	v_fmac_f32_e32 v51 /*v307*/, v6, v9
	s_wait_loadcnt 0x2e
	s_set_vgpr_msb 4                        ;  msbs: dst=0 src0=0 src1=1 src2=0
	v_dual_lshlrev_b32 v6, 16, v36 /*v292*/ :: v_dual_lshlrev_b32 v7, 16, v37 /*v293*/
	s_set_vgpr_msb 0                        ;  msbs: dst=0 src0=0 src1=0 src2=0
	v_mul_f32_e32 v5, v5, v8
	ds_bpermute_b32 v9, v2, v3 offset:68
	s_wait_dscnt 0x9
	s_set_vgpr_msb 64                       ;  msbs: dst=1 src0=0 src1=0 src2=0
	v_fmac_f32_e32 v51 /*v307*/, v4, v10
	s_wait_loadcnt 0x2c
	s_set_vgpr_msb 4                        ;  msbs: dst=0 src0=0 src1=1 src2=0
	v_dual_lshlrev_b32 v4, 16, v38 /*v294*/ :: v_dual_lshlrev_b32 v8, 16, v39 /*v295*/
	s_set_vgpr_msb 0                        ;  msbs: dst=0 src0=0 src1=0 src2=0
	v_mul_f32_e32 v6, v6, v7
	;; [unrolled: 9-line block ×3, first 2 shown]
	ds_bpermute_b32 v27, v2, v3 offset:76
	s_set_vgpr_msb 64                       ;  msbs: dst=1 src0=0 src1=0 src2=0
	v_fmac_f32_e32 v51 /*v307*/, v6, v12
	s_wait_loadcnt 0x28
	s_set_vgpr_msb 4                        ;  msbs: dst=0 src0=0 src1=1 src2=0
	v_dual_lshlrev_b32 v6, 16, v42 /*v298*/ :: v_dual_lshlrev_b32 v10, 16, v43 /*v299*/
	s_set_vgpr_msb 0                        ;  msbs: dst=0 src0=0 src1=0 src2=0
	v_mul_f32_e32 v7, v5, v7
	s_wait_loadcnt 0x25
	s_set_vgpr_msb 4                        ;  msbs: dst=0 src0=0 src1=1 src2=0
	v_lshlrev_b32_e32 v12, 16, v46 /*v302*/
	s_wait_dscnt 0x9
	s_set_vgpr_msb 64                       ;  msbs: dst=1 src0=0 src1=0 src2=0
	v_fmac_f32_e32 v51 /*v307*/, v8, v21
	s_set_vgpr_msb 4                        ;  msbs: dst=0 src0=0 src1=1 src2=0
	v_dual_lshlrev_b32 v8, 16, v44 /*v300*/ :: v_dual_lshlrev_b32 v11, 16, v45 /*v301*/
	s_set_vgpr_msb 0                        ;  msbs: dst=0 src0=0 src1=0 src2=0
	v_mul_f32_e32 v10, v6, v10
	s_wait_loadcnt 0x24
	s_set_vgpr_msb 4                        ;  msbs: dst=0 src0=0 src1=1 src2=0
	v_lshlrev_b32_e32 v21, 16, v47 /*v303*/
	s_set_vgpr_msb 0x44                     ;  msbs: dst=1 src0=0 src1=1 src2=0
	v_fmac_f32_e32 v51 /*v307*/, v7, v80 /*v336*/
	s_set_vgpr_msb 0                        ;  msbs: dst=0 src0=0 src1=0 src2=0
	ds_bpermute_b32 v4, v2, v3 offset:80
	ds_bpermute_b32 v5, v2, v3 offset:84
	;; [unrolled: 1-line block ×4, first 2 shown]
	s_wait_dscnt 0xc
	s_set_vgpr_msb 64                       ;  msbs: dst=1 src0=0 src1=0 src2=0
	v_fmac_f32_e32 v51 /*v307*/, v10, v20
	s_wait_loadcnt 0x23
	s_set_vgpr_msb 4                        ;  msbs: dst=0 src0=0 src1=1 src2=0
	v_lshlrev_b32_e32 v10, 16, v48 /*v304*/
	s_set_vgpr_msb 0                        ;  msbs: dst=0 src0=0 src1=0 src2=0
	v_mul_f32_e32 v8, v8, v11
	s_wait_loadcnt 0x22
	s_set_vgpr_msb 4                        ;  msbs: dst=0 src0=0 src1=1 src2=0
	v_lshlrev_b32_e32 v11, 16, v49 /*v305*/
	s_wait_loadcnt 0x20
	v_lshlrev_b32_e32 v20, 16, v53 /*v309*/
	s_wait_loadcnt 0x19
	s_set_vgpr_msb 0                        ;  msbs: dst=0 src0=0 src1=0 src2=0
	v_dual_lshlrev_b32 v18, 16, v18 :: v_dual_mul_f32 v10, v10, v11
	s_wait_dscnt 0xb
	s_set_vgpr_msb 64                       ;  msbs: dst=1 src0=0 src1=0 src2=0
	v_fmac_f32_e32 v51 /*v307*/, v8, v13
	s_set_vgpr_msb 4                        ;  msbs: dst=0 src0=0 src1=1 src2=0
	v_lshlrev_b32_e32 v13, 16, v52 /*v308*/
	s_set_vgpr_msb 0                        ;  msbs: dst=0 src0=0 src1=0 src2=0
	v_mul_f32_e32 v12, v12, v21
	s_set_vgpr_msb 4                        ;  msbs: dst=0 src0=0 src1=1 src2=0
	v_dual_lshlrev_b32 v11, 16, v54 /*v310*/ :: v_dual_lshlrev_b32 v21, 16, v56 /*v312*/
	s_set_vgpr_msb 0                        ;  msbs: dst=0 src0=0 src1=0 src2=0
	ds_bpermute_b32 v8, v2, v3 offset:96
	v_mul_f32_e32 v13, v13, v20
	s_wait_dscnt 0xb
	s_set_vgpr_msb 64                       ;  msbs: dst=1 src0=0 src1=0 src2=0
	v_fmac_f32_e32 v51 /*v307*/, v12, v22
	s_set_vgpr_msb 4                        ;  msbs: dst=0 src0=0 src1=1 src2=0
	v_lshlrev_b32_e32 v12, 16, v55 /*v311*/
	s_wait_dscnt 0xa
	s_set_vgpr_msb 64                       ;  msbs: dst=1 src0=0 src1=0 src2=0
	v_fmac_f32_e32 v51 /*v307*/, v10, v23
	s_set_vgpr_msb 0                        ;  msbs: dst=0 src0=0 src1=0 src2=0
	v_dual_lshlrev_b32 v10, 16, v16 :: v_dual_lshlrev_b32 v16, 16, v17
	v_mul_f32_e32 v12, v11, v12
	s_set_vgpr_msb 4                        ;  msbs: dst=0 src0=0 src1=1 src2=0
	v_lshlrev_b32_e32 v17, 16, v57 /*v313*/
	s_wait_dscnt 0x9
	s_set_vgpr_msb 64                       ;  msbs: dst=1 src0=0 src1=0 src2=0
	v_fmac_f32_e32 v51 /*v307*/, v13, v25
	s_wait_loadcnt 0x18
	s_set_vgpr_msb 0                        ;  msbs: dst=0 src0=0 src1=0 src2=0
	v_dual_mul_f32 v20, v21, v10 :: v_dual_lshlrev_b32 v19, 16, v19
	s_wait_loadcnt 0x17
	s_set_vgpr_msb 4                        ;  msbs: dst=0 src0=0 src1=1 src2=0
	v_lshlrev_b32_e32 v11, 16, v58 /*v314*/
	s_wait_loadcnt 0x15
	s_set_vgpr_msb 0                        ;  msbs: dst=0 src0=0 src1=0 src2=0
	v_dual_lshlrev_b32 v10, 16, v14 :: v_dual_lshlrev_b32 v13, 16, v15
	s_wait_dscnt 0x8
	s_set_vgpr_msb 64                       ;  msbs: dst=1 src0=0 src1=0 src2=0
	v_fmac_f32_e32 v51 /*v307*/, v12, v24
	s_wait_loadcnt 0x14
	s_set_vgpr_msb 4                        ;  msbs: dst=0 src0=0 src1=1 src2=0
	v_lshlrev_b32_e32 v12, 16, v59 /*v315*/
	s_set_vgpr_msb 0                        ;  msbs: dst=0 src0=0 src1=0 src2=0
	v_dual_mul_f32 v14, v16, v17 :: v_dual_mul_f32 v16, v18, v19
	s_wait_loadcnt 0x13
	s_set_vgpr_msb 4                        ;  msbs: dst=0 src0=0 src1=1 src2=0
	v_lshlrev_b32_e32 v15, 16, v60 /*v316*/
	s_wait_dscnt 0x7
	s_set_vgpr_msb 64                       ;  msbs: dst=1 src0=0 src1=0 src2=0
	v_fmac_f32_e32 v51 /*v307*/, v20, v9
	s_set_vgpr_msb 0                        ;  msbs: dst=0 src0=0 src1=0 src2=0
	ds_bpermute_b32 v9, v2, v3 offset:100
	v_pk_mul_f32 v[10:11], v[10:11], v[12:13]
	s_wait_loadcnt 0x10
	s_set_vgpr_msb 4                        ;  msbs: dst=0 src0=0 src1=1 src2=0
	v_dual_lshlrev_b32 v13, 16, v62 /*v318*/ :: v_dual_lshlrev_b32 v12, 16, v63 /*v319*/
	s_wait_dscnt 0x7
	s_set_vgpr_msb 64                       ;  msbs: dst=1 src0=0 src1=0 src2=0
	v_fmac_f32_e32 v51 /*v307*/, v14, v26
	s_set_vgpr_msb 4                        ;  msbs: dst=0 src0=0 src1=1 src2=0
	v_lshlrev_b32_e32 v14, 16, v61 /*v317*/
	s_wait_dscnt 0x4
	s_set_vgpr_msb 0                        ;  msbs: dst=0 src0=0 src1=0 src2=0
	v_pk_mul_f32 v[4:5], v[10:11], v[4:5]
	s_wait_loadcnt 0xf
	s_set_vgpr_msb 4                        ;  msbs: dst=0 src0=0 src1=1 src2=0
	v_lshlrev_b32_e32 v17, 16, v64 /*v320*/
	s_set_vgpr_msb 0                        ;  msbs: dst=0 src0=0 src1=0 src2=0
	ds_bpermute_b32 v10, v2, v3 offset:104
	s_set_vgpr_msb 64                       ;  msbs: dst=1 src0=0 src1=0 src2=0
	v_fmac_f32_e32 v51 /*v307*/, v16, v27
	s_set_vgpr_msb 0                        ;  msbs: dst=0 src0=0 src1=0 src2=0
	v_pk_mul_f32 v[12:13], v[14:15], v[12:13]
	s_wait_loadcnt 0xd
	s_set_vgpr_msb 4                        ;  msbs: dst=0 src0=0 src1=1 src2=0
	v_dual_lshlrev_b32 v16, 16, v65 /*v321*/ :: v_dual_lshlrev_b32 v15, 16, v66 /*v322*/
	s_wait_loadcnt 0xc
	v_lshlrev_b32_e32 v14, 16, v67 /*v323*/
	s_set_vgpr_msb 1                        ;  msbs: dst=0 src0=1 src1=0 src2=0
	v_add_f32_e32 v4, v51 /*v307*/, v4
	s_set_vgpr_msb 0                        ;  msbs: dst=0 src0=0 src1=0 src2=0
	ds_bpermute_b32 v11, v2, v3 offset:108
	s_wait_dscnt 0x4
	v_pk_mul_f32 v[6:7], v[12:13], v[6:7]
	s_wait_loadcnt 0xb
	s_set_vgpr_msb 4                        ;  msbs: dst=0 src0=0 src1=1 src2=0
	v_lshlrev_b32_e32 v13, 16, v68 /*v324*/
	s_set_vgpr_msb 0                        ;  msbs: dst=0 src0=0 src1=0 src2=0
	v_pk_mul_f32 v[14:15], v[16:17], v[14:15]
	v_add_f32_e32 v12, v4, v5
	ds_bpermute_b32 v4, v2, v3 offset:112
	ds_bpermute_b32 v5, v2, v3 offset:116
	s_wait_loadcnt 0x8
	s_set_vgpr_msb 4                        ;  msbs: dst=0 src0=0 src1=1 src2=0
	v_dual_lshlrev_b32 v17, 16, v70 /*v326*/ :: v_dual_lshlrev_b32 v16, 16, v71 /*v327*/
	s_wait_dscnt 0x4
	s_set_vgpr_msb 0                        ;  msbs: dst=0 src0=0 src1=0 src2=0
	v_pk_mul_f32 v[8:9], v[14:15], v[8:9]
	v_add_f32_e32 v6, v12, v6
	s_wait_loadcnt 0x7
	s_set_vgpr_msb 4                        ;  msbs: dst=0 src0=0 src1=1 src2=0
	v_dual_lshlrev_b32 v12, 16, v69 /*v325*/ :: v_dual_lshlrev_b32 v15, 16, v72 /*v328*/
	s_wait_loadcnt 0x6
	v_lshlrev_b32_e32 v14, 16, v73 /*v329*/
	s_set_vgpr_msb 0                        ;  msbs: dst=0 src0=0 src1=0 src2=0
	v_add_f32_e32 v7, v6, v7
	v_pk_mul_f32 v[12:13], v[12:13], v[16:17]
	ds_bpermute_b32 v6, v2, v3 offset:120
	s_wait_loadcnt 0x4
	s_set_vgpr_msb 4                        ;  msbs: dst=0 src0=0 src1=1 src2=0
	v_dual_lshlrev_b32 v17, 16, v74 /*v330*/ :: v_dual_lshlrev_b32 v16, 16, v75 /*v331*/
	s_set_vgpr_msb 0                        ;  msbs: dst=0 src0=0 src1=0 src2=0
	v_add_f32_e32 v7, v7, v8
	s_wait_dscnt 0x3
	v_pk_mul_f32 v[10:11], v[12:13], v[10:11]
	s_wait_loadcnt 0x3
	s_set_vgpr_msb 4                        ;  msbs: dst=0 src0=0 src1=1 src2=0
	v_lshlrev_b32_e32 v13, 16, v76 /*v332*/
	s_set_vgpr_msb 0                        ;  msbs: dst=0 src0=0 src1=0 src2=0
	v_add_f32_e32 v12, v7, v9
	ds_bpermute_b32 v7, v2, v3 offset:124
	v_pk_mul_f32 v[8:9], v[14:15], v[16:17]
	s_wait_loadcnt 0x0
	s_set_vgpr_msb 4                        ;  msbs: dst=0 src0=0 src1=1 src2=0
	v_dual_lshlrev_b32 v15, 16, v78 /*v334*/ :: v_dual_lshlrev_b32 v14, 16, v79 /*v335*/
	s_set_vgpr_msb 0                        ;  msbs: dst=0 src0=0 src1=0 src2=0
	v_add_f32_e32 v3, v12, v10
	s_set_vgpr_msb 4                        ;  msbs: dst=0 src0=0 src1=1 src2=0
	v_lshlrev_b32_e32 v12, 16, v77 /*v333*/
	s_wait_dscnt 0x2
	s_set_vgpr_msb 0                        ;  msbs: dst=0 src0=0 src1=0 src2=0
	v_pk_mul_f32 v[4:5], v[8:9], v[4:5]
	v_add_f32_e32 v3, v3, v11
	v_pk_mul_f32 v[8:9], v[12:13], v[14:15]
	s_delay_alu instid0(VALU_DEP_2) | instskip(NEXT) | instid1(VALU_DEP_1)
	v_add_f32_e32 v3, v3, v4
	v_add_f32_e32 v3, v3, v5
	s_wait_dscnt 0x0
	s_delay_alu instid0(VALU_DEP_3) | instskip(NEXT) | instid1(VALU_DEP_1)
	v_pk_mul_f32 v[4:5], v[8:9], v[6:7]
	v_add_f32_e32 v3, v3, v4
	s_set_vgpr_msb 64                       ;  msbs: dst=1 src0=0 src1=0 src2=0
	s_delay_alu instid0(VALU_DEP_1)
	v_add_f32_e32 v38 /*v294*/, v3, v5
.LBB199_217:                            ;   in Loop: Header=BB199_145 Depth=1
	s_add_nc_u64 s[24:25], s[24:25], s[20:21]
	s_set_vgpr_msb 0                        ;  msbs: dst=0 src0=0 src1=0 src2=0
	v_add_nc_u64_e32 v[164:165], s[8:9], v[164:165]
	v_cmp_ge_i64_e64 s13, s[24:25], s[4:5]
	v_add_nc_u64_e32 v[166:167], s[8:9], v[166:167]
	v_add_nc_u64_e32 v[36:37], s[8:9], v[36:37]
	;; [unrolled: 1-line block ×108, first 2 shown]
	s_set_vgpr_msb 0x44                     ;  msbs: dst=1 src0=0 src1=1 src2=0
	v_add_nc_u64_e32 v[0:1] /*v[256:257]*/, s[8:9], v[0:1] /*v[256:257]*/
	v_add_nc_u64_e32 v[2:3] /*v[258:259]*/, s[8:9], v[2:3] /*v[258:259]*/
	;; [unrolled: 1-line block ×18, first 2 shown]
	s_and_b32 vcc_lo, exec_lo, s13
	s_add_nc_u64 s[10:11], s[10:11], s[20:21]
	s_set_vgpr_msb 0                        ;  msbs: dst=0 src0=0 src1=0 src2=0
	s_cbranch_vccnz .LBB199_219
; %bb.218:                              ;   in Loop: Header=BB199_145 Depth=1
	s_set_vgpr_msb 0x41                     ;  msbs: dst=1 src0=1 src1=0 src2=0
	v_mov_b32_e32 v51 /*v307*/, v38 /*v294*/
	s_set_vgpr_msb 0                        ;  msbs: dst=0 src0=0 src1=0 src2=0
	s_branch .LBB199_145
.LBB199_219:
	s_mov_b32 s13, 0
	s_delay_alu instid0(SALU_CYCLE_1)
	s_lshl_b64 s[4:5], s[12:13], 5
	s_wait_kmcnt 0x0
	s_cmp_lg_u64 s[2:3], 0
	v_and_or_b32 v2, 0x3ff, v0, s4
	v_mov_b32_e32 v3, s5
	s_cselect_b32 s4, -1, 0
	s_delay_alu instid0(VALU_DEP_1) | instskip(SKIP_1) | instid1(SALU_CYCLE_1)
	v_cmp_gt_i64_e32 vcc_lo, s[6:7], v[2:3]
	s_and_b32 s4, vcc_lo, s4
	s_and_saveexec_b32 s5, s4
	s_cbranch_execz .LBB199_221
; %bb.220:
	s_load_u16 s0, s[0:1], 0x4e
	s_set_vgpr_msb 1                        ;  msbs: dst=0 src0=1 src1=0 src2=0
	v_bfe_u32 v4, v38 /*v294*/, 16, 1
	s_set_vgpr_msb 0                        ;  msbs: dst=0 src0=0 src1=0 src2=0
	v_bfe_u32 v0, v0, 10, 10
	s_set_vgpr_msb 5                        ;  msbs: dst=0 src0=1 src1=1 src2=0
	v_cmp_o_f32_e32 vcc_lo, v38 /*v294*/, v38 /*v294*/
	s_set_vgpr_msb 1                        ;  msbs: dst=0 src0=1 src1=0 src2=0
	v_add3_u32 v4, v38 /*v294*/, v4, 0x7fff
	s_delay_alu instid0(VALU_DEP_1) | instskip(NEXT) | instid1(VALU_DEP_1)
	v_dual_mov_b32 v1, 0 :: v_dual_lshrrev_b32 v4, 16, v4
	v_cndmask_b32_e32 v4, 0x7fc0, v4, vcc_lo
	s_wait_kmcnt 0x0
	s_delay_alu instid0(VALU_DEP_2) | instskip(NEXT) | instid1(VALU_DEP_1)
	v_mad_nc_u64_u32 v[0:1], s0, s30, v[0:1]
	v_mul_u64_e32 v[0:1], s[6:7], v[0:1]
	s_set_vgpr_msb 0                        ;  msbs: dst=0 src0=0 src1=0 src2=0
	s_delay_alu instid0(VALU_DEP_1) | instskip(NEXT) | instid1(VALU_DEP_1)
	v_lshl_add_u64 v[0:1], v[0:1], 1, s[2:3]
	v_lshl_add_u64 v[0:1], v[2:3], 1, v[0:1]
	global_store_b16 v[0:1], v4, off
.LBB199_221:
	s_sendmsg sendmsg(MSG_DEALLOC_VGPRS)
	s_endpgm
	.section	.rodata,"a",@progbits
	.p2align	6, 0x0
	.amdhsa_kernel _ZN2at6native12_GLOBAL__N_135GammaBetaBackwardCUDAKernelTemplateIN3c108BFloat16EfLj32ELj1ELj32ELb1ELb0ELb1EEEvllPKT_S7_PKT0_SA_PS5_SB_
		.amdhsa_group_segment_fixed_size 0
		.amdhsa_private_segment_fixed_size 0
		.amdhsa_kernarg_size 320
		.amdhsa_user_sgpr_count 2
		.amdhsa_user_sgpr_dispatch_ptr 0
		.amdhsa_user_sgpr_queue_ptr 0
		.amdhsa_user_sgpr_kernarg_segment_ptr 1
		.amdhsa_user_sgpr_dispatch_id 0
		.amdhsa_user_sgpr_kernarg_preload_length 0
		.amdhsa_user_sgpr_kernarg_preload_offset 0
		.amdhsa_user_sgpr_private_segment_size 0
		.amdhsa_wavefront_size32 1
		.amdhsa_uses_dynamic_stack 0
		.amdhsa_enable_private_segment 0
		.amdhsa_system_sgpr_workgroup_id_x 1
		.amdhsa_system_sgpr_workgroup_id_y 1
		.amdhsa_system_sgpr_workgroup_id_z 0
		.amdhsa_system_sgpr_workgroup_info 0
		.amdhsa_system_vgpr_workitem_id 1
		.amdhsa_next_free_vgpr 337
		.amdhsa_next_free_sgpr 36
		.amdhsa_named_barrier_count 0
		.amdhsa_reserve_vcc 1
		.amdhsa_float_round_mode_32 0
		.amdhsa_float_round_mode_16_64 0
		.amdhsa_float_denorm_mode_32 3
		.amdhsa_float_denorm_mode_16_64 3
		.amdhsa_fp16_overflow 0
		.amdhsa_memory_ordered 1
		.amdhsa_forward_progress 1
		.amdhsa_inst_pref_size 152
		.amdhsa_round_robin_scheduling 0
		.amdhsa_exception_fp_ieee_invalid_op 0
		.amdhsa_exception_fp_denorm_src 0
		.amdhsa_exception_fp_ieee_div_zero 0
		.amdhsa_exception_fp_ieee_overflow 0
		.amdhsa_exception_fp_ieee_underflow 0
		.amdhsa_exception_fp_ieee_inexact 0
		.amdhsa_exception_int_div_zero 0
	.end_amdhsa_kernel
	.section	.text._ZN2at6native12_GLOBAL__N_135GammaBetaBackwardCUDAKernelTemplateIN3c108BFloat16EfLj32ELj1ELj32ELb1ELb0ELb1EEEvllPKT_S7_PKT0_SA_PS5_SB_,"axG",@progbits,_ZN2at6native12_GLOBAL__N_135GammaBetaBackwardCUDAKernelTemplateIN3c108BFloat16EfLj32ELj1ELj32ELb1ELb0ELb1EEEvllPKT_S7_PKT0_SA_PS5_SB_,comdat
.Lfunc_end199:
	.size	_ZN2at6native12_GLOBAL__N_135GammaBetaBackwardCUDAKernelTemplateIN3c108BFloat16EfLj32ELj1ELj32ELb1ELb0ELb1EEEvllPKT_S7_PKT0_SA_PS5_SB_, .Lfunc_end199-_ZN2at6native12_GLOBAL__N_135GammaBetaBackwardCUDAKernelTemplateIN3c108BFloat16EfLj32ELj1ELj32ELb1ELb0ELb1EEEvllPKT_S7_PKT0_SA_PS5_SB_
                                        ; -- End function
	.set _ZN2at6native12_GLOBAL__N_135GammaBetaBackwardCUDAKernelTemplateIN3c108BFloat16EfLj32ELj1ELj32ELb1ELb0ELb1EEEvllPKT_S7_PKT0_SA_PS5_SB_.num_vgpr, 337
	.set _ZN2at6native12_GLOBAL__N_135GammaBetaBackwardCUDAKernelTemplateIN3c108BFloat16EfLj32ELj1ELj32ELb1ELb0ELb1EEEvllPKT_S7_PKT0_SA_PS5_SB_.num_agpr, 0
	.set _ZN2at6native12_GLOBAL__N_135GammaBetaBackwardCUDAKernelTemplateIN3c108BFloat16EfLj32ELj1ELj32ELb1ELb0ELb1EEEvllPKT_S7_PKT0_SA_PS5_SB_.numbered_sgpr, 36
	.set _ZN2at6native12_GLOBAL__N_135GammaBetaBackwardCUDAKernelTemplateIN3c108BFloat16EfLj32ELj1ELj32ELb1ELb0ELb1EEEvllPKT_S7_PKT0_SA_PS5_SB_.num_named_barrier, 0
	.set _ZN2at6native12_GLOBAL__N_135GammaBetaBackwardCUDAKernelTemplateIN3c108BFloat16EfLj32ELj1ELj32ELb1ELb0ELb1EEEvllPKT_S7_PKT0_SA_PS5_SB_.private_seg_size, 0
	.set _ZN2at6native12_GLOBAL__N_135GammaBetaBackwardCUDAKernelTemplateIN3c108BFloat16EfLj32ELj1ELj32ELb1ELb0ELb1EEEvllPKT_S7_PKT0_SA_PS5_SB_.uses_vcc, 1
	.set _ZN2at6native12_GLOBAL__N_135GammaBetaBackwardCUDAKernelTemplateIN3c108BFloat16EfLj32ELj1ELj32ELb1ELb0ELb1EEEvllPKT_S7_PKT0_SA_PS5_SB_.uses_flat_scratch, 0
	.set _ZN2at6native12_GLOBAL__N_135GammaBetaBackwardCUDAKernelTemplateIN3c108BFloat16EfLj32ELj1ELj32ELb1ELb0ELb1EEEvllPKT_S7_PKT0_SA_PS5_SB_.has_dyn_sized_stack, 0
	.set _ZN2at6native12_GLOBAL__N_135GammaBetaBackwardCUDAKernelTemplateIN3c108BFloat16EfLj32ELj1ELj32ELb1ELb0ELb1EEEvllPKT_S7_PKT0_SA_PS5_SB_.has_recursion, 0
	.set _ZN2at6native12_GLOBAL__N_135GammaBetaBackwardCUDAKernelTemplateIN3c108BFloat16EfLj32ELj1ELj32ELb1ELb0ELb1EEEvllPKT_S7_PKT0_SA_PS5_SB_.has_indirect_call, 0
	.section	.AMDGPU.csdata,"",@progbits
; Kernel info:
; codeLenInByte = 19404
; TotalNumSgprs: 38
; NumVgprs: 337
; ScratchSize: 0
; MemoryBound: 0
; FloatMode: 240
; IeeeMode: 1
; LDSByteSize: 0 bytes/workgroup (compile time only)
; SGPRBlocks: 0
; VGPRBlocks: 21
; NumSGPRsForWavesPerEU: 38
; NumVGPRsForWavesPerEU: 337
; NamedBarCnt: 0
; Occupancy: 2
; WaveLimiterHint : 0
; COMPUTE_PGM_RSRC2:SCRATCH_EN: 0
; COMPUTE_PGM_RSRC2:USER_SGPR: 2
; COMPUTE_PGM_RSRC2:TRAP_HANDLER: 0
; COMPUTE_PGM_RSRC2:TGID_X_EN: 1
; COMPUTE_PGM_RSRC2:TGID_Y_EN: 1
; COMPUTE_PGM_RSRC2:TGID_Z_EN: 0
; COMPUTE_PGM_RSRC2:TIDIG_COMP_CNT: 1
	.section	.text._ZN2at6native12_GLOBAL__N_135GammaBetaBackwardCUDAKernelTemplateIN3c108BFloat16EfLj32ELj1ELj8ELb1ELb1ELb1EEEvllPKT_S7_PKT0_SA_PS5_SB_,"axG",@progbits,_ZN2at6native12_GLOBAL__N_135GammaBetaBackwardCUDAKernelTemplateIN3c108BFloat16EfLj32ELj1ELj8ELb1ELb1ELb1EEEvllPKT_S7_PKT0_SA_PS5_SB_,comdat
	.globl	_ZN2at6native12_GLOBAL__N_135GammaBetaBackwardCUDAKernelTemplateIN3c108BFloat16EfLj32ELj1ELj8ELb1ELb1ELb1EEEvllPKT_S7_PKT0_SA_PS5_SB_ ; -- Begin function _ZN2at6native12_GLOBAL__N_135GammaBetaBackwardCUDAKernelTemplateIN3c108BFloat16EfLj32ELj1ELj8ELb1ELb1ELb1EEEvllPKT_S7_PKT0_SA_PS5_SB_
	.p2align	8
	.type	_ZN2at6native12_GLOBAL__N_135GammaBetaBackwardCUDAKernelTemplateIN3c108BFloat16EfLj32ELj1ELj8ELb1ELb1ELb1EEEvllPKT_S7_PKT0_SA_PS5_SB_,@function
_ZN2at6native12_GLOBAL__N_135GammaBetaBackwardCUDAKernelTemplateIN3c108BFloat16EfLj32ELj1ELj8ELb1ELb1ELb1EEEvllPKT_S7_PKT0_SA_PS5_SB_: ; @_ZN2at6native12_GLOBAL__N_135GammaBetaBackwardCUDAKernelTemplateIN3c108BFloat16EfLj32ELj1ELj8ELb1ELb1ELb1EEEvllPKT_S7_PKT0_SA_PS5_SB_
; %bb.0:
	s_load_b128 s[4:7], s[0:1], 0x0
	s_bfe_u32 s2, ttmp6, 0x40010
	s_bfe_u32 s3, ttmp6, 0x40004
	s_add_co_i32 s2, s2, 1
	s_getreg_b32 s22, hwreg(HW_REG_IB_STS2, 6, 4)
	s_mul_i32 s2, ttmp7, s2
	s_mov_b32 s13, 0
	s_add_co_i32 s3, s3, s2
	s_cmp_eq_u32 s22, 0
	v_mov_b32_e32 v12, 0
	s_cselect_b32 s23, ttmp7, s3
	v_bfe_u32 v2, v0, 10, 10
	s_lshl_b32 s12, s23, 3
	v_and_b32_e32 v10, 0x3ff, v0
	s_wait_kmcnt 0x0
	v_cmp_le_i64_e64 s2, s[4:5], s[12:13]
	s_and_b32 vcc_lo, exec_lo, s2
	s_cbranch_vccnz .LBB200_7
; %bb.1:
	v_dual_mov_b32 v1, 0 :: v_dual_lshlrev_b32 v0, 3, v2
	s_load_b32 s2, s[0:1], 0x4c
	s_bfe_u32 s15, ttmp6, 0x4000c
	s_clause 0x2
	s_load_b32 s3, s[0:1], 0x44
	s_load_b128 s[8:11], s[0:1], 0x10
	s_load_b64 s[16:17], s[0:1], 0x28
	s_add_co_i32 s15, s15, 1
	v_add_nc_u64_e32 v[4:5], s[12:13], v[0:1]
	s_and_b32 s14, ttmp6, 15
	s_mul_i32 s15, ttmp9, s15
	v_dual_mov_b32 v11, 12 :: v_dual_mov_b32 v7, v1
	s_add_co_i32 s14, s14, s15
	s_mov_b32 s15, s13
	s_delay_alu instid0(VALU_DEP_2)
	v_mul_u64_e32 v[8:9], s[6:7], v[4:5]
	v_dual_mov_b32 v0, 8 :: v_dual_mov_b32 v3, 4
	v_dual_mov_b32 v13, 16 :: v_dual_mov_b32 v14, 20
	;; [unrolled: 1-line block ×3, first 2 shown]
	s_wait_kmcnt 0x0
	s_and_b32 s2, s2, 0xffff
	s_cmp_eq_u32 s22, 0
	v_mad_u32_u24 v6, v2, s2, v10
	s_cselect_b32 s2, ttmp9, s14
	v_mov_b32_e32 v17, v1
	v_lshl_or_b32 v16, s2, 5, v10
	s_lshl_b32 s14, s3, 3
	v_and_b32_e32 v6, 31, v6
	s_mul_u64 s[18:19], s[6:7], s[14:15]
	s_lshl_b64 s[20:21], s[6:7], 1
	v_lshlrev_b64_e32 v[18:19], 1, v[16:17]
	v_mov_b32_e32 v16, 28
	v_add_nc_u64_e32 v[4:5], v[4:5], v[6:7]
	v_cmp_gt_u32_e64 s2, 8, v6
	s_lshl_b64 s[18:19], s[18:19], 1
	v_lshl_add_u64 v[6:7], v[4:5], 2, s[16:17]
	s_lshl_b64 s[16:17], s[14:15], 2
	v_lshl_add_u64 v[8:9], v[8:9], 1, v[18:19]
	s_branch .LBB200_4
.LBB200_2:                              ;   in Loop: Header=BB200_4 Depth=1
	s_wait_xcnt 0x0
	s_or_b32 exec_lo, exec_lo, s24
.LBB200_3:                              ;   in Loop: Header=BB200_4 Depth=1
	s_delay_alu instid0(SALU_CYCLE_1)
	s_or_b32 exec_lo, exec_lo, s3
	v_add_nc_u64_e32 v[18:19], s[8:9], v[8:9]
	v_add_nc_u64_e32 v[20:21], s[10:11], v[8:9]
	s_add_nc_u64 s[12:13], s[12:13], s[14:15]
	v_add_nc_u64_e32 v[6:7], s[16:17], v[6:7]
	v_cmp_lt_i64_e64 s3, s[12:13], s[4:5]
	v_add_nc_u64_e32 v[4:5], s[14:15], v[4:5]
	v_add_nc_u64_e32 v[8:9], s[18:19], v[8:9]
	;; [unrolled: 1-line block ×4, first 2 shown]
	global_load_u16 v30, v[18:19], off
	global_load_u16 v31, v[20:21], off
	;; [unrolled: 1-line block ×4, first 2 shown]
	s_and_b32 vcc_lo, exec_lo, s3
	v_add_nc_u64_e32 v[26:27], s[20:21], v[22:23]
	v_add_nc_u64_e32 v[28:29], s[20:21], v[24:25]
	global_load_u16 v34, v[26:27], off
	global_load_u16 v35, v[28:29], off
	s_wait_xcnt 0x5
	v_add_nc_u64_e32 v[18:19], s[20:21], v[26:27]
	s_wait_xcnt 0x4
	v_add_nc_u64_e32 v[20:21], s[20:21], v[28:29]
	global_load_u16 v27, v[18:19], off
	global_load_u16 v28, v[20:21], off
	v_add_nc_u64_e32 v[22:23], s[20:21], v[18:19]
	v_add_nc_u64_e32 v[24:25], s[20:21], v[20:21]
	global_load_u16 v29, v[22:23], off
	global_load_u16 v36, v[24:25], off
	s_wait_xcnt 0x3
	v_add_nc_u64_e32 v[18:19], s[20:21], v[22:23]
	s_wait_xcnt 0x2
	v_add_nc_u64_e32 v[20:21], s[20:21], v[24:25]
	global_load_u16 v37, v[18:19], off
	global_load_u16 v38, v[20:21], off
	s_wait_xcnt 0x3
	v_add_nc_u64_e32 v[22:23], s[20:21], v[18:19]
	s_wait_xcnt 0x2
	v_add_nc_u64_e32 v[24:25], s[20:21], v[20:21]
	s_wait_xcnt 0x1
	s_delay_alu instid0(VALU_DEP_2) | instskip(SKIP_1) | instid1(VALU_DEP_2)
	v_add_nc_u64_e32 v[18:19], s[20:21], v[22:23]
	s_wait_xcnt 0x0
	v_add_nc_u64_e32 v[20:21], s[20:21], v[24:25]
	global_load_u16 v39, v[22:23], off
	global_load_u16 v40, v[24:25], off
	;; [unrolled: 1-line block ×4, first 2 shown]
	s_wait_loadcnt 0x10
	s_wait_xcnt 0x1
	ds_bpermute_b32 v18, v1, v17
	ds_bpermute_b32 v19, v3, v17
	;; [unrolled: 1-line block ×4, first 2 shown]
	s_wait_loadcnt 0xe
	s_wait_xcnt 0x0
	v_dual_lshlrev_b32 v20, 16, v30 :: v_dual_lshlrev_b32 v22, 16, v31
	s_wait_loadcnt 0xc
	v_dual_lshlrev_b32 v21, 16, v32 :: v_dual_lshlrev_b32 v23, 16, v33
	s_delay_alu instid0(VALU_DEP_1) | instskip(SKIP_3) | instid1(VALU_DEP_2)
	v_pk_mul_f32 v[20:21], v[20:21], v[22:23]
	s_wait_loadcnt 0xa
	v_dual_lshlrev_b32 v22, 16, v34 :: v_dual_lshlrev_b32 v26, 16, v35
	s_wait_dscnt 0x2
	v_pk_mul_f32 v[18:19], v[20:21], v[18:19]
	ds_bpermute_b32 v20, v13, v17
	ds_bpermute_b32 v21, v14, v17
	s_wait_loadcnt 0x9
	v_dual_add_f32 v12, v12, v18 :: v_dual_lshlrev_b32 v23, 16, v27
	s_wait_loadcnt 0x8
	v_lshlrev_b32_e32 v27, 16, v28
	ds_bpermute_b32 v18, v15, v17
	v_pk_mul_f32 v[22:23], v[22:23], v[26:27]
	s_wait_loadcnt 0x7
	v_dual_lshlrev_b32 v26, 16, v29 :: v_dual_add_f32 v12, v12, v19
	ds_bpermute_b32 v19, v16, v17
	s_wait_dscnt 0x4
	v_pk_mul_f32 v[22:23], v[22:23], v[24:25]
	s_wait_loadcnt 0x5
	v_dual_lshlrev_b32 v24, 16, v36 :: v_dual_lshlrev_b32 v27, 16, v37
	s_wait_loadcnt 0x4
	v_lshlrev_b32_e32 v25, 16, v38
	v_add_f32_e32 v12, v12, v22
	s_delay_alu instid0(VALU_DEP_2)
	v_pk_mul_f32 v[24:25], v[26:27], v[24:25]
	s_wait_loadcnt 0x3
	v_lshlrev_b32_e32 v22, 16, v39
	s_wait_loadcnt 0x2
	v_dual_add_f32 v12, v12, v23 :: v_dual_lshlrev_b32 v26, 16, v40
	s_wait_dscnt 0x2
	v_pk_mul_f32 v[20:21], v[24:25], v[20:21]
	s_wait_loadcnt 0x0
	v_dual_lshlrev_b32 v23, 16, v41 :: v_dual_lshlrev_b32 v27, 16, v42
	s_delay_alu instid0(VALU_DEP_2) | instskip(NEXT) | instid1(VALU_DEP_2)
	v_add_f32_e32 v12, v12, v20
	v_pk_mul_f32 v[22:23], v[22:23], v[26:27]
	s_delay_alu instid0(VALU_DEP_2) | instskip(SKIP_1) | instid1(VALU_DEP_2)
	v_add_f32_e32 v12, v12, v21
	s_wait_dscnt 0x0
	v_pk_mul_f32 v[18:19], v[22:23], v[18:19]
	s_delay_alu instid0(VALU_DEP_1) | instskip(NEXT) | instid1(VALU_DEP_1)
	v_add_f32_e32 v12, v12, v18
	v_add_f32_e32 v12, v12, v19
	s_cbranch_vccz .LBB200_7
.LBB200_4:                              ; =>This Inner Loop Header: Depth=1
	v_mov_b32_e32 v17, 0
	s_and_saveexec_b32 s3, s2
	s_cbranch_execz .LBB200_3
; %bb.5:                                ;   in Loop: Header=BB200_4 Depth=1
	v_mov_b32_e32 v17, 0
	s_mov_b32 s24, exec_lo
	v_cmpx_gt_i64_e64 s[4:5], v[4:5]
	s_cbranch_execz .LBB200_2
; %bb.6:                                ;   in Loop: Header=BB200_4 Depth=1
	global_load_b32 v17, v[6:7], off
	s_branch .LBB200_2
.LBB200_7:
	s_load_b64 s[2:3], s[0:1], 0x30
	s_wait_kmcnt 0x0
	s_cmp_eq_u64 s[2:3], 0
	s_cbranch_scc1 .LBB200_9
; %bb.8:
	s_load_u16 s0, s[0:1], 0x4e
	v_mov_b32_e32 v3, 0
	s_and_b32 s4, ttmp6, 15
	s_wait_xcnt 0x0
	s_mov_b32 s1, 0
	v_cmp_o_f32_e32 vcc_lo, v12, v12
	s_wait_kmcnt 0x0
	v_mad_nc_u64_u32 v[0:1], s0, s23, v[2:3]
	s_bfe_u32 s0, ttmp6, 0x4000c
	v_bfe_u32 v2, v12, 16, 1
	s_add_co_i32 s0, s0, 1
	s_delay_alu instid0(SALU_CYCLE_1) | instskip(NEXT) | instid1(SALU_CYCLE_1)
	s_mul_i32 s0, ttmp9, s0
	s_add_co_i32 s4, s4, s0
	s_cmp_eq_u32 s22, 0
	v_add3_u32 v4, v12, v2, 0x7fff
	s_cselect_b32 s0, ttmp9, s4
	s_delay_alu instid0(VALU_DEP_3) | instskip(SKIP_1) | instid1(VALU_DEP_2)
	v_mul_u64_e32 v[0:1], s[6:7], v[0:1]
	s_lshl_b64 s[0:1], s[0:1], 6
	v_dual_lshlrev_b32 v2, 1, v10 :: v_dual_lshrrev_b32 v4, 16, v4
	s_delay_alu instid0(VALU_DEP_2) | instskip(NEXT) | instid1(VALU_DEP_1)
	v_lshl_add_u64 v[0:1], v[0:1], 1, s[2:3]
	v_add_nc_u64_e32 v[0:1], s[0:1], v[0:1]
	s_delay_alu instid0(VALU_DEP_1) | instskip(NEXT) | instid1(VALU_DEP_4)
	v_add_nc_u64_e32 v[0:1], v[0:1], v[2:3]
	v_cndmask_b32_e32 v2, 0x7fc0, v4, vcc_lo
	global_store_b16 v[0:1], v2, off
.LBB200_9:
	s_endpgm
	.section	.rodata,"a",@progbits
	.p2align	6, 0x0
	.amdhsa_kernel _ZN2at6native12_GLOBAL__N_135GammaBetaBackwardCUDAKernelTemplateIN3c108BFloat16EfLj32ELj1ELj8ELb1ELb1ELb1EEEvllPKT_S7_PKT0_SA_PS5_SB_
		.amdhsa_group_segment_fixed_size 0
		.amdhsa_private_segment_fixed_size 0
		.amdhsa_kernarg_size 320
		.amdhsa_user_sgpr_count 2
		.amdhsa_user_sgpr_dispatch_ptr 0
		.amdhsa_user_sgpr_queue_ptr 0
		.amdhsa_user_sgpr_kernarg_segment_ptr 1
		.amdhsa_user_sgpr_dispatch_id 0
		.amdhsa_user_sgpr_kernarg_preload_length 0
		.amdhsa_user_sgpr_kernarg_preload_offset 0
		.amdhsa_user_sgpr_private_segment_size 0
		.amdhsa_wavefront_size32 1
		.amdhsa_uses_dynamic_stack 0
		.amdhsa_enable_private_segment 0
		.amdhsa_system_sgpr_workgroup_id_x 1
		.amdhsa_system_sgpr_workgroup_id_y 1
		.amdhsa_system_sgpr_workgroup_id_z 0
		.amdhsa_system_sgpr_workgroup_info 0
		.amdhsa_system_vgpr_workitem_id 1
		.amdhsa_next_free_vgpr 43
		.amdhsa_next_free_sgpr 25
		.amdhsa_named_barrier_count 0
		.amdhsa_reserve_vcc 1
		.amdhsa_float_round_mode_32 0
		.amdhsa_float_round_mode_16_64 0
		.amdhsa_float_denorm_mode_32 3
		.amdhsa_float_denorm_mode_16_64 3
		.amdhsa_fp16_overflow 0
		.amdhsa_memory_ordered 1
		.amdhsa_forward_progress 1
		.amdhsa_inst_pref_size 10
		.amdhsa_round_robin_scheduling 0
		.amdhsa_exception_fp_ieee_invalid_op 0
		.amdhsa_exception_fp_denorm_src 0
		.amdhsa_exception_fp_ieee_div_zero 0
		.amdhsa_exception_fp_ieee_overflow 0
		.amdhsa_exception_fp_ieee_underflow 0
		.amdhsa_exception_fp_ieee_inexact 0
		.amdhsa_exception_int_div_zero 0
	.end_amdhsa_kernel
	.section	.text._ZN2at6native12_GLOBAL__N_135GammaBetaBackwardCUDAKernelTemplateIN3c108BFloat16EfLj32ELj1ELj8ELb1ELb1ELb1EEEvllPKT_S7_PKT0_SA_PS5_SB_,"axG",@progbits,_ZN2at6native12_GLOBAL__N_135GammaBetaBackwardCUDAKernelTemplateIN3c108BFloat16EfLj32ELj1ELj8ELb1ELb1ELb1EEEvllPKT_S7_PKT0_SA_PS5_SB_,comdat
.Lfunc_end200:
	.size	_ZN2at6native12_GLOBAL__N_135GammaBetaBackwardCUDAKernelTemplateIN3c108BFloat16EfLj32ELj1ELj8ELb1ELb1ELb1EEEvllPKT_S7_PKT0_SA_PS5_SB_, .Lfunc_end200-_ZN2at6native12_GLOBAL__N_135GammaBetaBackwardCUDAKernelTemplateIN3c108BFloat16EfLj32ELj1ELj8ELb1ELb1ELb1EEEvllPKT_S7_PKT0_SA_PS5_SB_
                                        ; -- End function
	.set _ZN2at6native12_GLOBAL__N_135GammaBetaBackwardCUDAKernelTemplateIN3c108BFloat16EfLj32ELj1ELj8ELb1ELb1ELb1EEEvllPKT_S7_PKT0_SA_PS5_SB_.num_vgpr, 43
	.set _ZN2at6native12_GLOBAL__N_135GammaBetaBackwardCUDAKernelTemplateIN3c108BFloat16EfLj32ELj1ELj8ELb1ELb1ELb1EEEvllPKT_S7_PKT0_SA_PS5_SB_.num_agpr, 0
	.set _ZN2at6native12_GLOBAL__N_135GammaBetaBackwardCUDAKernelTemplateIN3c108BFloat16EfLj32ELj1ELj8ELb1ELb1ELb1EEEvllPKT_S7_PKT0_SA_PS5_SB_.numbered_sgpr, 25
	.set _ZN2at6native12_GLOBAL__N_135GammaBetaBackwardCUDAKernelTemplateIN3c108BFloat16EfLj32ELj1ELj8ELb1ELb1ELb1EEEvllPKT_S7_PKT0_SA_PS5_SB_.num_named_barrier, 0
	.set _ZN2at6native12_GLOBAL__N_135GammaBetaBackwardCUDAKernelTemplateIN3c108BFloat16EfLj32ELj1ELj8ELb1ELb1ELb1EEEvllPKT_S7_PKT0_SA_PS5_SB_.private_seg_size, 0
	.set _ZN2at6native12_GLOBAL__N_135GammaBetaBackwardCUDAKernelTemplateIN3c108BFloat16EfLj32ELj1ELj8ELb1ELb1ELb1EEEvllPKT_S7_PKT0_SA_PS5_SB_.uses_vcc, 1
	.set _ZN2at6native12_GLOBAL__N_135GammaBetaBackwardCUDAKernelTemplateIN3c108BFloat16EfLj32ELj1ELj8ELb1ELb1ELb1EEEvllPKT_S7_PKT0_SA_PS5_SB_.uses_flat_scratch, 0
	.set _ZN2at6native12_GLOBAL__N_135GammaBetaBackwardCUDAKernelTemplateIN3c108BFloat16EfLj32ELj1ELj8ELb1ELb1ELb1EEEvllPKT_S7_PKT0_SA_PS5_SB_.has_dyn_sized_stack, 0
	.set _ZN2at6native12_GLOBAL__N_135GammaBetaBackwardCUDAKernelTemplateIN3c108BFloat16EfLj32ELj1ELj8ELb1ELb1ELb1EEEvllPKT_S7_PKT0_SA_PS5_SB_.has_recursion, 0
	.set _ZN2at6native12_GLOBAL__N_135GammaBetaBackwardCUDAKernelTemplateIN3c108BFloat16EfLj32ELj1ELj8ELb1ELb1ELb1EEEvllPKT_S7_PKT0_SA_PS5_SB_.has_indirect_call, 0
	.section	.AMDGPU.csdata,"",@progbits
; Kernel info:
; codeLenInByte = 1236
; TotalNumSgprs: 27
; NumVgprs: 43
; ScratchSize: 0
; MemoryBound: 0
; FloatMode: 240
; IeeeMode: 1
; LDSByteSize: 0 bytes/workgroup (compile time only)
; SGPRBlocks: 0
; VGPRBlocks: 2
; NumSGPRsForWavesPerEU: 27
; NumVGPRsForWavesPerEU: 43
; NamedBarCnt: 0
; Occupancy: 16
; WaveLimiterHint : 0
; COMPUTE_PGM_RSRC2:SCRATCH_EN: 0
; COMPUTE_PGM_RSRC2:USER_SGPR: 2
; COMPUTE_PGM_RSRC2:TRAP_HANDLER: 0
; COMPUTE_PGM_RSRC2:TGID_X_EN: 1
; COMPUTE_PGM_RSRC2:TGID_Y_EN: 1
; COMPUTE_PGM_RSRC2:TGID_Z_EN: 0
; COMPUTE_PGM_RSRC2:TIDIG_COMP_CNT: 1
	.section	.text._ZN2at6native12_GLOBAL__N_135GammaBetaBackwardCUDAKernelTemplateIN3c108BFloat16EfLj32ELj1ELj8ELb1ELb0ELb1EEEvllPKT_S7_PKT0_SA_PS5_SB_,"axG",@progbits,_ZN2at6native12_GLOBAL__N_135GammaBetaBackwardCUDAKernelTemplateIN3c108BFloat16EfLj32ELj1ELj8ELb1ELb0ELb1EEEvllPKT_S7_PKT0_SA_PS5_SB_,comdat
	.globl	_ZN2at6native12_GLOBAL__N_135GammaBetaBackwardCUDAKernelTemplateIN3c108BFloat16EfLj32ELj1ELj8ELb1ELb0ELb1EEEvllPKT_S7_PKT0_SA_PS5_SB_ ; -- Begin function _ZN2at6native12_GLOBAL__N_135GammaBetaBackwardCUDAKernelTemplateIN3c108BFloat16EfLj32ELj1ELj8ELb1ELb0ELb1EEEvllPKT_S7_PKT0_SA_PS5_SB_
	.p2align	8
	.type	_ZN2at6native12_GLOBAL__N_135GammaBetaBackwardCUDAKernelTemplateIN3c108BFloat16EfLj32ELj1ELj8ELb1ELb0ELb1EEEvllPKT_S7_PKT0_SA_PS5_SB_,@function
_ZN2at6native12_GLOBAL__N_135GammaBetaBackwardCUDAKernelTemplateIN3c108BFloat16EfLj32ELj1ELj8ELb1ELb0ELb1EEEvllPKT_S7_PKT0_SA_PS5_SB_: ; @_ZN2at6native12_GLOBAL__N_135GammaBetaBackwardCUDAKernelTemplateIN3c108BFloat16EfLj32ELj1ELj8ELb1ELb0ELb1EEEvllPKT_S7_PKT0_SA_PS5_SB_
; %bb.0:
	s_load_b256 s[4:11], s[0:1], 0x0
	s_bfe_u32 s3, ttmp6, 0x4000c
	s_bfe_u32 s12, ttmp6, 0x40010
	s_add_co_i32 s3, s3, 1
	s_add_co_i32 s12, s12, 1
	s_and_b32 s2, ttmp6, 15
	s_bfe_u32 s13, ttmp6, 0x40004
	s_mul_i32 s3, ttmp9, s3
	s_mul_i32 s12, ttmp7, s12
	s_getreg_b32 s14, hwreg(HW_REG_IB_STS2, 6, 4)
	s_add_co_i32 s2, s2, s3
	s_add_co_i32 s13, s13, s12
	s_cmp_eq_u32 s14, 0
	s_mov_b32 s17, 0
	s_cselect_b32 s12, ttmp9, s2
	s_cselect_b32 s30, ttmp7, s13
	s_lshl_b32 s13, s12, 5
	s_load_b64 s[14:15], s[0:1], 0x28
	s_or_b32 s16, s13, 31
	s_wait_kmcnt 0x0
	v_cmp_le_i64_e64 s2, s[6:7], s[16:17]
	s_lshl_b32 s16, s30, 3
	s_delay_alu instid0(SALU_CYCLE_1) | instskip(SKIP_2) | instid1(VALU_DEP_1)
	v_cmp_gt_i64_e64 s31, s[4:5], s[16:17]
	s_and_b32 vcc_lo, exec_lo, s2
	v_cndmask_b32_e64 v1, 0, 1, s31
	v_cmp_ne_u32_e64 s2, 1, v1
	s_cbranch_vccz .LBB201_49
; %bb.1:
	v_mov_b32_e32 v88, 0
	s_and_b32 vcc_lo, exec_lo, s2
	s_cbranch_vccnz .LBB201_50
; %bb.2:
	v_bfe_u32 v1, v0, 10, 10
	v_mov_b32_e32 v2, 0
	v_and_b32_e32 v58, 0x3ff, v0
	s_load_b32 s3, s[0:1], 0x44
	s_mov_b32 s19, 0
	s_delay_alu instid0(VALU_DEP_2) | instskip(NEXT) | instid1(VALU_DEP_2)
	v_dual_mov_b32 v21, v2 :: v_dual_lshlrev_b32 v20, 3, v1
	v_dual_mov_b32 v19, v2 :: v_dual_add_nc_u32 v18, s13, v58
	v_mov_b32_e32 v59, 0
	s_mov_b32 s23, s19
	s_delay_alu instid0(VALU_DEP_3)
	v_add_nc_u64_e32 v[4:5], s[16:17], v[20:21]
	s_add_nc_u64 s[20:21], s[0:1], 64
	v_cmp_gt_i64_e64 s2, s[6:7], v[18:19]
	v_lshlrev_b64_e32 v[22:23], 1, v[18:19]
	s_mov_b64 s[26:27], 7
	s_mov_b64 s[28:29], s[16:17]
	v_mul_u64_e32 v[6:7], s[6:7], v[4:5]
	v_add_nc_u64_e32 v[8:9], 7, v[4:5]
	v_add_nc_u64_e32 v[10:11], 6, v[4:5]
	;; [unrolled: 1-line block ×6, first 2 shown]
	s_wait_kmcnt 0x0
	s_lshl_b32 s22, s3, 3
	v_mul_u64_e32 v[8:9], s[6:7], v[8:9]
	v_mul_u64_e32 v[10:11], s[6:7], v[10:11]
	;; [unrolled: 1-line block ×6, first 2 shown]
	s_mul_u64 s[24:25], s[6:7], s[22:23]
	s_delay_alu instid0(SALU_CYCLE_1) | instskip(SKIP_2) | instid1(VALU_DEP_2)
	s_lshl_b64 s[24:25], s[24:25], 1
	v_lshlrev_b64_e32 v[26:27], 1, v[6:7]
	v_add_nc_u64_e32 v[6:7], s[6:7], v[6:7]
	v_add_nc_u64_e32 v[24:25], s[8:9], v[26:27]
	v_lshlrev_b64_e32 v[8:9], 1, v[8:9]
	v_lshlrev_b64_e32 v[10:11], 1, v[10:11]
	;; [unrolled: 1-line block ×7, first 2 shown]
	v_add_nc_u64_e32 v[26:27], s[10:11], v[26:27]
	v_add_nc_u64_e32 v[28:29], s[8:9], v[8:9]
	;; [unrolled: 1-line block ×15, first 2 shown]
.LBB201_3:                              ; =>This Inner Loop Header: Depth=1
	s_add_nc_u64 s[34:35], s[16:17], s[26:27]
	v_add_nc_u64_e32 v[56:57], s[16:17], v[20:21]
	v_cmp_ge_i64_e64 s3, s[34:35], s[4:5]
                                        ; implicit-def: $vgpr88
                                        ; implicit-def: $vgpr12_vgpr13_vgpr14_vgpr15_vgpr16_vgpr17_vgpr18_vgpr19
                                        ; implicit-def: $vgpr4_vgpr5_vgpr6_vgpr7_vgpr8_vgpr9_vgpr10_vgpr11
                                        ; implicit-def: $vgpr3
	s_and_b32 vcc_lo, exec_lo, s3
	s_mov_b32 s3, -1
	s_cbranch_vccz .LBB201_25
; %bb.4:                                ;   in Loop: Header=BB201_3 Depth=1
	s_load_b32 s3, s[20:21], 0xc
	v_mov_b32_e32 v60, 0
	s_wait_kmcnt 0x0
	s_and_b32 s3, s3, 0xffff
	s_delay_alu instid0(SALU_CYCLE_1) | instskip(SKIP_1) | instid1(VALU_DEP_1)
	v_mad_u32_u24 v3, v1, s3, v58
	s_mov_b32 s3, exec_lo
	v_and_b32_e32 v4, 31, v3
	s_delay_alu instid0(VALU_DEP_1)
	v_cmpx_gt_u32_e32 8, v4
	s_cbranch_execz .LBB201_8
; %bb.5:                                ;   in Loop: Header=BB201_3 Depth=1
	v_dual_mov_b32 v5, v2 :: v_dual_mov_b32 v60, 0
	s_mov_b32 s18, exec_lo
	s_delay_alu instid0(VALU_DEP_1) | instskip(NEXT) | instid1(VALU_DEP_1)
	v_add_nc_u64_e32 v[4:5], v[56:57], v[4:5]
	v_cmpx_gt_i64_e64 s[4:5], v[4:5]
	s_cbranch_execz .LBB201_7
; %bb.6:                                ;   in Loop: Header=BB201_3 Depth=1
	v_lshl_add_u64 v[4:5], v[4:5], 2, s[14:15]
	global_load_b32 v60, v[4:5], off
.LBB201_7:                              ;   in Loop: Header=BB201_3 Depth=1
	s_wait_xcnt 0x0
	s_or_b32 exec_lo, exec_lo, s18
.LBB201_8:                              ;   in Loop: Header=BB201_3 Depth=1
	s_delay_alu instid0(SALU_CYCLE_1)
	s_or_b32 exec_lo, exec_lo, s3
	v_dual_mov_b32 v7, v2 :: v_dual_mov_b32 v8, v2
	v_dual_mov_b32 v9, v2 :: v_dual_mov_b32 v3, v2
	;; [unrolled: 1-line block ×3, first 2 shown]
	v_mov_b32_e32 v6, v2
	v_cmp_gt_i64_e32 vcc_lo, s[4:5], v[56:57]
	s_delay_alu instid0(VALU_DEP_4)
	v_mov_b64_e32 v[18:19], v[8:9]
	v_mov_b64_e32 v[12:13], v[2:3]
	;; [unrolled: 1-line block ×8, first 2 shown]
	s_and_b32 s18, s2, vcc_lo
	s_delay_alu instid0(SALU_CYCLE_1)
	s_and_saveexec_b32 s3, s18
	s_cbranch_execz .LBB201_10
; %bb.9:                                ;   in Loop: Header=BB201_3 Depth=1
	v_add_nc_u64_e32 v[4:5], v[24:25], v[22:23]
	v_add_nc_u64_e32 v[6:7], v[26:27], v[22:23]
	v_dual_mov_b32 v9, v2 :: v_dual_mov_b32 v10, v2
	v_dual_mov_b32 v11, v2 :: v_dual_mov_b32 v13, v2
	;; [unrolled: 1-line block ×3, first 2 shown]
	global_load_u16 v3, v[4:5], off
	global_load_u16 v12, v[6:7], off
	s_wait_xcnt 0x0
	v_dual_mov_b32 v5, v2 :: v_dual_mov_b32 v6, v2
	v_dual_mov_b32 v7, v2 :: v_dual_mov_b32 v8, v2
	;; [unrolled: 1-line block ×4, first 2 shown]
	s_wait_loadcnt 0x0
	v_dual_lshlrev_b32 v4, 16, v3 :: v_dual_lshlrev_b32 v12, 16, v12
.LBB201_10:                             ;   in Loop: Header=BB201_3 Depth=1
	s_or_b32 exec_lo, exec_lo, s3
	v_add_nc_u64_e32 v[62:63], 1, v[56:57]
	s_delay_alu instid0(VALU_DEP_1) | instskip(SKIP_1) | instid1(SALU_CYCLE_1)
	v_cmp_gt_i64_e32 vcc_lo, s[4:5], v[62:63]
	s_and_b32 s18, s2, vcc_lo
	s_and_saveexec_b32 s3, s18
	s_cbranch_execz .LBB201_12
; %bb.11:                               ;   in Loop: Header=BB201_3 Depth=1
	v_add_nc_u64_e32 v[62:63], v[52:53], v[22:23]
	v_add_nc_u64_e32 v[64:65], v[54:55], v[22:23]
	global_load_u16 v3, v[62:63], off
	global_load_u16 v13, v[64:65], off
	s_wait_loadcnt 0x0
	v_dual_lshlrev_b32 v5, 16, v3 :: v_dual_lshlrev_b32 v13, 16, v13
.LBB201_12:                             ;   in Loop: Header=BB201_3 Depth=1
	s_or_b32 exec_lo, exec_lo, s3
	v_add_nc_u64_e32 v[62:63], 2, v[56:57]
	s_delay_alu instid0(VALU_DEP_1) | instskip(SKIP_1) | instid1(SALU_CYCLE_1)
	v_cmp_gt_i64_e32 vcc_lo, s[4:5], v[62:63]
	s_and_b32 s18, s2, vcc_lo
	s_and_saveexec_b32 s3, s18
	s_cbranch_execz .LBB201_14
; %bb.13:                               ;   in Loop: Header=BB201_3 Depth=1
	v_add_nc_u64_e32 v[62:63], v[48:49], v[22:23]
	v_add_nc_u64_e32 v[64:65], v[50:51], v[22:23]
	global_load_u16 v3, v[62:63], off
	global_load_u16 v14, v[64:65], off
	s_wait_loadcnt 0x0
	v_dual_lshlrev_b32 v6, 16, v3 :: v_dual_lshlrev_b32 v14, 16, v14
.LBB201_14:                             ;   in Loop: Header=BB201_3 Depth=1
	s_or_b32 exec_lo, exec_lo, s3
	v_add_nc_u64_e32 v[62:63], 3, v[56:57]
	s_delay_alu instid0(VALU_DEP_1) | instskip(SKIP_1) | instid1(SALU_CYCLE_1)
	v_cmp_gt_i64_e32 vcc_lo, s[4:5], v[62:63]
	s_and_b32 s18, s2, vcc_lo
	s_and_saveexec_b32 s3, s18
	s_cbranch_execz .LBB201_16
; %bb.15:                               ;   in Loop: Header=BB201_3 Depth=1
	v_add_nc_u64_e32 v[62:63], v[44:45], v[22:23]
	v_add_nc_u64_e32 v[64:65], v[46:47], v[22:23]
	global_load_u16 v3, v[62:63], off
	global_load_u16 v15, v[64:65], off
	s_wait_loadcnt 0x1
	v_lshlrev_b32_e32 v7, 16, v3
	s_wait_loadcnt 0x0
	v_lshlrev_b32_e32 v15, 16, v15
.LBB201_16:                             ;   in Loop: Header=BB201_3 Depth=1
	s_or_b32 exec_lo, exec_lo, s3
	v_add_nc_u64_e32 v[62:63], 4, v[56:57]
	s_delay_alu instid0(VALU_DEP_1) | instskip(SKIP_1) | instid1(SALU_CYCLE_1)
	v_cmp_gt_i64_e32 vcc_lo, s[4:5], v[62:63]
	s_and_b32 s18, s2, vcc_lo
	s_and_saveexec_b32 s3, s18
	s_cbranch_execz .LBB201_18
; %bb.17:                               ;   in Loop: Header=BB201_3 Depth=1
	v_add_nc_u64_e32 v[62:63], v[40:41], v[22:23]
	v_add_nc_u64_e32 v[64:65], v[42:43], v[22:23]
	global_load_u16 v3, v[62:63], off
	global_load_u16 v16, v[64:65], off
	s_wait_loadcnt 0x0
	v_dual_lshlrev_b32 v8, 16, v3 :: v_dual_lshlrev_b32 v16, 16, v16
.LBB201_18:                             ;   in Loop: Header=BB201_3 Depth=1
	s_or_b32 exec_lo, exec_lo, s3
	v_add_nc_u64_e32 v[62:63], 5, v[56:57]
	s_delay_alu instid0(VALU_DEP_1) | instskip(SKIP_1) | instid1(SALU_CYCLE_1)
	v_cmp_gt_i64_e32 vcc_lo, s[4:5], v[62:63]
	s_and_b32 s18, s2, vcc_lo
	s_and_saveexec_b32 s3, s18
	s_cbranch_execz .LBB201_20
; %bb.19:                               ;   in Loop: Header=BB201_3 Depth=1
	v_add_nc_u64_e32 v[62:63], v[36:37], v[22:23]
	v_add_nc_u64_e32 v[64:65], v[38:39], v[22:23]
	global_load_u16 v3, v[62:63], off
	global_load_u16 v17, v[64:65], off
	s_wait_loadcnt 0x0
	v_dual_lshlrev_b32 v9, 16, v3 :: v_dual_lshlrev_b32 v17, 16, v17
.LBB201_20:                             ;   in Loop: Header=BB201_3 Depth=1
	;; [unrolled: 15-line block ×3, first 2 shown]
	s_or_b32 exec_lo, exec_lo, s3
	v_add_nc_u64_e32 v[62:63], 7, v[56:57]
	s_delay_alu instid0(VALU_DEP_1) | instskip(SKIP_1) | instid1(SALU_CYCLE_1)
	v_cmp_gt_i64_e32 vcc_lo, s[4:5], v[62:63]
	s_and_b32 s18, s2, vcc_lo
	s_and_saveexec_b32 s3, s18
	s_cbranch_execz .LBB201_24
; %bb.23:                               ;   in Loop: Header=BB201_3 Depth=1
	v_add_nc_u64_e32 v[62:63], v[28:29], v[22:23]
	v_add_nc_u64_e32 v[64:65], v[30:31], v[22:23]
	global_load_u16 v3, v[62:63], off
	global_load_u16 v19, v[64:65], off
	s_wait_loadcnt 0x1
	v_lshlrev_b32_e32 v11, 16, v3
	s_wait_loadcnt 0x0
	v_lshlrev_b32_e32 v19, 16, v19
.LBB201_24:                             ;   in Loop: Header=BB201_3 Depth=1
	s_or_b32 exec_lo, exec_lo, s3
	s_wait_loadcnt 0x0
	ds_bpermute_b32 v3, v2, v60
	ds_bpermute_b32 v62, v2, v60 offset:4
	ds_bpermute_b32 v63, v2, v60 offset:8
	;; [unrolled: 1-line block ×4, first 2 shown]
	v_pk_mul_f32 v[6:7], v[14:15], v[6:7]
	v_dual_mul_f32 v14, v12, v4 :: v_dual_mul_f32 v4, v13, v5
	v_pk_mul_f32 v[8:9], v[16:17], v[8:9]
	ds_bpermute_b32 v12, v2, v60 offset:20
	v_dual_mov_b32 v5, v6 :: v_dual_mov_b32 v6, v7
	ds_bpermute_b32 v13, v2, v60 offset:24
	s_mov_b32 s3, 0
	s_wait_dscnt 0x6
	v_dual_mov_b32 v7, v8 :: v_dual_fma_f32 v3, v14, v3, v59
	s_wait_dscnt 0x4
	v_pk_mul_f32 v[4:5], v[4:5], v[62:63]
	s_wait_dscnt 0x2
	s_delay_alu instid0(VALU_DEP_2) | instskip(NEXT) | instid1(VALU_DEP_2)
	v_pk_mul_f32 v[6:7], v[6:7], v[64:65]
	v_add_f32_e32 v3, v3, v4
	s_delay_alu instid0(VALU_DEP_1) | instskip(SKIP_2) | instid1(VALU_DEP_1)
	v_dual_add_f32 v4, v3, v5 :: v_dual_mul_f32 v5, v18, v10
	ds_bpermute_b32 v3, v2, v60 offset:28
	v_dual_add_f32 v6, v4, v6 :: v_dual_mov_b32 v4, v9
	v_add_f32_e32 v6, v6, v7
	s_wait_dscnt 0x1
	s_delay_alu instid0(VALU_DEP_2) | instskip(NEXT) | instid1(VALU_DEP_1)
	v_pk_mul_f32 v[4:5], v[4:5], v[12:13]
	v_add_f32_e32 v4, v6, v4
	s_delay_alu instid0(VALU_DEP_1)
	v_add_f32_e32 v88, v4, v5
.LBB201_25:                             ;   in Loop: Header=BB201_3 Depth=1
	s_and_b32 vcc_lo, exec_lo, s3
	s_cbranch_vccz .LBB201_40
; %bb.26:                               ;   in Loop: Header=BB201_3 Depth=1
	s_load_b32 s3, s[20:21], 0x0
	v_mov_b32_e32 v60, 0
	s_wait_kmcnt 0x0
	s_cmp_lt_u32 s12, s3
	s_cselect_b32 s18, 12, 18
	s_delay_alu instid0(SALU_CYCLE_1)
	s_add_nc_u64 s[34:35], s[20:21], s[18:19]
	s_load_u16 s3, s[34:35], 0x0
	s_wait_dscnt 0x0
	s_wait_kmcnt 0x0
	v_mad_u32_u24 v3, v1, s3, v58
	s_mov_b32 s3, exec_lo
	s_delay_alu instid0(VALU_DEP_1) | instskip(NEXT) | instid1(VALU_DEP_1)
	v_and_b32_e32 v4, 31, v3
	v_cmpx_gt_u32_e32 8, v4
	s_cbranch_execz .LBB201_30
; %bb.27:                               ;   in Loop: Header=BB201_3 Depth=1
	v_dual_mov_b32 v5, v2 :: v_dual_mov_b32 v60, 0
	s_mov_b32 s18, exec_lo
	s_delay_alu instid0(VALU_DEP_1) | instskip(NEXT) | instid1(VALU_DEP_1)
	v_add_nc_u64_e32 v[4:5], v[56:57], v[4:5]
	v_cmpx_gt_i64_e64 s[4:5], v[4:5]
	s_cbranch_execz .LBB201_29
; %bb.28:                               ;   in Loop: Header=BB201_3 Depth=1
	v_lshl_add_u64 v[4:5], v[4:5], 2, s[14:15]
	global_load_b32 v60, v[4:5], off
.LBB201_29:                             ;   in Loop: Header=BB201_3 Depth=1
	s_wait_xcnt 0x0
	s_or_b32 exec_lo, exec_lo, s18
.LBB201_30:                             ;   in Loop: Header=BB201_3 Depth=1
	s_delay_alu instid0(SALU_CYCLE_1) | instskip(SKIP_4) | instid1(VALU_DEP_3)
	s_or_b32 exec_lo, exec_lo, s3
	v_dual_mov_b32 v7, v2 :: v_dual_mov_b32 v8, v2
	v_dual_mov_b32 v9, v2 :: v_dual_mov_b32 v3, v2
	;; [unrolled: 1-line block ×3, first 2 shown]
	v_mov_b32_e32 v6, v2
	v_mov_b64_e32 v[18:19], v[8:9]
	s_delay_alu instid0(VALU_DEP_4) | instskip(NEXT) | instid1(VALU_DEP_4)
	v_mov_b64_e32 v[12:13], v[2:3]
	v_mov_b64_e32 v[14:15], v[4:5]
	s_delay_alu instid0(VALU_DEP_4)
	v_mov_b64_e32 v[16:17], v[6:7]
	v_mov_b64_e32 v[10:11], v[8:9]
	;; [unrolled: 1-line block ×5, first 2 shown]
	s_and_saveexec_b32 s3, s2
	s_cbranch_execnz .LBB201_42
; %bb.31:                               ;   in Loop: Header=BB201_3 Depth=1
	s_or_b32 exec_lo, exec_lo, s3
	s_and_saveexec_b32 s3, s2
	s_cbranch_execnz .LBB201_43
.LBB201_32:                             ;   in Loop: Header=BB201_3 Depth=1
	s_or_b32 exec_lo, exec_lo, s3
	s_and_saveexec_b32 s3, s2
	s_cbranch_execnz .LBB201_44
.LBB201_33:                             ;   in Loop: Header=BB201_3 Depth=1
	s_or_b32 exec_lo, exec_lo, s3
	s_and_saveexec_b32 s3, s2
	s_cbranch_execnz .LBB201_45
.LBB201_34:                             ;   in Loop: Header=BB201_3 Depth=1
	s_or_b32 exec_lo, exec_lo, s3
	s_and_saveexec_b32 s3, s2
	s_cbranch_execnz .LBB201_46
.LBB201_35:                             ;   in Loop: Header=BB201_3 Depth=1
	s_or_b32 exec_lo, exec_lo, s3
	s_and_saveexec_b32 s3, s2
	s_cbranch_execnz .LBB201_47
.LBB201_36:                             ;   in Loop: Header=BB201_3 Depth=1
	s_or_b32 exec_lo, exec_lo, s3
	s_and_saveexec_b32 s3, s2
	s_cbranch_execnz .LBB201_48
.LBB201_37:                             ;   in Loop: Header=BB201_3 Depth=1
	s_or_b32 exec_lo, exec_lo, s3
	s_and_saveexec_b32 s3, s2
	s_cbranch_execz .LBB201_39
.LBB201_38:                             ;   in Loop: Header=BB201_3 Depth=1
	v_add_nc_u64_e32 v[56:57], v[28:29], v[22:23]
	v_add_nc_u64_e32 v[62:63], v[30:31], v[22:23]
	global_load_u16 v3, v[56:57], off
	global_load_u16 v19, v[62:63], off
	s_wait_loadcnt 0x1
	v_lshlrev_b32_e32 v11, 16, v3
	s_wait_loadcnt 0x0
	v_lshlrev_b32_e32 v19, 16, v19
.LBB201_39:                             ;   in Loop: Header=BB201_3 Depth=1
	s_or_b32 exec_lo, exec_lo, s3
	s_wait_loadcnt 0x0
	ds_bpermute_b32 v3, v2, v60
	ds_bpermute_b32 v56, v2, v60 offset:4
	ds_bpermute_b32 v57, v2, v60 offset:8
	;; [unrolled: 1-line block ×4, first 2 shown]
	v_pk_mul_f32 v[6:7], v[14:15], v[6:7]
	v_dual_mul_f32 v14, v12, v4 :: v_dual_mul_f32 v4, v13, v5
	v_pk_mul_f32 v[8:9], v[16:17], v[8:9]
	ds_bpermute_b32 v12, v2, v60 offset:20
	v_dual_mov_b32 v5, v6 :: v_dual_mov_b32 v6, v7
	ds_bpermute_b32 v13, v2, v60 offset:24
	s_wait_dscnt 0x6
	v_dual_mov_b32 v7, v8 :: v_dual_fmac_f32 v59, v14, v3
	s_wait_dscnt 0x4
	v_pk_mul_f32 v[4:5], v[4:5], v[56:57]
	s_wait_dscnt 0x2
	s_delay_alu instid0(VALU_DEP_2) | instskip(NEXT) | instid1(VALU_DEP_2)
	v_pk_mul_f32 v[6:7], v[6:7], v[62:63]
	v_add_f32_e32 v3, v59, v4
	s_delay_alu instid0(VALU_DEP_1) | instskip(SKIP_2) | instid1(VALU_DEP_1)
	v_dual_add_f32 v4, v3, v5 :: v_dual_mul_f32 v5, v18, v10
	ds_bpermute_b32 v3, v2, v60 offset:28
	v_dual_add_f32 v6, v4, v6 :: v_dual_mov_b32 v4, v9
	v_add_f32_e32 v6, v6, v7
	s_wait_dscnt 0x1
	s_delay_alu instid0(VALU_DEP_2) | instskip(NEXT) | instid1(VALU_DEP_1)
	v_pk_mul_f32 v[4:5], v[4:5], v[12:13]
	v_add_f32_e32 v4, v6, v4
	s_delay_alu instid0(VALU_DEP_1)
	v_add_f32_e32 v88, v4, v5
.LBB201_40:                             ;   in Loop: Header=BB201_3 Depth=1
	s_add_nc_u64 s[28:29], s[28:29], s[22:23]
	v_mul_f32_e32 v4, v11, v19
	v_cmp_lt_i64_e64 s3, s[28:29], s[4:5]
	v_add_nc_u64_e32 v[24:25], s[24:25], v[24:25]
	v_add_nc_u64_e32 v[26:27], s[24:25], v[26:27]
	;; [unrolled: 1-line block ×17, first 2 shown]
	s_wait_dscnt 0x0
	v_fmac_f32_e32 v88, v4, v3
	s_and_b32 vcc_lo, exec_lo, s3
	s_add_nc_u64 s[26:27], s[26:27], s[22:23]
	s_cbranch_vccz .LBB201_50
; %bb.41:                               ;   in Loop: Header=BB201_3 Depth=1
	s_delay_alu instid0(VALU_DEP_1)
	v_mov_b32_e32 v59, v88
	s_branch .LBB201_3
.LBB201_42:                             ;   in Loop: Header=BB201_3 Depth=1
	v_add_nc_u64_e32 v[4:5], v[24:25], v[22:23]
	v_add_nc_u64_e32 v[6:7], v[26:27], v[22:23]
	v_dual_mov_b32 v9, v2 :: v_dual_mov_b32 v10, v2
	v_dual_mov_b32 v11, v2 :: v_dual_mov_b32 v13, v2
	;; [unrolled: 1-line block ×3, first 2 shown]
	global_load_u16 v3, v[4:5], off
	global_load_u16 v12, v[6:7], off
	s_wait_xcnt 0x0
	v_dual_mov_b32 v5, v2 :: v_dual_mov_b32 v6, v2
	v_dual_mov_b32 v7, v2 :: v_dual_mov_b32 v8, v2
	;; [unrolled: 1-line block ×4, first 2 shown]
	s_wait_loadcnt 0x0
	v_dual_lshlrev_b32 v4, 16, v3 :: v_dual_lshlrev_b32 v12, 16, v12
	s_or_b32 exec_lo, exec_lo, s3
	s_and_saveexec_b32 s3, s2
	s_cbranch_execz .LBB201_32
.LBB201_43:                             ;   in Loop: Header=BB201_3 Depth=1
	v_add_nc_u64_e32 v[56:57], v[52:53], v[22:23]
	v_add_nc_u64_e32 v[62:63], v[54:55], v[22:23]
	global_load_u16 v3, v[56:57], off
	global_load_u16 v13, v[62:63], off
	s_wait_loadcnt 0x0
	v_dual_lshlrev_b32 v5, 16, v3 :: v_dual_lshlrev_b32 v13, 16, v13
	s_or_b32 exec_lo, exec_lo, s3
	s_and_saveexec_b32 s3, s2
	s_cbranch_execz .LBB201_33
.LBB201_44:                             ;   in Loop: Header=BB201_3 Depth=1
	v_add_nc_u64_e32 v[56:57], v[48:49], v[22:23]
	v_add_nc_u64_e32 v[62:63], v[50:51], v[22:23]
	global_load_u16 v3, v[56:57], off
	global_load_u16 v14, v[62:63], off
	s_wait_loadcnt 0x0
	v_dual_lshlrev_b32 v6, 16, v3 :: v_dual_lshlrev_b32 v14, 16, v14
	s_or_b32 exec_lo, exec_lo, s3
	s_and_saveexec_b32 s3, s2
	s_cbranch_execz .LBB201_34
.LBB201_45:                             ;   in Loop: Header=BB201_3 Depth=1
	v_add_nc_u64_e32 v[56:57], v[44:45], v[22:23]
	v_add_nc_u64_e32 v[62:63], v[46:47], v[22:23]
	global_load_u16 v3, v[56:57], off
	global_load_u16 v15, v[62:63], off
	s_wait_loadcnt 0x1
	v_lshlrev_b32_e32 v7, 16, v3
	s_wait_loadcnt 0x0
	v_lshlrev_b32_e32 v15, 16, v15
	s_or_b32 exec_lo, exec_lo, s3
	s_and_saveexec_b32 s3, s2
	s_cbranch_execz .LBB201_35
.LBB201_46:                             ;   in Loop: Header=BB201_3 Depth=1
	v_add_nc_u64_e32 v[56:57], v[40:41], v[22:23]
	v_add_nc_u64_e32 v[62:63], v[42:43], v[22:23]
	global_load_u16 v3, v[56:57], off
	global_load_u16 v16, v[62:63], off
	s_wait_loadcnt 0x0
	v_dual_lshlrev_b32 v8, 16, v3 :: v_dual_lshlrev_b32 v16, 16, v16
	s_or_b32 exec_lo, exec_lo, s3
	s_and_saveexec_b32 s3, s2
	s_cbranch_execz .LBB201_36
.LBB201_47:                             ;   in Loop: Header=BB201_3 Depth=1
	v_add_nc_u64_e32 v[56:57], v[36:37], v[22:23]
	v_add_nc_u64_e32 v[62:63], v[38:39], v[22:23]
	global_load_u16 v3, v[56:57], off
	global_load_u16 v17, v[62:63], off
	s_wait_loadcnt 0x0
	v_dual_lshlrev_b32 v9, 16, v3 :: v_dual_lshlrev_b32 v17, 16, v17
	s_or_b32 exec_lo, exec_lo, s3
	s_and_saveexec_b32 s3, s2
	s_cbranch_execz .LBB201_37
.LBB201_48:                             ;   in Loop: Header=BB201_3 Depth=1
	v_add_nc_u64_e32 v[56:57], v[32:33], v[22:23]
	v_add_nc_u64_e32 v[62:63], v[34:35], v[22:23]
	global_load_u16 v3, v[56:57], off
	global_load_u16 v18, v[62:63], off
	s_wait_loadcnt 0x0
	v_dual_lshlrev_b32 v10, 16, v3 :: v_dual_lshlrev_b32 v18, 16, v18
	s_or_b32 exec_lo, exec_lo, s3
	s_and_saveexec_b32 s3, s2
	s_cbranch_execnz .LBB201_38
	s_branch .LBB201_39
.LBB201_49:
                                        ; implicit-def: $vgpr88
	s_load_b64 s[2:3], s[0:1], 0x30
	s_branch .LBB201_51
.LBB201_50:
	s_load_b64 s[2:3], s[0:1], 0x30
	s_cbranch_execnz .LBB201_83
.LBB201_51:
	v_mov_b32_e32 v88, 0
	s_and_not1_b32 vcc_lo, exec_lo, s31
	s_cbranch_vccnz .LBB201_83
; %bb.52:
	v_bfe_u32 v1, v0, 10, 10
	v_mov_b32_e32 v2, 0
	v_and_b32_e32 v86, 0x3ff, v0
	s_load_b32 s18, s[0:1], 0x44
	s_mov_b32 s19, 0
	s_delay_alu instid0(VALU_DEP_2) | instskip(SKIP_3) | instid1(VALU_DEP_2)
	v_dual_mov_b32 v5, v2 :: v_dual_lshlrev_b32 v4, 4, v1
	v_dual_mov_b32 v21, v2 :: v_dual_lshlrev_b32 v20, 3, v1
	s_mov_b32 s21, s19
	s_add_nc_u64 s[22:23], s[0:1], 64
	v_lshl_add_u64 v[4:5], s[16:17], 1, v[4:5]
	s_mov_b64 s[24:25], s[16:17]
	v_add_nc_u64_e32 v[8:9], s[16:17], v[20:21]
	v_mov_b32_e32 v87, 0
	s_delay_alu instid0(VALU_DEP_3)
	v_add_nc_u64_e32 v[6:7], 2, v[4:5]
	v_add_nc_u64_e32 v[10:11], 4, v[4:5]
	;; [unrolled: 1-line block ×5, first 2 shown]
	v_mul_u64_e32 v[60:61], s[6:7], v[8:9]
	v_add_nc_u64_e32 v[48:49], 3, v[8:9]
	v_mad_nc_u64_u32 v[22:23], s6, v6, s[8:9]
	v_mul_lo_u32 v3, s6, v7
	v_mul_lo_u32 v44, s7, v6
	v_mad_nc_u64_u32 v[32:33], s6, v6, s[10:11]
	v_add_nc_u64_e32 v[6:7], 7, v[8:9]
	v_mad_nc_u64_u32 v[24:25], s6, v10, s[8:9]
	v_mul_lo_u32 v46, s6, v11
	v_mul_lo_u32 v47, s7, v10
	v_mad_nc_u64_u32 v[26:27], s6, v12, s[8:9]
	v_mul_lo_u32 v50, s6, v13
	v_mul_lo_u32 v51, s7, v12
	v_mad_nc_u64_u32 v[34:35], s6, v10, s[10:11]
	v_mad_nc_u64_u32 v[36:37], s6, v12, s[10:11]
	v_add_nc_u64_e32 v[10:11], 6, v[8:9]
	v_mul_u64_e32 v[6:7], s[6:7], v[6:7]
	v_add_nc_u64_e32 v[12:13], 5, v[8:9]
	v_mad_nc_u64_u32 v[28:29], s6, v14, s[8:9]
	v_mul_lo_u32 v52, s6, v15
	v_mul_lo_u32 v53, s7, v14
	v_mad_nc_u64_u32 v[40:41], s6, v14, s[10:11]
	v_add_nc_u64_e32 v[14:15], 4, v[8:9]
	v_mul_u64_e32 v[10:11], s[6:7], v[10:11]
	v_add_nc_u64_e32 v[8:9], 2, v[8:9]
	v_mul_u64_e32 v[12:13], s[6:7], v[12:13]
	v_mad_nc_u64_u32 v[30:31], s6, v16, s[8:9]
	v_mul_lo_u32 v54, s6, v17
	v_mul_lo_u32 v55, s7, v16
	v_add3_u32 v23, v44, v23, v3
	v_add3_u32 v33, v44, v33, v3
	v_mul_u64_e32 v[14:15], s[6:7], v[14:15]
	v_mad_nc_u64_u32 v[44:45], s6, v16, s[10:11]
	v_mul_u64_e32 v[16:17], s[6:7], v[48:49]
	v_mul_u64_e32 v[8:9], s[6:7], v[8:9]
	v_add_nc_u64_e32 v[18:19], 12, v[4:5]
	v_add_nc_u64_e32 v[4:5], 14, v[4:5]
	v_add3_u32 v25, v47, v25, v46
	v_add3_u32 v27, v51, v27, v50
	;; [unrolled: 1-line block ×5, first 2 shown]
	v_mad_nc_u64_u32 v[38:39], s6, v18, s[8:9]
	v_mul_lo_u32 v19, s6, v19
	v_mul_lo_u32 v56, s7, v18
	v_mad_nc_u64_u32 v[42:43], s6, v4, s[8:9]
	v_mad_nc_u64_u32 v[46:47], s6, v18, s[10:11]
	v_mul_lo_u32 v3, s6, v5
	v_mul_lo_u32 v50, s7, v4
	v_mad_nc_u64_u32 v[48:49], s6, v4, s[10:11]
	v_lshlrev_b64_e32 v[6:7], 1, v[6:7]
	v_dual_mov_b32 v5, v2 :: v_dual_add_nc_u32 v4, s13, v86
	v_add3_u32 v31, v55, v31, v54
	v_add3_u32 v41, v53, v41, v52
	;; [unrolled: 1-line block ×5, first 2 shown]
	v_add_nc_u64_e32 v[56:57], s[8:9], v[6:7]
	v_add3_u32 v43, v50, v43, v3
	v_add3_u32 v49, v50, v49, v3
	v_lshlrev_b64_e32 v[50:51], 1, v[4:5]
	v_lshlrev_b64_e32 v[4:5], 1, v[10:11]
	v_add_nc_u64_e32 v[58:59], s[10:11], v[6:7]
	v_lshlrev_b64_e32 v[6:7], 1, v[12:13]
	v_add_nc_u64_e32 v[12:13], s[6:7], v[60:61]
	v_lshlrev_b64_e32 v[18:19], 1, v[60:61]
	v_lshlrev_b64_e32 v[10:11], 1, v[14:15]
	;; [unrolled: 1-line block ×3, first 2 shown]
	v_add_nc_u64_e32 v[60:61], s[8:9], v[4:5]
	v_add_nc_u64_e32 v[62:63], s[10:11], v[4:5]
	v_lshlrev_b64_e32 v[4:5], 1, v[16:17]
	v_add_nc_u64_e32 v[64:65], s[8:9], v[6:7]
	v_add_nc_u64_e32 v[66:67], s[10:11], v[6:7]
	v_lshlrev_b64_e32 v[6:7], 1, v[12:13]
	v_add_nc_u64_e32 v[52:53], s[8:9], v[18:19]
	v_add_nc_u64_e32 v[54:55], s[10:11], v[18:19]
	;; [unrolled: 1-line block ×10, first 2 shown]
	s_wait_kmcnt 0x0
	s_lshl_b32 s20, s18, 3
	s_mov_b64 s[10:11], 7
	s_mul_u64 s[8:9], s[6:7], s[20:21]
	s_delay_alu instid0(SALU_CYCLE_1)
	s_lshl_b64 s[8:9], s[8:9], 1
.LBB201_53:                             ; =>This Inner Loop Header: Depth=1
	s_add_nc_u64 s[26:27], s[16:17], s[10:11]
	v_add_nc_u64_e32 v[84:85], s[16:17], v[20:21]
	v_cmp_ge_i64_e64 s13, s[26:27], s[4:5]
                                        ; implicit-def: $vgpr88
	s_and_b32 vcc_lo, exec_lo, s13
	s_mov_b32 s13, -1
	s_cbranch_vccz .LBB201_75
; %bb.54:                               ;   in Loop: Header=BB201_53 Depth=1
	s_load_b32 s13, s[22:23], 0xc
	v_mov_b32_e32 v88, 0
	s_wait_kmcnt 0x0
	s_and_b32 s13, s13, 0xffff
	s_delay_alu instid0(SALU_CYCLE_1) | instskip(SKIP_1) | instid1(VALU_DEP_1)
	v_mad_u32_u24 v3, v1, s13, v86
	s_mov_b32 s13, exec_lo
	v_and_b32_e32 v4, 31, v3
	s_delay_alu instid0(VALU_DEP_1)
	v_cmpx_gt_u32_e32 8, v4
	s_cbranch_execz .LBB201_58
; %bb.55:                               ;   in Loop: Header=BB201_53 Depth=1
	v_dual_mov_b32 v5, v2 :: v_dual_mov_b32 v88, 0
	s_mov_b32 s18, exec_lo
	s_delay_alu instid0(VALU_DEP_1) | instskip(NEXT) | instid1(VALU_DEP_1)
	v_add_nc_u64_e32 v[4:5], v[84:85], v[4:5]
	v_cmpx_gt_i64_e64 s[4:5], v[4:5]
	s_cbranch_execz .LBB201_57
; %bb.56:                               ;   in Loop: Header=BB201_53 Depth=1
	v_lshl_add_u64 v[4:5], v[4:5], 2, s[14:15]
	global_load_b32 v88, v[4:5], off
.LBB201_57:                             ;   in Loop: Header=BB201_53 Depth=1
	s_wait_xcnt 0x0
	s_or_b32 exec_lo, exec_lo, s18
.LBB201_58:                             ;   in Loop: Header=BB201_53 Depth=1
	s_delay_alu instid0(SALU_CYCLE_1) | instskip(SKIP_4) | instid1(VALU_DEP_3)
	s_or_b32 exec_lo, exec_lo, s13
	v_dual_mov_b32 v7, v2 :: v_dual_mov_b32 v8, v2
	v_dual_mov_b32 v9, v2 :: v_dual_mov_b32 v3, v2
	;; [unrolled: 1-line block ×3, first 2 shown]
	v_mov_b32_e32 v6, v2
	v_mov_b64_e32 v[18:19], v[8:9]
	s_delay_alu instid0(VALU_DEP_4)
	v_mov_b64_e32 v[12:13], v[2:3]
	s_mov_b32 s13, exec_lo
	v_mov_b64_e32 v[14:15], v[4:5]
	v_mov_b64_e32 v[16:17], v[6:7]
	;; [unrolled: 1-line block ×6, first 2 shown]
	v_cmpx_gt_i64_e64 s[4:5], v[84:85]
	s_cbranch_execz .LBB201_60
; %bb.59:                               ;   in Loop: Header=BB201_53 Depth=1
	v_add_nc_u64_e32 v[4:5], v[52:53], v[50:51]
	v_add_nc_u64_e32 v[6:7], v[54:55], v[50:51]
	v_dual_mov_b32 v9, v2 :: v_dual_mov_b32 v10, v2
	v_dual_mov_b32 v11, v2 :: v_dual_mov_b32 v13, v2
	;; [unrolled: 1-line block ×3, first 2 shown]
	global_load_u16 v3, v[4:5], off
	global_load_u16 v12, v[6:7], off
	s_wait_xcnt 0x0
	v_dual_mov_b32 v5, v2 :: v_dual_mov_b32 v6, v2
	v_dual_mov_b32 v7, v2 :: v_dual_mov_b32 v8, v2
	;; [unrolled: 1-line block ×4, first 2 shown]
	s_wait_loadcnt 0x0
	v_dual_lshlrev_b32 v4, 16, v3 :: v_dual_lshlrev_b32 v12, 16, v12
.LBB201_60:                             ;   in Loop: Header=BB201_53 Depth=1
	s_or_b32 exec_lo, exec_lo, s13
	v_add_nc_u64_e32 v[90:91], 1, v[84:85]
	s_mov_b32 s13, exec_lo
	s_delay_alu instid0(VALU_DEP_1)
	v_cmpx_gt_i64_e64 s[4:5], v[90:91]
	s_cbranch_execz .LBB201_62
; %bb.61:                               ;   in Loop: Header=BB201_53 Depth=1
	v_add_nc_u64_e32 v[90:91], v[80:81], v[50:51]
	v_add_nc_u64_e32 v[92:93], v[82:83], v[50:51]
	global_load_u16 v3, v[90:91], off
	global_load_u16 v13, v[92:93], off
	s_wait_loadcnt 0x0
	v_dual_lshlrev_b32 v5, 16, v3 :: v_dual_lshlrev_b32 v13, 16, v13
.LBB201_62:                             ;   in Loop: Header=BB201_53 Depth=1
	s_or_b32 exec_lo, exec_lo, s13
	v_add_nc_u64_e32 v[90:91], 2, v[84:85]
	s_mov_b32 s13, exec_lo
	s_delay_alu instid0(VALU_DEP_1)
	v_cmpx_gt_i64_e64 s[4:5], v[90:91]
	s_cbranch_execz .LBB201_64
; %bb.63:                               ;   in Loop: Header=BB201_53 Depth=1
	v_add_nc_u64_e32 v[90:91], v[76:77], v[50:51]
	v_add_nc_u64_e32 v[92:93], v[78:79], v[50:51]
	global_load_u16 v3, v[90:91], off
	global_load_u16 v14, v[92:93], off
	s_wait_loadcnt 0x0
	v_dual_lshlrev_b32 v6, 16, v3 :: v_dual_lshlrev_b32 v14, 16, v14
.LBB201_64:                             ;   in Loop: Header=BB201_53 Depth=1
	s_or_b32 exec_lo, exec_lo, s13
	v_add_nc_u64_e32 v[90:91], 3, v[84:85]
	s_mov_b32 s13, exec_lo
	s_delay_alu instid0(VALU_DEP_1)
	v_cmpx_gt_i64_e64 s[4:5], v[90:91]
	s_cbranch_execz .LBB201_66
; %bb.65:                               ;   in Loop: Header=BB201_53 Depth=1
	v_add_nc_u64_e32 v[90:91], v[72:73], v[50:51]
	v_add_nc_u64_e32 v[92:93], v[74:75], v[50:51]
	global_load_u16 v3, v[90:91], off
	global_load_u16 v15, v[92:93], off
	s_wait_loadcnt 0x1
	v_lshlrev_b32_e32 v7, 16, v3
	s_wait_loadcnt 0x0
	v_lshlrev_b32_e32 v15, 16, v15
.LBB201_66:                             ;   in Loop: Header=BB201_53 Depth=1
	s_or_b32 exec_lo, exec_lo, s13
	v_add_nc_u64_e32 v[90:91], 4, v[84:85]
	s_mov_b32 s13, exec_lo
	s_delay_alu instid0(VALU_DEP_1)
	v_cmpx_gt_i64_e64 s[4:5], v[90:91]
	s_cbranch_execz .LBB201_68
; %bb.67:                               ;   in Loop: Header=BB201_53 Depth=1
	v_add_nc_u64_e32 v[90:91], v[68:69], v[50:51]
	v_add_nc_u64_e32 v[92:93], v[70:71], v[50:51]
	global_load_u16 v3, v[90:91], off
	global_load_u16 v16, v[92:93], off
	s_wait_loadcnt 0x0
	v_dual_lshlrev_b32 v8, 16, v3 :: v_dual_lshlrev_b32 v16, 16, v16
.LBB201_68:                             ;   in Loop: Header=BB201_53 Depth=1
	s_or_b32 exec_lo, exec_lo, s13
	v_add_nc_u64_e32 v[90:91], 5, v[84:85]
	s_mov_b32 s13, exec_lo
	s_delay_alu instid0(VALU_DEP_1)
	v_cmpx_gt_i64_e64 s[4:5], v[90:91]
	s_cbranch_execz .LBB201_70
; %bb.69:                               ;   in Loop: Header=BB201_53 Depth=1
	v_add_nc_u64_e32 v[90:91], v[64:65], v[50:51]
	v_add_nc_u64_e32 v[92:93], v[66:67], v[50:51]
	global_load_u16 v3, v[90:91], off
	global_load_u16 v17, v[92:93], off
	s_wait_loadcnt 0x0
	v_dual_lshlrev_b32 v9, 16, v3 :: v_dual_lshlrev_b32 v17, 16, v17
.LBB201_70:                             ;   in Loop: Header=BB201_53 Depth=1
	;; [unrolled: 14-line block ×3, first 2 shown]
	s_or_b32 exec_lo, exec_lo, s13
	v_add_nc_u64_e32 v[90:91], 7, v[84:85]
	s_mov_b32 s13, exec_lo
	s_delay_alu instid0(VALU_DEP_1)
	v_cmpx_gt_i64_e64 s[4:5], v[90:91]
	s_cbranch_execz .LBB201_74
; %bb.73:                               ;   in Loop: Header=BB201_53 Depth=1
	v_add_nc_u64_e32 v[90:91], v[56:57], v[50:51]
	v_add_nc_u64_e32 v[92:93], v[58:59], v[50:51]
	global_load_u16 v3, v[90:91], off
	global_load_u16 v19, v[92:93], off
	s_wait_loadcnt 0x1
	v_lshlrev_b32_e32 v11, 16, v3
	s_wait_loadcnt 0x0
	v_lshlrev_b32_e32 v19, 16, v19
.LBB201_74:                             ;   in Loop: Header=BB201_53 Depth=1
	s_or_b32 exec_lo, exec_lo, s13
	s_wait_loadcnt 0x0
	ds_bpermute_b32 v90, v2, v88
	ds_bpermute_b32 v91, v2, v88 offset:4
	ds_bpermute_b32 v92, v2, v88 offset:8
	;; [unrolled: 1-line block ×3, first 2 shown]
	v_pk_mul_f32 v[4:5], v[12:13], v[4:5]
	ds_bpermute_b32 v12, v2, v88 offset:16
	ds_bpermute_b32 v13, v2, v88 offset:20
	v_pk_mul_f32 v[6:7], v[14:15], v[6:7]
	v_pk_mul_f32 v[8:9], v[16:17], v[8:9]
	s_mov_b32 s13, 0
	s_wait_dscnt 0x4
	v_pk_mul_f32 v[4:5], v[4:5], v[90:91]
	s_wait_dscnt 0x2
	v_pk_mul_f32 v[6:7], v[6:7], v[92:93]
	s_wait_dscnt 0x0
	v_pk_mul_f32 v[8:9], v[8:9], v[12:13]
	v_add_f32_e32 v3, v87, v4
	ds_bpermute_b32 v4, v2, v88 offset:24
	v_add_f32_e32 v3, v3, v5
	ds_bpermute_b32 v5, v2, v88 offset:28
	v_add_f32_e32 v3, v3, v6
	s_delay_alu instid0(VALU_DEP_1) | instskip(SKIP_1) | instid1(VALU_DEP_2)
	v_add_f32_e32 v3, v3, v7
	v_pk_mul_f32 v[6:7], v[18:19], v[10:11]
	v_add_f32_e32 v3, v3, v8
	s_delay_alu instid0(VALU_DEP_1) | instskip(SKIP_1) | instid1(VALU_DEP_3)
	v_add_f32_e32 v3, v3, v9
	s_wait_dscnt 0x0
	v_pk_mul_f32 v[4:5], v[6:7], v[4:5]
	s_delay_alu instid0(VALU_DEP_1) | instskip(NEXT) | instid1(VALU_DEP_1)
	v_add_f32_e32 v3, v3, v4
	v_add_f32_e32 v88, v3, v5
.LBB201_75:                             ;   in Loop: Header=BB201_53 Depth=1
	s_and_b32 vcc_lo, exec_lo, s13
	s_cbranch_vccz .LBB201_81
; %bb.76:                               ;   in Loop: Header=BB201_53 Depth=1
	s_load_b32 s13, s[22:23], 0x0
	s_wait_kmcnt 0x0
	s_cmp_lt_u32 s12, s13
	s_cselect_b32 s18, 12, 18
	s_delay_alu instid0(SALU_CYCLE_1) | instskip(SKIP_4) | instid1(VALU_DEP_1)
	s_add_nc_u64 s[26:27], s[22:23], s[18:19]
	s_load_u16 s13, s[26:27], 0x0
	s_wait_kmcnt 0x0
	v_mad_u32_u24 v3, v1, s13, v86
	s_mov_b32 s13, exec_lo
	v_dual_mov_b32 v3, 0 :: v_dual_bitop2_b32 v4, 31, v3 bitop3:0x40
	s_delay_alu instid0(VALU_DEP_1)
	v_cmpx_gt_u32_e32 8, v4
	s_cbranch_execz .LBB201_80
; %bb.77:                               ;   in Loop: Header=BB201_53 Depth=1
	v_dual_mov_b32 v5, v2 :: v_dual_mov_b32 v3, 0
	s_mov_b32 s18, exec_lo
	s_delay_alu instid0(VALU_DEP_1) | instskip(NEXT) | instid1(VALU_DEP_1)
	v_add_nc_u64_e32 v[4:5], v[84:85], v[4:5]
	v_cmpx_gt_i64_e64 s[4:5], v[4:5]
	s_cbranch_execz .LBB201_79
; %bb.78:                               ;   in Loop: Header=BB201_53 Depth=1
	v_lshl_add_u64 v[4:5], v[4:5], 2, s[14:15]
	global_load_b32 v3, v[4:5], off
.LBB201_79:                             ;   in Loop: Header=BB201_53 Depth=1
	s_wait_xcnt 0x0
	s_or_b32 exec_lo, exec_lo, s18
.LBB201_80:                             ;   in Loop: Header=BB201_53 Depth=1
	s_delay_alu instid0(SALU_CYCLE_1)
	s_or_b32 exec_lo, exec_lo, s13
	v_add_nc_u64_e32 v[4:5], v[22:23], v[50:51]
	v_add_nc_u64_e32 v[6:7], v[52:53], v[50:51]
	;; [unrolled: 1-line block ×6, first 2 shown]
	global_load_u16 v16, v[4:5], off
	global_load_u16 v17, v[6:7], off
	;; [unrolled: 1-line block ×4, first 2 shown]
	s_wait_xcnt 0x3
	v_add_nc_u64_e32 v[4:5], v[36:37], v[50:51]
	s_wait_xcnt 0x2
	v_add_nc_u64_e32 v[6:7], v[34:35], v[50:51]
	;; [unrolled: 2-line block ×3, first 2 shown]
	v_add_nc_u64_e32 v[8:9], v[28:29], v[50:51]
	global_load_u16 v84, v[14:15], off
	global_load_u16 v85, v[12:13], off
	;; [unrolled: 1-line block ×4, first 2 shown]
	s_wait_xcnt 0x1
	v_add_nc_u64_e32 v[4:5], v[44:45], v[50:51]
	s_wait_xcnt 0x0
	v_add_nc_u64_e32 v[6:7], v[40:41], v[50:51]
	s_wait_loadcnt 0x8
	ds_bpermute_b32 v12, v2, v3 offset:16
	global_load_u16 v90, v[10:11], off
	global_load_u16 v91, v[8:9], off
	;; [unrolled: 1-line block ×4, first 2 shown]
	s_wait_xcnt 0x1
	v_add_nc_u64_e32 v[4:5], v[42:43], v[50:51]
	s_wait_xcnt 0x0
	v_add_nc_u64_e32 v[6:7], v[38:39], v[50:51]
	v_add_nc_u64_e32 v[8:9], v[48:49], v[50:51]
	;; [unrolled: 1-line block ×3, first 2 shown]
	global_load_u16 v94, v[4:5], off
	global_load_u16 v95, v[6:7], off
	;; [unrolled: 1-line block ×4, first 2 shown]
	s_wait_xcnt 0x3
	ds_bpermute_b32 v4, v2, v3
	ds_bpermute_b32 v5, v2, v3 offset:4
	s_wait_xcnt 0x2
	ds_bpermute_b32 v6, v2, v3 offset:8
	ds_bpermute_b32 v7, v2, v3 offset:12
	;; [unrolled: 1-line block ×3, first 2 shown]
	s_wait_loadcnt 0xe
	s_wait_xcnt 0x1
	v_dual_lshlrev_b32 v9, 16, v16 :: v_dual_lshlrev_b32 v8, 16, v17
	s_wait_loadcnt 0xc
	s_wait_xcnt 0x0
	v_dual_lshlrev_b32 v11, 16, v18 :: v_dual_lshlrev_b32 v10, 16, v19
	s_wait_loadcnt 0x8
	v_dual_lshlrev_b32 v15, 16, v88 :: v_dual_lshlrev_b32 v14, 16, v89
	s_delay_alu instid0(VALU_DEP_2)
	v_pk_mul_f32 v[8:9], v[8:9], v[10:11]
	v_dual_lshlrev_b32 v11, 16, v84 :: v_dual_lshlrev_b32 v10, 16, v85
	s_wait_loadcnt 0x6
	v_lshlrev_b32_e32 v16, 16, v91
	s_wait_dscnt 0x3
	v_pk_mul_f32 v[4:5], v[8:9], v[4:5]
	v_lshlrev_b32_e32 v17, 16, v90
	v_pk_mul_f32 v[10:11], v[10:11], v[14:15]
	ds_bpermute_b32 v8, v2, v3 offset:24
	s_wait_loadcnt 0x5
	v_lshlrev_b32_e32 v15, 16, v92
	v_add_f32_e32 v4, v87, v4
	ds_bpermute_b32 v9, v2, v3 offset:28
	s_wait_dscnt 0x3
	v_pk_mul_f32 v[6:7], v[10:11], v[6:7]
	s_wait_loadcnt 0x3
	v_dual_add_f32 v10, v4, v5 :: v_dual_lshlrev_b32 v11, 16, v94
	s_delay_alu instid0(VALU_DEP_1) | instskip(NEXT) | instid1(VALU_DEP_1)
	v_dual_add_f32 v3, v10, v6 :: v_dual_lshlrev_b32 v14, 16, v93
	v_pk_mul_f32 v[4:5], v[16:17], v[14:15]
	s_wait_loadcnt 0x1
	v_dual_lshlrev_b32 v10, 16, v95 :: v_dual_lshlrev_b32 v15, 16, v96
	s_wait_loadcnt 0x0
	v_dual_add_f32 v3, v3, v7 :: v_dual_lshlrev_b32 v14, 16, v97
	s_wait_dscnt 0x2
	v_pk_mul_f32 v[4:5], v[4:5], v[12:13]
	s_delay_alu instid0(VALU_DEP_2) | instskip(NEXT) | instid1(VALU_DEP_2)
	v_pk_mul_f32 v[6:7], v[10:11], v[14:15]
	v_add_f32_e32 v3, v3, v4
	s_delay_alu instid0(VALU_DEP_1) | instskip(SKIP_1) | instid1(VALU_DEP_3)
	v_add_f32_e32 v3, v3, v5
	s_wait_dscnt 0x0
	v_pk_mul_f32 v[4:5], v[6:7], v[8:9]
	s_delay_alu instid0(VALU_DEP_1) | instskip(NEXT) | instid1(VALU_DEP_1)
	v_add_f32_e32 v3, v3, v4
	v_add_f32_e32 v88, v3, v5
.LBB201_81:                             ;   in Loop: Header=BB201_53 Depth=1
	s_add_nc_u64 s[24:25], s[24:25], s[20:21]
	v_add_nc_u64_e32 v[52:53], s[8:9], v[52:53]
	v_cmp_ge_i64_e64 s13, s[24:25], s[4:5]
	v_add_nc_u64_e32 v[54:55], s[8:9], v[54:55]
	v_add_nc_u64_e32 v[20:21], s[20:21], v[20:21]
	v_add_nc_u64_e32 v[22:23], s[8:9], v[22:23]
	v_add_nc_u64_e32 v[24:25], s[8:9], v[24:25]
	v_add_nc_u64_e32 v[26:27], s[8:9], v[26:27]
	v_add_nc_u64_e32 v[28:29], s[8:9], v[28:29]
	v_add_nc_u64_e32 v[30:31], s[8:9], v[30:31]
	v_add_nc_u64_e32 v[38:39], s[8:9], v[38:39]
	v_add_nc_u64_e32 v[42:43], s[8:9], v[42:43]
	v_add_nc_u64_e32 v[32:33], s[8:9], v[32:33]
	v_add_nc_u64_e32 v[34:35], s[8:9], v[34:35]
	v_add_nc_u64_e32 v[36:37], s[8:9], v[36:37]
	v_add_nc_u64_e32 v[40:41], s[8:9], v[40:41]
	v_add_nc_u64_e32 v[44:45], s[8:9], v[44:45]
	v_add_nc_u64_e32 v[46:47], s[8:9], v[46:47]
	v_add_nc_u64_e32 v[48:49], s[8:9], v[48:49]
	v_add_nc_u64_e32 v[56:57], s[8:9], v[56:57]
	v_add_nc_u64_e32 v[58:59], s[8:9], v[58:59]
	v_add_nc_u64_e32 v[60:61], s[8:9], v[60:61]
	v_add_nc_u64_e32 v[62:63], s[8:9], v[62:63]
	v_add_nc_u64_e32 v[64:65], s[8:9], v[64:65]
	v_add_nc_u64_e32 v[66:67], s[8:9], v[66:67]
	v_add_nc_u64_e32 v[68:69], s[8:9], v[68:69]
	v_add_nc_u64_e32 v[70:71], s[8:9], v[70:71]
	v_add_nc_u64_e32 v[72:73], s[8:9], v[72:73]
	v_add_nc_u64_e32 v[74:75], s[8:9], v[74:75]
	v_add_nc_u64_e32 v[76:77], s[8:9], v[76:77]
	v_add_nc_u64_e32 v[78:79], s[8:9], v[78:79]
	v_add_nc_u64_e32 v[80:81], s[8:9], v[80:81]
	v_add_nc_u64_e32 v[82:83], s[8:9], v[82:83]
	s_and_b32 vcc_lo, exec_lo, s13
	s_add_nc_u64 s[10:11], s[10:11], s[20:21]
	s_cbranch_vccnz .LBB201_83
; %bb.82:                               ;   in Loop: Header=BB201_53 Depth=1
	v_mov_b32_e32 v87, v88
	s_branch .LBB201_53
.LBB201_83:
	s_mov_b32 s13, 0
	s_delay_alu instid0(SALU_CYCLE_1)
	s_lshl_b64 s[4:5], s[12:13], 5
	s_wait_kmcnt 0x0
	s_cmp_lg_u64 s[2:3], 0
	v_and_or_b32 v2, 0x3ff, v0, s4
	v_mov_b32_e32 v3, s5
	s_cselect_b32 s4, -1, 0
	s_delay_alu instid0(VALU_DEP_1) | instskip(SKIP_1) | instid1(SALU_CYCLE_1)
	v_cmp_gt_i64_e32 vcc_lo, s[6:7], v[2:3]
	s_and_b32 s4, vcc_lo, s4
	s_and_saveexec_b32 s5, s4
	s_cbranch_execz .LBB201_85
; %bb.84:
	s_load_u16 s0, s[0:1], 0x4e
	v_bfe_u32 v4, v88, 16, 1
	v_bfe_u32 v0, v0, 10, 10
	v_cmp_o_f32_e32 vcc_lo, v88, v88
	s_delay_alu instid0(VALU_DEP_3) | instskip(NEXT) | instid1(VALU_DEP_1)
	v_add3_u32 v4, v88, v4, 0x7fff
	v_dual_mov_b32 v1, 0 :: v_dual_lshrrev_b32 v4, 16, v4
	s_delay_alu instid0(VALU_DEP_1) | instskip(SKIP_1) | instid1(VALU_DEP_2)
	v_cndmask_b32_e32 v4, 0x7fc0, v4, vcc_lo
	s_wait_kmcnt 0x0
	v_mad_nc_u64_u32 v[0:1], s0, s30, v[0:1]
	s_delay_alu instid0(VALU_DEP_1) | instskip(NEXT) | instid1(VALU_DEP_1)
	v_mul_u64_e32 v[0:1], s[6:7], v[0:1]
	v_lshl_add_u64 v[0:1], v[0:1], 1, s[2:3]
	s_delay_alu instid0(VALU_DEP_1)
	v_lshl_add_u64 v[0:1], v[2:3], 1, v[0:1]
	global_store_b16 v[0:1], v4, off
.LBB201_85:
	s_sendmsg sendmsg(MSG_DEALLOC_VGPRS)
	s_endpgm
	.section	.rodata,"a",@progbits
	.p2align	6, 0x0
	.amdhsa_kernel _ZN2at6native12_GLOBAL__N_135GammaBetaBackwardCUDAKernelTemplateIN3c108BFloat16EfLj32ELj1ELj8ELb1ELb0ELb1EEEvllPKT_S7_PKT0_SA_PS5_SB_
		.amdhsa_group_segment_fixed_size 0
		.amdhsa_private_segment_fixed_size 0
		.amdhsa_kernarg_size 320
		.amdhsa_user_sgpr_count 2
		.amdhsa_user_sgpr_dispatch_ptr 0
		.amdhsa_user_sgpr_queue_ptr 0
		.amdhsa_user_sgpr_kernarg_segment_ptr 1
		.amdhsa_user_sgpr_dispatch_id 0
		.amdhsa_user_sgpr_kernarg_preload_length 0
		.amdhsa_user_sgpr_kernarg_preload_offset 0
		.amdhsa_user_sgpr_private_segment_size 0
		.amdhsa_wavefront_size32 1
		.amdhsa_uses_dynamic_stack 0
		.amdhsa_enable_private_segment 0
		.amdhsa_system_sgpr_workgroup_id_x 1
		.amdhsa_system_sgpr_workgroup_id_y 1
		.amdhsa_system_sgpr_workgroup_id_z 0
		.amdhsa_system_sgpr_workgroup_info 0
		.amdhsa_system_vgpr_workitem_id 1
		.amdhsa_next_free_vgpr 98
		.amdhsa_next_free_sgpr 36
		.amdhsa_named_barrier_count 0
		.amdhsa_reserve_vcc 1
		.amdhsa_float_round_mode_32 0
		.amdhsa_float_round_mode_16_64 0
		.amdhsa_float_denorm_mode_32 3
		.amdhsa_float_denorm_mode_16_64 3
		.amdhsa_fp16_overflow 0
		.amdhsa_memory_ordered 1
		.amdhsa_forward_progress 1
		.amdhsa_inst_pref_size 44
		.amdhsa_round_robin_scheduling 0
		.amdhsa_exception_fp_ieee_invalid_op 0
		.amdhsa_exception_fp_denorm_src 0
		.amdhsa_exception_fp_ieee_div_zero 0
		.amdhsa_exception_fp_ieee_overflow 0
		.amdhsa_exception_fp_ieee_underflow 0
		.amdhsa_exception_fp_ieee_inexact 0
		.amdhsa_exception_int_div_zero 0
	.end_amdhsa_kernel
	.section	.text._ZN2at6native12_GLOBAL__N_135GammaBetaBackwardCUDAKernelTemplateIN3c108BFloat16EfLj32ELj1ELj8ELb1ELb0ELb1EEEvllPKT_S7_PKT0_SA_PS5_SB_,"axG",@progbits,_ZN2at6native12_GLOBAL__N_135GammaBetaBackwardCUDAKernelTemplateIN3c108BFloat16EfLj32ELj1ELj8ELb1ELb0ELb1EEEvllPKT_S7_PKT0_SA_PS5_SB_,comdat
.Lfunc_end201:
	.size	_ZN2at6native12_GLOBAL__N_135GammaBetaBackwardCUDAKernelTemplateIN3c108BFloat16EfLj32ELj1ELj8ELb1ELb0ELb1EEEvllPKT_S7_PKT0_SA_PS5_SB_, .Lfunc_end201-_ZN2at6native12_GLOBAL__N_135GammaBetaBackwardCUDAKernelTemplateIN3c108BFloat16EfLj32ELj1ELj8ELb1ELb0ELb1EEEvllPKT_S7_PKT0_SA_PS5_SB_
                                        ; -- End function
	.set _ZN2at6native12_GLOBAL__N_135GammaBetaBackwardCUDAKernelTemplateIN3c108BFloat16EfLj32ELj1ELj8ELb1ELb0ELb1EEEvllPKT_S7_PKT0_SA_PS5_SB_.num_vgpr, 98
	.set _ZN2at6native12_GLOBAL__N_135GammaBetaBackwardCUDAKernelTemplateIN3c108BFloat16EfLj32ELj1ELj8ELb1ELb0ELb1EEEvllPKT_S7_PKT0_SA_PS5_SB_.num_agpr, 0
	.set _ZN2at6native12_GLOBAL__N_135GammaBetaBackwardCUDAKernelTemplateIN3c108BFloat16EfLj32ELj1ELj8ELb1ELb0ELb1EEEvllPKT_S7_PKT0_SA_PS5_SB_.numbered_sgpr, 36
	.set _ZN2at6native12_GLOBAL__N_135GammaBetaBackwardCUDAKernelTemplateIN3c108BFloat16EfLj32ELj1ELj8ELb1ELb0ELb1EEEvllPKT_S7_PKT0_SA_PS5_SB_.num_named_barrier, 0
	.set _ZN2at6native12_GLOBAL__N_135GammaBetaBackwardCUDAKernelTemplateIN3c108BFloat16EfLj32ELj1ELj8ELb1ELb0ELb1EEEvllPKT_S7_PKT0_SA_PS5_SB_.private_seg_size, 0
	.set _ZN2at6native12_GLOBAL__N_135GammaBetaBackwardCUDAKernelTemplateIN3c108BFloat16EfLj32ELj1ELj8ELb1ELb0ELb1EEEvllPKT_S7_PKT0_SA_PS5_SB_.uses_vcc, 1
	.set _ZN2at6native12_GLOBAL__N_135GammaBetaBackwardCUDAKernelTemplateIN3c108BFloat16EfLj32ELj1ELj8ELb1ELb0ELb1EEEvllPKT_S7_PKT0_SA_PS5_SB_.uses_flat_scratch, 0
	.set _ZN2at6native12_GLOBAL__N_135GammaBetaBackwardCUDAKernelTemplateIN3c108BFloat16EfLj32ELj1ELj8ELb1ELb0ELb1EEEvllPKT_S7_PKT0_SA_PS5_SB_.has_dyn_sized_stack, 0
	.set _ZN2at6native12_GLOBAL__N_135GammaBetaBackwardCUDAKernelTemplateIN3c108BFloat16EfLj32ELj1ELj8ELb1ELb0ELb1EEEvllPKT_S7_PKT0_SA_PS5_SB_.has_recursion, 0
	.set _ZN2at6native12_GLOBAL__N_135GammaBetaBackwardCUDAKernelTemplateIN3c108BFloat16EfLj32ELj1ELj8ELb1ELb0ELb1EEEvllPKT_S7_PKT0_SA_PS5_SB_.has_indirect_call, 0
	.section	.AMDGPU.csdata,"",@progbits
; Kernel info:
; codeLenInByte = 5568
; TotalNumSgprs: 38
; NumVgprs: 98
; ScratchSize: 0
; MemoryBound: 0
; FloatMode: 240
; IeeeMode: 1
; LDSByteSize: 0 bytes/workgroup (compile time only)
; SGPRBlocks: 0
; VGPRBlocks: 6
; NumSGPRsForWavesPerEU: 38
; NumVGPRsForWavesPerEU: 98
; NamedBarCnt: 0
; Occupancy: 9
; WaveLimiterHint : 0
; COMPUTE_PGM_RSRC2:SCRATCH_EN: 0
; COMPUTE_PGM_RSRC2:USER_SGPR: 2
; COMPUTE_PGM_RSRC2:TRAP_HANDLER: 0
; COMPUTE_PGM_RSRC2:TGID_X_EN: 1
; COMPUTE_PGM_RSRC2:TGID_Y_EN: 1
; COMPUTE_PGM_RSRC2:TGID_Z_EN: 0
; COMPUTE_PGM_RSRC2:TIDIG_COMP_CNT: 1
	.section	.text._ZN2at6native12_GLOBAL__N_135GammaBetaBackwardCUDAKernelTemplateIN3c108BFloat16EfLj32ELj8ELj64ELb0ELb1ELb1EEEvllPKT_S7_PKT0_SA_PS5_SB_,"axG",@progbits,_ZN2at6native12_GLOBAL__N_135GammaBetaBackwardCUDAKernelTemplateIN3c108BFloat16EfLj32ELj8ELj64ELb0ELb1ELb1EEEvllPKT_S7_PKT0_SA_PS5_SB_,comdat
	.globl	_ZN2at6native12_GLOBAL__N_135GammaBetaBackwardCUDAKernelTemplateIN3c108BFloat16EfLj32ELj8ELj64ELb0ELb1ELb1EEEvllPKT_S7_PKT0_SA_PS5_SB_ ; -- Begin function _ZN2at6native12_GLOBAL__N_135GammaBetaBackwardCUDAKernelTemplateIN3c108BFloat16EfLj32ELj8ELj64ELb0ELb1ELb1EEEvllPKT_S7_PKT0_SA_PS5_SB_
	.p2align	8
	.type	_ZN2at6native12_GLOBAL__N_135GammaBetaBackwardCUDAKernelTemplateIN3c108BFloat16EfLj32ELj8ELj64ELb0ELb1ELb1EEEvllPKT_S7_PKT0_SA_PS5_SB_,@function
_ZN2at6native12_GLOBAL__N_135GammaBetaBackwardCUDAKernelTemplateIN3c108BFloat16EfLj32ELj8ELj64ELb0ELb1ELb1EEEvllPKT_S7_PKT0_SA_PS5_SB_: ; @_ZN2at6native12_GLOBAL__N_135GammaBetaBackwardCUDAKernelTemplateIN3c108BFloat16EfLj32ELj8ELj64ELb0ELb1ELb1EEEvllPKT_S7_PKT0_SA_PS5_SB_
; %bb.0:
	s_load_b128 s[4:7], s[0:1], 0x0
	s_bfe_u32 s2, ttmp6, 0x40010
	s_bfe_u32 s3, ttmp6, 0x40004
	s_add_co_i32 s2, s2, 1
	s_getreg_b32 s20, hwreg(HW_REG_IB_STS2, 6, 4)
	s_mul_i32 s2, ttmp7, s2
	s_mov_b32 s13, 0
	s_add_co_i32 s3, s3, s2
	s_cmp_eq_u32 s20, 0
	v_bfe_u32 v9, v0, 10, 10
	s_cselect_b32 s2, ttmp7, s3
	s_delay_alu instid0(SALU_CYCLE_1)
	s_lshl_b32 s12, s2, 6
	s_wait_kmcnt 0x0
	v_cmp_gt_i64_e64 s2, s[4:5], s[12:13]
	s_and_b32 vcc_lo, exec_lo, s2
	s_cbranch_vccnz .LBB202_2
; %bb.1:
	v_bfe_u32 v1, v0, 10, 10
	s_mov_b32 s2, s13
	v_and_b32_e32 v8, 0x3ff, v0
	v_mov_b32_e32 v16, 0
	s_and_not1_b32 vcc_lo, exec_lo, s2
	s_cbranch_vccz .LBB202_3
	s_branch .LBB202_10
.LBB202_2:
                                        ; implicit-def: $vgpr1
	v_and_b32_e32 v8, 0x3ff, v0
	v_mov_b32_e32 v16, 0
.LBB202_3:
	v_dual_mov_b32 v1, 0 :: v_dual_lshlrev_b32 v0, 3, v9
	s_load_b32 s2, s[0:1], 0x4c
	s_bfe_u32 s14, ttmp6, 0x4000c
	s_clause 0x2
	s_load_b32 s3, s[0:1], 0x44
	s_load_b128 s[8:11], s[0:1], 0x10
	s_load_b64 s[16:17], s[0:1], 0x28
	s_add_co_i32 s14, s14, 1
	v_add_nc_u64_e32 v[2:3], s[12:13], v[0:1]
	s_and_b32 s18, ttmp6, 15
	s_mul_i32 s14, ttmp9, s14
	v_dual_mov_b32 v5, v1 :: v_dual_mov_b32 v15, v1
	s_add_co_i32 s18, s18, s14
	s_mov_b32 s15, 0
	s_delay_alu instid0(VALU_DEP_2)
	v_mul_u64_e32 v[6:7], s[6:7], v[2:3]
	v_dual_mov_b32 v0, 8 :: v_dual_mov_b32 v10, 4
	v_dual_mov_b32 v12, 16 :: v_dual_mov_b32 v13, 20
	v_mov_b32_e32 v11, 12
	s_wait_kmcnt 0x0
	s_and_b32 s2, s2, 0xffff
	s_cmp_eq_u32 s20, 0
	v_mad_u32_u24 v4, v9, s2, v8
	s_cselect_b32 s2, ttmp9, s18
	s_lshl_b32 s14, s3, 6
	v_lshl_add_u32 v14, s2, 5, v8
	s_mul_u64 s[18:19], s[6:7], s[14:15]
	v_and_b32_e32 v4, 31, v4
	s_lshl_b64 s[18:19], s[18:19], 1
	s_lshl_b64 s[6:7], s[6:7], 1
	v_lshlrev_b64_e32 v[16:17], 1, v[14:15]
	v_dual_mov_b32 v14, 24 :: v_dual_mov_b32 v15, 28
	v_add_nc_u64_e32 v[2:3], v[2:3], v[4:5]
	v_cmp_gt_u32_e64 s2, 8, v4
	s_delay_alu instid0(VALU_DEP_2)
	v_lshl_add_u64 v[4:5], v[2:3], 2, s[16:17]
	s_lshl_b64 s[16:17], s[14:15], 2
	v_lshl_add_u64 v[6:7], v[6:7], 1, v[16:17]
	v_mov_b32_e32 v16, 0
	s_branch .LBB202_6
.LBB202_4:                              ;   in Loop: Header=BB202_6 Depth=1
	s_wait_xcnt 0x0
	s_or_b32 exec_lo, exec_lo, s21
.LBB202_5:                              ;   in Loop: Header=BB202_6 Depth=1
	s_delay_alu instid0(SALU_CYCLE_1)
	s_or_b32 exec_lo, exec_lo, s3
	v_add_nc_u64_e32 v[18:19], s[8:9], v[6:7]
	v_add_nc_u64_e32 v[20:21], s[10:11], v[6:7]
	s_add_nc_u64 s[12:13], s[12:13], s[14:15]
	v_add_nc_u64_e32 v[4:5], s[16:17], v[4:5]
	v_cmp_lt_i64_e64 s3, s[12:13], s[4:5]
	v_add_nc_u64_e32 v[2:3], s[14:15], v[2:3]
	v_add_nc_u64_e32 v[6:7], s[18:19], v[6:7]
	;; [unrolled: 1-line block ×4, first 2 shown]
	global_load_u16 v30, v[18:19], off
	global_load_u16 v31, v[20:21], off
	;; [unrolled: 1-line block ×4, first 2 shown]
	s_and_b32 vcc_lo, exec_lo, s3
	v_add_nc_u64_e32 v[26:27], s[6:7], v[22:23]
	v_add_nc_u64_e32 v[28:29], s[6:7], v[24:25]
	global_load_u16 v34, v[26:27], off
	global_load_u16 v35, v[28:29], off
	s_wait_xcnt 0x5
	v_add_nc_u64_e32 v[18:19], s[6:7], v[26:27]
	s_wait_xcnt 0x4
	v_add_nc_u64_e32 v[20:21], s[6:7], v[28:29]
	global_load_u16 v27, v[18:19], off
	global_load_u16 v28, v[20:21], off
	v_add_nc_u64_e32 v[22:23], s[6:7], v[18:19]
	v_add_nc_u64_e32 v[24:25], s[6:7], v[20:21]
	global_load_u16 v29, v[22:23], off
	global_load_u16 v36, v[24:25], off
	s_wait_xcnt 0x3
	v_add_nc_u64_e32 v[18:19], s[6:7], v[22:23]
	s_wait_xcnt 0x2
	v_add_nc_u64_e32 v[20:21], s[6:7], v[24:25]
	global_load_u16 v37, v[18:19], off
	global_load_u16 v38, v[20:21], off
	s_wait_xcnt 0x3
	v_add_nc_u64_e32 v[22:23], s[6:7], v[18:19]
	s_wait_xcnt 0x2
	v_add_nc_u64_e32 v[24:25], s[6:7], v[20:21]
	s_wait_xcnt 0x1
	s_delay_alu instid0(VALU_DEP_2) | instskip(SKIP_1) | instid1(VALU_DEP_2)
	v_add_nc_u64_e32 v[18:19], s[6:7], v[22:23]
	s_wait_xcnt 0x0
	v_add_nc_u64_e32 v[20:21], s[6:7], v[24:25]
	global_load_u16 v39, v[22:23], off
	global_load_u16 v40, v[24:25], off
	;; [unrolled: 1-line block ×4, first 2 shown]
	s_wait_loadcnt 0x10
	s_wait_xcnt 0x1
	ds_bpermute_b32 v18, v1, v17
	ds_bpermute_b32 v19, v10, v17
	;; [unrolled: 1-line block ×4, first 2 shown]
	s_wait_loadcnt 0xe
	s_wait_xcnt 0x0
	v_dual_lshlrev_b32 v20, 16, v30 :: v_dual_lshlrev_b32 v22, 16, v31
	s_wait_loadcnt 0xc
	v_dual_lshlrev_b32 v21, 16, v32 :: v_dual_lshlrev_b32 v23, 16, v33
	s_delay_alu instid0(VALU_DEP_1) | instskip(SKIP_3) | instid1(VALU_DEP_2)
	v_pk_mul_f32 v[20:21], v[20:21], v[22:23]
	s_wait_loadcnt 0xa
	v_dual_lshlrev_b32 v22, 16, v34 :: v_dual_lshlrev_b32 v26, 16, v35
	s_wait_dscnt 0x2
	v_pk_mul_f32 v[18:19], v[20:21], v[18:19]
	ds_bpermute_b32 v20, v12, v17
	ds_bpermute_b32 v21, v13, v17
	s_wait_loadcnt 0x9
	v_dual_add_f32 v18, v16, v18 :: v_dual_lshlrev_b32 v23, 16, v27
	s_wait_loadcnt 0x8
	v_lshlrev_b32_e32 v27, 16, v28
	ds_bpermute_b32 v16, v14, v17
	ds_bpermute_b32 v17, v15, v17
	v_pk_mul_f32 v[22:23], v[22:23], v[26:27]
	s_wait_dscnt 0x4
	s_delay_alu instid0(VALU_DEP_1)
	v_pk_mul_f32 v[22:23], v[22:23], v[24:25]
	s_wait_loadcnt 0x6
	v_dual_lshlrev_b32 v24, 16, v36 :: v_dual_add_f32 v26, v18, v19
	v_lshlrev_b32_e32 v18, 16, v29
	s_wait_loadcnt 0x4
	v_dual_lshlrev_b32 v19, 16, v37 :: v_dual_lshlrev_b32 v25, 16, v38
	s_delay_alu instid0(VALU_DEP_3) | instskip(NEXT) | instid1(VALU_DEP_2)
	v_add_f32_e32 v22, v26, v22
	v_pk_mul_f32 v[18:19], v[18:19], v[24:25]
	s_wait_dscnt 0x2
	s_delay_alu instid0(VALU_DEP_1)
	v_pk_mul_f32 v[18:19], v[18:19], v[20:21]
	s_wait_loadcnt 0x2
	v_dual_lshlrev_b32 v24, 16, v40 :: v_dual_add_f32 v26, v22, v23
	s_wait_loadcnt 0x1
	v_dual_lshlrev_b32 v23, 16, v41 :: v_dual_lshlrev_b32 v22, 16, v39
	s_wait_loadcnt 0x0
	v_lshlrev_b32_e32 v25, 16, v42
	s_delay_alu instid0(VALU_DEP_1) | instskip(SKIP_1) | instid1(VALU_DEP_1)
	v_pk_mul_f32 v[20:21], v[22:23], v[24:25]
	s_wait_dscnt 0x0
	v_pk_mul_f32 v[16:17], v[20:21], v[16:17]
	v_add_f32_e32 v18, v26, v18
	s_delay_alu instid0(VALU_DEP_1) | instskip(NEXT) | instid1(VALU_DEP_1)
	v_add_f32_e32 v18, v18, v19
	v_add_f32_e32 v16, v18, v16
	s_delay_alu instid0(VALU_DEP_1)
	v_add_f32_e32 v16, v16, v17
	s_cbranch_vccz .LBB202_9
.LBB202_6:                              ; =>This Inner Loop Header: Depth=1
	v_mov_b32_e32 v17, 0
	s_and_saveexec_b32 s3, s2
	s_cbranch_execz .LBB202_5
; %bb.7:                                ;   in Loop: Header=BB202_6 Depth=1
	v_mov_b32_e32 v17, 0
	s_mov_b32 s21, exec_lo
	v_cmpx_gt_i64_e64 s[4:5], v[2:3]
	s_cbranch_execz .LBB202_4
; %bb.8:                                ;   in Loop: Header=BB202_6 Depth=1
	global_load_b32 v17, v[4:5], off
	s_branch .LBB202_4
.LBB202_9:
	v_mov_b32_e32 v1, v9
.LBB202_10:
	s_load_b64 s[2:3], s[0:1], 0x30
	s_delay_alu instid0(VALU_DEP_1) | instskip(SKIP_3) | instid1(VALU_DEP_2)
	v_mad_u32_u24 v0, v1, 33, v8
	v_dual_lshrrev_b32 v2, 5, v8 :: v_dual_mov_b32 v4, 0
	s_wait_xcnt 0x0
	s_mov_b32 s0, exec_lo
	v_lshl_add_u32 v3, v0, 2, 0
	s_delay_alu instid0(VALU_DEP_2)
	v_add_nc_u32_e32 v0, v2, v1
	ds_store_b32 v3, v16
	ds_store_b32 v3, v4 offset:1056
	s_wait_dscnt 0x0
	s_barrier_signal -1
	s_barrier_wait -1
	v_cmpx_gt_u32_e32 32, v0
	s_cbranch_execz .LBB202_30
; %bb.11:
	v_and_b32_e32 v1, 31, v8
                                        ; implicit-def: $vgpr4
	s_delay_alu instid0(VALU_DEP_1)
	v_cmp_gt_u32_e32 vcc_lo, 8, v1
	v_mul_u32_u24_e32 v1, 33, v1
	s_and_saveexec_b32 s0, vcc_lo
; %bb.12:
	s_delay_alu instid0(VALU_DEP_1) | instskip(NEXT) | instid1(VALU_DEP_1)
	v_dual_lshlrev_b32 v2, 2, v0 :: v_dual_lshlrev_b32 v3, 2, v1
	v_add3_u32 v2, 0, v2, v3
	ds_load_b32 v4, v2
; %bb.13:
	s_or_b32 exec_lo, exec_lo, s0
	v_mbcnt_lo_u32_b32 v5, -1, 0
	s_wait_kmcnt 0x0
	s_cmp_lg_u64 s[2:3], 0
	s_cselect_b32 s1, -1, 0
	s_bfe_u32 s4, ttmp6, 0x4000c
	v_xor_b32_e32 v3, 2, v5
	v_xor_b32_e32 v2, 4, v5
	s_add_co_i32 s4, s4, 1
	s_and_b32 s5, ttmp6, 15
	s_mul_i32 s4, ttmp9, s4
	v_xor_b32_e32 v7, 1, v5
	v_cmp_gt_i32_e64 s0, 32, v2
	s_delay_alu instid0(VALU_DEP_1) | instskip(SKIP_1) | instid1(VALU_DEP_1)
	v_cndmask_b32_e64 v2, v5, v2, s0
	v_cmp_gt_i32_e64 s0, 32, v3
	v_cndmask_b32_e64 v3, v5, v3, s0
	v_cmp_gt_i32_e64 s0, 32, v7
	s_delay_alu instid0(VALU_DEP_2)
	v_dual_lshlrev_b32 v3, 2, v3 :: v_dual_lshlrev_b32 v2, 2, v2
	s_wait_dscnt 0x0
	ds_bpermute_b32 v6, v2, v4
	s_wait_dscnt 0x0
	v_add_f32_e32 v4, v4, v6
	ds_bpermute_b32 v6, v3, v4
	v_cndmask_b32_e64 v5, v5, v7, s0
	v_cmp_eq_u32_e64 s0, 0, v8
	s_and_b32 s1, s0, s1
	s_add_co_i32 s0, s5, s4
	s_cmp_eq_u32 s20, 0
	s_mov_b32 s5, 0
	s_cselect_b32 s4, ttmp9, s0
	s_delay_alu instid0(SALU_CYCLE_1) | instskip(NEXT) | instid1(SALU_CYCLE_1)
	s_lshl_b64 s[4:5], s[4:5], 6
	s_add_nc_u64 s[2:3], s[2:3], s[4:5]
	s_wait_dscnt 0x0
	v_dual_add_f32 v6, v4, v6 :: v_dual_lshlrev_b32 v4, 2, v5
	ds_bpermute_b32 v5, v4, v6
	s_wait_dscnt 0x0
	v_add_f32_e32 v5, v6, v5
	s_and_saveexec_b32 s4, s1
	s_cbranch_execz .LBB202_15
; %bb.14:
	s_delay_alu instid0(VALU_DEP_1) | instskip(SKIP_1) | instid1(VALU_DEP_2)
	v_bfe_u32 v6, v5, 16, 1
	v_cmp_o_f32_e64 s0, v5, v5
	v_add3_u32 v6, v5, v6, 0x7fff
	s_delay_alu instid0(VALU_DEP_1) | instskip(NEXT) | instid1(VALU_DEP_1)
	v_lshrrev_b32_e32 v6, 16, v6
	v_cndmask_b32_e64 v6, 0x7fc0, v6, s0
	global_store_b16 v0, v6, s[2:3] scale_offset
.LBB202_15:
	s_wait_xcnt 0x0
	s_or_b32 exec_lo, exec_lo, s4
	v_cmp_gt_u32_e64 s0, 24, v0
	s_and_b32 exec_lo, exec_lo, s0
	s_cbranch_execz .LBB202_30
; %bb.16:
	s_and_saveexec_b32 s0, vcc_lo
; %bb.17:
	v_dual_lshlrev_b32 v5, 2, v0 :: v_dual_lshlrev_b32 v6, 2, v1
	s_delay_alu instid0(VALU_DEP_1)
	v_add3_u32 v5, 0, v5, v6
	ds_load_b32 v5, v5 offset:32
; %bb.18:
	s_or_b32 exec_lo, exec_lo, s0
	s_wait_dscnt 0x0
	ds_bpermute_b32 v6, v2, v5
	s_wait_dscnt 0x0
	v_add_f32_e32 v5, v5, v6
	ds_bpermute_b32 v6, v3, v5
	s_wait_dscnt 0x0
	v_add_f32_e32 v5, v5, v6
	;; [unrolled: 3-line block ×3, first 2 shown]
	s_and_saveexec_b32 s4, s1
	s_cbranch_execz .LBB202_20
; %bb.19:
	s_delay_alu instid0(VALU_DEP_1) | instskip(SKIP_1) | instid1(VALU_DEP_2)
	v_bfe_u32 v6, v5, 16, 1
	v_cmp_o_f32_e64 s0, v5, v5
	v_add3_u32 v6, v5, v6, 0x7fff
	s_delay_alu instid0(VALU_DEP_1) | instskip(NEXT) | instid1(VALU_DEP_1)
	v_lshrrev_b32_e32 v6, 16, v6
	v_cndmask_b32_e64 v6, 0x7fc0, v6, s0
	global_store_b16 v0, v6, s[2:3] offset:16 scale_offset
.LBB202_20:
	s_wait_xcnt 0x0
	s_or_b32 exec_lo, exec_lo, s4
	v_cmp_gt_u32_e64 s0, 16, v0
	s_and_b32 exec_lo, exec_lo, s0
	s_cbranch_execz .LBB202_30
; %bb.21:
	s_and_saveexec_b32 s0, vcc_lo
; %bb.22:
	v_dual_lshlrev_b32 v5, 2, v0 :: v_dual_lshlrev_b32 v6, 2, v1
	s_delay_alu instid0(VALU_DEP_1)
	v_add3_u32 v5, 0, v5, v6
	ds_load_b32 v5, v5 offset:64
; %bb.23:
	s_or_b32 exec_lo, exec_lo, s0
	s_wait_dscnt 0x0
	ds_bpermute_b32 v6, v2, v5
	s_wait_dscnt 0x0
	v_add_f32_e32 v5, v5, v6
	ds_bpermute_b32 v6, v3, v5
	s_wait_dscnt 0x0
	v_add_f32_e32 v5, v5, v6
	;; [unrolled: 3-line block ×3, first 2 shown]
	s_and_saveexec_b32 s4, s1
	s_cbranch_execz .LBB202_25
; %bb.24:
	s_delay_alu instid0(VALU_DEP_1) | instskip(SKIP_1) | instid1(VALU_DEP_2)
	v_bfe_u32 v6, v5, 16, 1
	v_cmp_o_f32_e64 s0, v5, v5
	v_add3_u32 v6, v5, v6, 0x7fff
	s_delay_alu instid0(VALU_DEP_1) | instskip(NEXT) | instid1(VALU_DEP_1)
	v_lshrrev_b32_e32 v6, 16, v6
	v_cndmask_b32_e64 v6, 0x7fc0, v6, s0
	global_store_b16 v0, v6, s[2:3] offset:32 scale_offset
.LBB202_25:
	s_wait_xcnt 0x0
	s_or_b32 exec_lo, exec_lo, s4
	v_cmp_gt_u32_e64 s0, 8, v0
	s_and_b32 exec_lo, exec_lo, s0
	s_cbranch_execz .LBB202_30
; %bb.26:
	s_and_saveexec_b32 s0, vcc_lo
; %bb.27:
	v_dual_lshlrev_b32 v5, 2, v0 :: v_dual_lshlrev_b32 v1, 2, v1
	s_delay_alu instid0(VALU_DEP_1)
	v_add3_u32 v1, 0, v5, v1
	ds_load_b32 v5, v1 offset:96
; %bb.28:
	s_or_b32 exec_lo, exec_lo, s0
	s_wait_dscnt 0x0
	ds_bpermute_b32 v1, v2, v5
	s_wait_dscnt 0x0
	v_add_f32_e32 v1, v5, v1
	ds_bpermute_b32 v2, v3, v1
	s_wait_dscnt 0x0
	v_add_f32_e32 v1, v1, v2
	ds_bpermute_b32 v2, v4, v1
	s_and_saveexec_b32 s0, s1
	s_delay_alu instid0(SALU_CYCLE_1)
	s_xor_b32 s0, exec_lo, s0
	s_cbranch_execz .LBB202_30
; %bb.29:
	s_wait_dscnt 0x0
	v_add_f32_e32 v1, v1, v2
	s_delay_alu instid0(VALU_DEP_1) | instskip(NEXT) | instid1(VALU_DEP_1)
	v_bfe_u32 v2, v1, 16, 1
	v_add3_u32 v2, v1, v2, 0x7fff
	s_delay_alu instid0(VALU_DEP_1) | instskip(SKIP_1) | instid1(VALU_DEP_2)
	v_lshrrev_b32_e32 v2, 16, v2
	v_cmp_o_f32_e32 vcc_lo, v1, v1
	v_cndmask_b32_e32 v1, 0x7fc0, v2, vcc_lo
	global_store_b16 v0, v1, s[2:3] offset:48 scale_offset
.LBB202_30:
	s_endpgm
	.section	.rodata,"a",@progbits
	.p2align	6, 0x0
	.amdhsa_kernel _ZN2at6native12_GLOBAL__N_135GammaBetaBackwardCUDAKernelTemplateIN3c108BFloat16EfLj32ELj8ELj64ELb0ELb1ELb1EEEvllPKT_S7_PKT0_SA_PS5_SB_
		.amdhsa_group_segment_fixed_size 0
		.amdhsa_private_segment_fixed_size 0
		.amdhsa_kernarg_size 320
		.amdhsa_user_sgpr_count 2
		.amdhsa_user_sgpr_dispatch_ptr 0
		.amdhsa_user_sgpr_queue_ptr 0
		.amdhsa_user_sgpr_kernarg_segment_ptr 1
		.amdhsa_user_sgpr_dispatch_id 0
		.amdhsa_user_sgpr_kernarg_preload_length 0
		.amdhsa_user_sgpr_kernarg_preload_offset 0
		.amdhsa_user_sgpr_private_segment_size 0
		.amdhsa_wavefront_size32 1
		.amdhsa_uses_dynamic_stack 0
		.amdhsa_enable_private_segment 0
		.amdhsa_system_sgpr_workgroup_id_x 1
		.amdhsa_system_sgpr_workgroup_id_y 1
		.amdhsa_system_sgpr_workgroup_id_z 0
		.amdhsa_system_sgpr_workgroup_info 0
		.amdhsa_system_vgpr_workitem_id 1
		.amdhsa_next_free_vgpr 43
		.amdhsa_next_free_sgpr 22
		.amdhsa_named_barrier_count 0
		.amdhsa_reserve_vcc 1
		.amdhsa_float_round_mode_32 0
		.amdhsa_float_round_mode_16_64 0
		.amdhsa_float_denorm_mode_32 3
		.amdhsa_float_denorm_mode_16_64 3
		.amdhsa_fp16_overflow 0
		.amdhsa_memory_ordered 1
		.amdhsa_forward_progress 1
		.amdhsa_inst_pref_size 17
		.amdhsa_round_robin_scheduling 0
		.amdhsa_exception_fp_ieee_invalid_op 0
		.amdhsa_exception_fp_denorm_src 0
		.amdhsa_exception_fp_ieee_div_zero 0
		.amdhsa_exception_fp_ieee_overflow 0
		.amdhsa_exception_fp_ieee_underflow 0
		.amdhsa_exception_fp_ieee_inexact 0
		.amdhsa_exception_int_div_zero 0
	.end_amdhsa_kernel
	.section	.text._ZN2at6native12_GLOBAL__N_135GammaBetaBackwardCUDAKernelTemplateIN3c108BFloat16EfLj32ELj8ELj64ELb0ELb1ELb1EEEvllPKT_S7_PKT0_SA_PS5_SB_,"axG",@progbits,_ZN2at6native12_GLOBAL__N_135GammaBetaBackwardCUDAKernelTemplateIN3c108BFloat16EfLj32ELj8ELj64ELb0ELb1ELb1EEEvllPKT_S7_PKT0_SA_PS5_SB_,comdat
.Lfunc_end202:
	.size	_ZN2at6native12_GLOBAL__N_135GammaBetaBackwardCUDAKernelTemplateIN3c108BFloat16EfLj32ELj8ELj64ELb0ELb1ELb1EEEvllPKT_S7_PKT0_SA_PS5_SB_, .Lfunc_end202-_ZN2at6native12_GLOBAL__N_135GammaBetaBackwardCUDAKernelTemplateIN3c108BFloat16EfLj32ELj8ELj64ELb0ELb1ELb1EEEvllPKT_S7_PKT0_SA_PS5_SB_
                                        ; -- End function
	.set _ZN2at6native12_GLOBAL__N_135GammaBetaBackwardCUDAKernelTemplateIN3c108BFloat16EfLj32ELj8ELj64ELb0ELb1ELb1EEEvllPKT_S7_PKT0_SA_PS5_SB_.num_vgpr, 43
	.set _ZN2at6native12_GLOBAL__N_135GammaBetaBackwardCUDAKernelTemplateIN3c108BFloat16EfLj32ELj8ELj64ELb0ELb1ELb1EEEvllPKT_S7_PKT0_SA_PS5_SB_.num_agpr, 0
	.set _ZN2at6native12_GLOBAL__N_135GammaBetaBackwardCUDAKernelTemplateIN3c108BFloat16EfLj32ELj8ELj64ELb0ELb1ELb1EEEvllPKT_S7_PKT0_SA_PS5_SB_.numbered_sgpr, 22
	.set _ZN2at6native12_GLOBAL__N_135GammaBetaBackwardCUDAKernelTemplateIN3c108BFloat16EfLj32ELj8ELj64ELb0ELb1ELb1EEEvllPKT_S7_PKT0_SA_PS5_SB_.num_named_barrier, 0
	.set _ZN2at6native12_GLOBAL__N_135GammaBetaBackwardCUDAKernelTemplateIN3c108BFloat16EfLj32ELj8ELj64ELb0ELb1ELb1EEEvllPKT_S7_PKT0_SA_PS5_SB_.private_seg_size, 0
	.set _ZN2at6native12_GLOBAL__N_135GammaBetaBackwardCUDAKernelTemplateIN3c108BFloat16EfLj32ELj8ELj64ELb0ELb1ELb1EEEvllPKT_S7_PKT0_SA_PS5_SB_.uses_vcc, 1
	.set _ZN2at6native12_GLOBAL__N_135GammaBetaBackwardCUDAKernelTemplateIN3c108BFloat16EfLj32ELj8ELj64ELb0ELb1ELb1EEEvllPKT_S7_PKT0_SA_PS5_SB_.uses_flat_scratch, 0
	.set _ZN2at6native12_GLOBAL__N_135GammaBetaBackwardCUDAKernelTemplateIN3c108BFloat16EfLj32ELj8ELj64ELb0ELb1ELb1EEEvllPKT_S7_PKT0_SA_PS5_SB_.has_dyn_sized_stack, 0
	.set _ZN2at6native12_GLOBAL__N_135GammaBetaBackwardCUDAKernelTemplateIN3c108BFloat16EfLj32ELj8ELj64ELb0ELb1ELb1EEEvllPKT_S7_PKT0_SA_PS5_SB_.has_recursion, 0
	.set _ZN2at6native12_GLOBAL__N_135GammaBetaBackwardCUDAKernelTemplateIN3c108BFloat16EfLj32ELj8ELj64ELb0ELb1ELb1EEEvllPKT_S7_PKT0_SA_PS5_SB_.has_indirect_call, 0
	.section	.AMDGPU.csdata,"",@progbits
; Kernel info:
; codeLenInByte = 2116
; TotalNumSgprs: 24
; NumVgprs: 43
; ScratchSize: 0
; MemoryBound: 0
; FloatMode: 240
; IeeeMode: 1
; LDSByteSize: 0 bytes/workgroup (compile time only)
; SGPRBlocks: 0
; VGPRBlocks: 2
; NumSGPRsForWavesPerEU: 24
; NumVGPRsForWavesPerEU: 43
; NamedBarCnt: 0
; Occupancy: 16
; WaveLimiterHint : 0
; COMPUTE_PGM_RSRC2:SCRATCH_EN: 0
; COMPUTE_PGM_RSRC2:USER_SGPR: 2
; COMPUTE_PGM_RSRC2:TRAP_HANDLER: 0
; COMPUTE_PGM_RSRC2:TGID_X_EN: 1
; COMPUTE_PGM_RSRC2:TGID_Y_EN: 1
; COMPUTE_PGM_RSRC2:TGID_Z_EN: 0
; COMPUTE_PGM_RSRC2:TIDIG_COMP_CNT: 1
	.section	.text._ZN2at6native12_GLOBAL__N_135GammaBetaBackwardCUDAKernelTemplateIN3c108BFloat16EfLj32ELj8ELj64ELb0ELb0ELb1EEEvllPKT_S7_PKT0_SA_PS5_SB_,"axG",@progbits,_ZN2at6native12_GLOBAL__N_135GammaBetaBackwardCUDAKernelTemplateIN3c108BFloat16EfLj32ELj8ELj64ELb0ELb0ELb1EEEvllPKT_S7_PKT0_SA_PS5_SB_,comdat
	.globl	_ZN2at6native12_GLOBAL__N_135GammaBetaBackwardCUDAKernelTemplateIN3c108BFloat16EfLj32ELj8ELj64ELb0ELb0ELb1EEEvllPKT_S7_PKT0_SA_PS5_SB_ ; -- Begin function _ZN2at6native12_GLOBAL__N_135GammaBetaBackwardCUDAKernelTemplateIN3c108BFloat16EfLj32ELj8ELj64ELb0ELb0ELb1EEEvllPKT_S7_PKT0_SA_PS5_SB_
	.p2align	8
	.type	_ZN2at6native12_GLOBAL__N_135GammaBetaBackwardCUDAKernelTemplateIN3c108BFloat16EfLj32ELj8ELj64ELb0ELb0ELb1EEEvllPKT_S7_PKT0_SA_PS5_SB_,@function
_ZN2at6native12_GLOBAL__N_135GammaBetaBackwardCUDAKernelTemplateIN3c108BFloat16EfLj32ELj8ELj64ELb0ELb0ELb1EEEvllPKT_S7_PKT0_SA_PS5_SB_: ; @_ZN2at6native12_GLOBAL__N_135GammaBetaBackwardCUDAKernelTemplateIN3c108BFloat16EfLj32ELj8ELj64ELb0ELb0ELb1EEEvllPKT_S7_PKT0_SA_PS5_SB_
; %bb.0:
	s_load_b256 s[4:11], s[0:1], 0x0
	s_bfe_u32 s3, ttmp6, 0x4000c
	s_bfe_u32 s12, ttmp6, 0x40010
	s_add_co_i32 s3, s3, 1
	s_add_co_i32 s12, s12, 1
	s_and_b32 s2, ttmp6, 15
	s_bfe_u32 s13, ttmp6, 0x40004
	s_mul_i32 s3, ttmp9, s3
	s_mul_i32 s12, ttmp7, s12
	s_getreg_b32 s14, hwreg(HW_REG_IB_STS2, 6, 4)
	s_add_co_i32 s2, s2, s3
	s_add_co_i32 s13, s13, s12
	s_cmp_eq_u32 s14, 0
	s_mov_b32 s17, 0
	s_cselect_b32 s12, ttmp9, s2
	s_cselect_b32 s2, ttmp7, s13
	s_lshl_b32 s3, s12, 5
	s_load_b64 s[14:15], s[0:1], 0x28
	s_or_b32 s16, s3, 31
	s_wait_kmcnt 0x0
	v_cmp_le_i64_e64 s18, s[6:7], s[16:17]
	s_lshl_b32 s16, s2, 6
	s_delay_alu instid0(SALU_CYCLE_1) | instskip(SKIP_2) | instid1(VALU_DEP_1)
	v_cmp_gt_i64_e64 s13, s[4:5], s[16:17]
	s_and_b32 vcc_lo, exec_lo, s18
	v_cndmask_b32_e64 v1, 0, 1, s13
	v_cmp_ne_u32_e64 s2, 1, v1
	s_cbranch_vccz .LBB203_49
; %bb.1:
	v_mov_b32_e32 v3, 0
	s_and_b32 vcc_lo, exec_lo, s2
	s_cbranch_vccnz .LBB203_50
; %bb.2:
	v_bfe_u32 v1, v0, 10, 10
	v_mov_b32_e32 v2, 0
	v_and_b32_e32 v58, 0x3ff, v0
	s_load_b32 s18, s[0:1], 0x44
	s_mov_b32 s19, 0
	s_delay_alu instid0(VALU_DEP_2) | instskip(NEXT) | instid1(VALU_DEP_2)
	v_dual_mov_b32 v21, v2 :: v_dual_lshlrev_b32 v20, 3, v1
	v_dual_mov_b32 v19, v2 :: v_dual_add_nc_u32 v18, s3, v58
	v_mov_b32_e32 v59, 0
	s_mov_b32 s35, s19
	s_delay_alu instid0(VALU_DEP_3)
	v_add_nc_u64_e32 v[4:5], s[16:17], v[20:21]
	s_add_nc_u64 s[20:21], s[0:1], 64
	v_cmp_gt_i64_e64 s2, s[6:7], v[18:19]
	v_lshlrev_b64_e32 v[22:23], 1, v[18:19]
	s_mov_b64 s[22:23], 0xffffffffffffffc1
	s_mov_b64 s[24:25], 0xffffffffffffffc2
	;; [unrolled: 1-line block ×3, first 2 shown]
	v_mul_u64_e32 v[6:7], s[6:7], v[4:5]
	v_add_nc_u64_e32 v[8:9], 7, v[4:5]
	v_add_nc_u64_e32 v[10:11], 6, v[4:5]
	;; [unrolled: 1-line block ×6, first 2 shown]
	s_wait_kmcnt 0x0
	s_lshl_b32 s34, s18, 6
	v_mul_u64_e32 v[8:9], s[6:7], v[8:9]
	v_mul_u64_e32 v[10:11], s[6:7], v[10:11]
	;; [unrolled: 1-line block ×6, first 2 shown]
	s_mul_u64 s[42:43], s[6:7], s[34:35]
	s_mov_b64 s[28:29], 0xffffffffffffffc4
	s_mov_b64 s[30:31], 0xffffffffffffffc5
	;; [unrolled: 1-line block ×5, first 2 shown]
	s_lshl_b64 s[42:43], s[42:43], 1
	s_add_nc_u64 s[44:45], s[16:17], 63
	s_mov_b64 s[46:47], s[16:17]
	v_lshlrev_b64_e32 v[26:27], 1, v[6:7]
	v_add_nc_u64_e32 v[6:7], s[6:7], v[6:7]
	s_delay_alu instid0(VALU_DEP_2)
	v_add_nc_u64_e32 v[24:25], s[8:9], v[26:27]
	v_lshlrev_b64_e32 v[8:9], 1, v[8:9]
	v_lshlrev_b64_e32 v[10:11], 1, v[10:11]
	;; [unrolled: 1-line block ×7, first 2 shown]
	v_add_nc_u64_e32 v[26:27], s[10:11], v[26:27]
	v_add_nc_u64_e32 v[28:29], s[8:9], v[8:9]
	;; [unrolled: 1-line block ×15, first 2 shown]
.LBB203_3:                              ; =>This Inner Loop Header: Depth=1
	v_cmp_ge_i64_e64 s18, s[44:45], s[4:5]
	v_add_nc_u64_e32 v[56:57], s[44:45], v[20:21]
                                        ; implicit-def: $vgpr4_vgpr5_vgpr6_vgpr7_vgpr8_vgpr9_vgpr10_vgpr11
                                        ; implicit-def: $vgpr3
                                        ; implicit-def: $vgpr12_vgpr13_vgpr14_vgpr15_vgpr16_vgpr17_vgpr18_vgpr19
                                        ; implicit-def: $vgpr4
	s_and_b32 vcc_lo, exec_lo, s18
	s_mov_b32 s18, -1
	s_cbranch_vccz .LBB203_25
; %bb.4:                                ;   in Loop: Header=BB203_3 Depth=1
	s_load_b32 s18, s[20:21], 0xc
	v_mov_b32_e32 v60, 0
	s_wait_kmcnt 0x0
	s_and_b32 s18, s18, 0xffff
	s_delay_alu instid0(SALU_CYCLE_1) | instskip(SKIP_1) | instid1(VALU_DEP_1)
	v_mad_u32_u24 v3, v1, s18, v58
	s_mov_b32 s18, exec_lo
	v_and_b32_e32 v4, 31, v3
	s_delay_alu instid0(VALU_DEP_1)
	v_cmpx_gt_u32_e32 8, v4
	s_cbranch_execz .LBB203_8
; %bb.5:                                ;   in Loop: Header=BB203_3 Depth=1
	v_dual_mov_b32 v5, v2 :: v_dual_mov_b32 v60, 0
	s_mov_b32 s33, exec_lo
	s_delay_alu instid0(VALU_DEP_1) | instskip(NEXT) | instid1(VALU_DEP_1)
	v_add_nc_u64_e32 v[4:5], v[56:57], v[4:5]
	v_add_nc_u64_e32 v[4:5], s[22:23], v[4:5]
	s_delay_alu instid0(VALU_DEP_1)
	v_cmpx_gt_i64_e64 s[4:5], v[4:5]
	s_cbranch_execz .LBB203_7
; %bb.6:                                ;   in Loop: Header=BB203_3 Depth=1
	v_lshl_add_u64 v[4:5], v[4:5], 2, s[14:15]
	global_load_b32 v60, v[4:5], off
.LBB203_7:                              ;   in Loop: Header=BB203_3 Depth=1
	s_wait_xcnt 0x0
	s_or_b32 exec_lo, exec_lo, s33
.LBB203_8:                              ;   in Loop: Header=BB203_3 Depth=1
	s_delay_alu instid0(SALU_CYCLE_1)
	s_or_b32 exec_lo, exec_lo, s18
	v_add_nc_u64_e32 v[10:11], s[22:23], v[56:57]
	v_dual_mov_b32 v7, v2 :: v_dual_mov_b32 v8, v2
	v_dual_mov_b32 v9, v2 :: v_dual_mov_b32 v3, v2
	;; [unrolled: 1-line block ×3, first 2 shown]
	v_mov_b32_e32 v6, v2
	v_cmp_gt_i64_e32 vcc_lo, s[4:5], v[10:11]
	s_delay_alu instid0(VALU_DEP_4)
	v_mov_b64_e32 v[18:19], v[8:9]
	v_mov_b64_e32 v[12:13], v[2:3]
	;; [unrolled: 1-line block ×8, first 2 shown]
	s_and_b32 s33, s2, vcc_lo
	s_delay_alu instid0(SALU_CYCLE_1)
	s_and_saveexec_b32 s18, s33
	s_cbranch_execz .LBB203_10
; %bb.9:                                ;   in Loop: Header=BB203_3 Depth=1
	v_add_nc_u64_e32 v[4:5], v[24:25], v[22:23]
	v_add_nc_u64_e32 v[6:7], v[26:27], v[22:23]
	v_dual_mov_b32 v9, v2 :: v_dual_mov_b32 v10, v2
	v_dual_mov_b32 v11, v2 :: v_dual_mov_b32 v13, v2
	;; [unrolled: 1-line block ×3, first 2 shown]
	global_load_u16 v3, v[4:5], off
	global_load_u16 v12, v[6:7], off
	s_wait_xcnt 0x0
	v_dual_mov_b32 v5, v2 :: v_dual_mov_b32 v6, v2
	v_dual_mov_b32 v7, v2 :: v_dual_mov_b32 v8, v2
	;; [unrolled: 1-line block ×4, first 2 shown]
	s_wait_loadcnt 0x0
	v_dual_lshlrev_b32 v4, 16, v3 :: v_dual_lshlrev_b32 v12, 16, v12
.LBB203_10:                             ;   in Loop: Header=BB203_3 Depth=1
	s_or_b32 exec_lo, exec_lo, s18
	v_add_nc_u64_e32 v[62:63], s[24:25], v[56:57]
	s_delay_alu instid0(VALU_DEP_1) | instskip(SKIP_1) | instid1(SALU_CYCLE_1)
	v_cmp_gt_i64_e32 vcc_lo, s[4:5], v[62:63]
	s_and_b32 s33, s2, vcc_lo
	s_and_saveexec_b32 s18, s33
	s_cbranch_execz .LBB203_12
; %bb.11:                               ;   in Loop: Header=BB203_3 Depth=1
	v_add_nc_u64_e32 v[62:63], v[52:53], v[22:23]
	v_add_nc_u64_e32 v[64:65], v[54:55], v[22:23]
	global_load_u16 v3, v[62:63], off
	global_load_u16 v13, v[64:65], off
	s_wait_loadcnt 0x0
	v_dual_lshlrev_b32 v5, 16, v3 :: v_dual_lshlrev_b32 v13, 16, v13
.LBB203_12:                             ;   in Loop: Header=BB203_3 Depth=1
	s_or_b32 exec_lo, exec_lo, s18
	v_add_nc_u64_e32 v[62:63], s[26:27], v[56:57]
	s_delay_alu instid0(VALU_DEP_1) | instskip(SKIP_1) | instid1(SALU_CYCLE_1)
	v_cmp_gt_i64_e32 vcc_lo, s[4:5], v[62:63]
	s_and_b32 s33, s2, vcc_lo
	s_and_saveexec_b32 s18, s33
	s_cbranch_execz .LBB203_14
; %bb.13:                               ;   in Loop: Header=BB203_3 Depth=1
	v_add_nc_u64_e32 v[62:63], v[48:49], v[22:23]
	v_add_nc_u64_e32 v[64:65], v[50:51], v[22:23]
	global_load_u16 v3, v[62:63], off
	global_load_u16 v14, v[64:65], off
	s_wait_loadcnt 0x0
	v_dual_lshlrev_b32 v6, 16, v3 :: v_dual_lshlrev_b32 v14, 16, v14
.LBB203_14:                             ;   in Loop: Header=BB203_3 Depth=1
	s_or_b32 exec_lo, exec_lo, s18
	v_add_nc_u64_e32 v[62:63], s[28:29], v[56:57]
	s_delay_alu instid0(VALU_DEP_1) | instskip(SKIP_1) | instid1(SALU_CYCLE_1)
	v_cmp_gt_i64_e32 vcc_lo, s[4:5], v[62:63]
	s_and_b32 s33, s2, vcc_lo
	s_and_saveexec_b32 s18, s33
	s_cbranch_execz .LBB203_16
; %bb.15:                               ;   in Loop: Header=BB203_3 Depth=1
	v_add_nc_u64_e32 v[62:63], v[44:45], v[22:23]
	v_add_nc_u64_e32 v[64:65], v[46:47], v[22:23]
	global_load_u16 v3, v[62:63], off
	global_load_u16 v15, v[64:65], off
	s_wait_loadcnt 0x1
	v_lshlrev_b32_e32 v7, 16, v3
	s_wait_loadcnt 0x0
	v_lshlrev_b32_e32 v15, 16, v15
.LBB203_16:                             ;   in Loop: Header=BB203_3 Depth=1
	s_or_b32 exec_lo, exec_lo, s18
	v_add_nc_u64_e32 v[62:63], s[30:31], v[56:57]
	s_delay_alu instid0(VALU_DEP_1) | instskip(SKIP_1) | instid1(SALU_CYCLE_1)
	v_cmp_gt_i64_e32 vcc_lo, s[4:5], v[62:63]
	s_and_b32 s33, s2, vcc_lo
	s_and_saveexec_b32 s18, s33
	s_cbranch_execz .LBB203_18
; %bb.17:                               ;   in Loop: Header=BB203_3 Depth=1
	v_add_nc_u64_e32 v[62:63], v[40:41], v[22:23]
	v_add_nc_u64_e32 v[64:65], v[42:43], v[22:23]
	global_load_u16 v3, v[62:63], off
	global_load_u16 v16, v[64:65], off
	s_wait_loadcnt 0x0
	v_dual_lshlrev_b32 v8, 16, v3 :: v_dual_lshlrev_b32 v16, 16, v16
.LBB203_18:                             ;   in Loop: Header=BB203_3 Depth=1
	s_or_b32 exec_lo, exec_lo, s18
	v_add_nc_u64_e32 v[62:63], s[36:37], v[56:57]
	s_delay_alu instid0(VALU_DEP_1) | instskip(SKIP_1) | instid1(SALU_CYCLE_1)
	v_cmp_gt_i64_e32 vcc_lo, s[4:5], v[62:63]
	s_and_b32 s33, s2, vcc_lo
	s_and_saveexec_b32 s18, s33
	s_cbranch_execz .LBB203_20
; %bb.19:                               ;   in Loop: Header=BB203_3 Depth=1
	v_add_nc_u64_e32 v[62:63], v[36:37], v[22:23]
	v_add_nc_u64_e32 v[64:65], v[38:39], v[22:23]
	global_load_u16 v3, v[62:63], off
	global_load_u16 v17, v[64:65], off
	s_wait_loadcnt 0x0
	v_dual_lshlrev_b32 v9, 16, v3 :: v_dual_lshlrev_b32 v17, 16, v17
.LBB203_20:                             ;   in Loop: Header=BB203_3 Depth=1
	;; [unrolled: 15-line block ×3, first 2 shown]
	s_or_b32 exec_lo, exec_lo, s18
	v_add_nc_u64_e32 v[62:63], s[40:41], v[56:57]
	s_delay_alu instid0(VALU_DEP_1) | instskip(SKIP_1) | instid1(SALU_CYCLE_1)
	v_cmp_gt_i64_e32 vcc_lo, s[4:5], v[62:63]
	s_and_b32 s33, s2, vcc_lo
	s_and_saveexec_b32 s18, s33
	s_cbranch_execz .LBB203_24
; %bb.23:                               ;   in Loop: Header=BB203_3 Depth=1
	v_add_nc_u64_e32 v[62:63], v[28:29], v[22:23]
	v_add_nc_u64_e32 v[64:65], v[30:31], v[22:23]
	global_load_u16 v3, v[62:63], off
	global_load_u16 v19, v[64:65], off
	s_wait_loadcnt 0x1
	v_lshlrev_b32_e32 v11, 16, v3
	s_wait_loadcnt 0x0
	v_lshlrev_b32_e32 v19, 16, v19
.LBB203_24:                             ;   in Loop: Header=BB203_3 Depth=1
	s_or_b32 exec_lo, exec_lo, s18
	s_wait_loadcnt 0x0
	ds_bpermute_b32 v3, v2, v60
	ds_bpermute_b32 v62, v2, v60 offset:4
	ds_bpermute_b32 v63, v2, v60 offset:8
	;; [unrolled: 1-line block ×4, first 2 shown]
	v_pk_mul_f32 v[6:7], v[14:15], v[6:7]
	v_dual_mul_f32 v14, v12, v4 :: v_dual_mul_f32 v4, v13, v5
	v_pk_mul_f32 v[8:9], v[16:17], v[8:9]
	ds_bpermute_b32 v12, v2, v60 offset:20
	v_dual_mov_b32 v5, v6 :: v_dual_mov_b32 v6, v7
	ds_bpermute_b32 v13, v2, v60 offset:24
	s_mov_b32 s18, 0
	v_dual_mov_b32 v7, v8 :: v_dual_mul_f32 v15, v18, v10
	s_wait_dscnt 0x6
	v_dual_fma_f32 v3, v14, v3, v59 :: v_dual_mov_b32 v14, v9
	s_wait_dscnt 0x4
	v_pk_mul_f32 v[4:5], v[4:5], v[62:63]
	s_wait_dscnt 0x2
	v_pk_mul_f32 v[6:7], v[6:7], v[64:65]
	s_delay_alu instid0(VALU_DEP_2) | instskip(SKIP_2) | instid1(VALU_DEP_1)
	v_add_f32_e32 v3, v3, v4
	ds_bpermute_b32 v4, v2, v60 offset:28
	v_add_f32_e32 v3, v3, v5
	v_add_f32_e32 v3, v3, v6
	s_delay_alu instid0(VALU_DEP_1) | instskip(SKIP_2) | instid1(VALU_DEP_1)
	v_add_f32_e32 v3, v3, v7
	s_wait_dscnt 0x1
	v_pk_mul_f32 v[6:7], v[14:15], v[12:13]
	v_add_f32_e32 v3, v3, v6
	s_delay_alu instid0(VALU_DEP_1)
	v_add_f32_e32 v3, v3, v7
.LBB203_25:                             ;   in Loop: Header=BB203_3 Depth=1
	s_and_b32 vcc_lo, exec_lo, s18
	s_cbranch_vccz .LBB203_40
; %bb.26:                               ;   in Loop: Header=BB203_3 Depth=1
	s_load_b32 s18, s[20:21], 0x0
	v_mov_b32_e32 v60, 0
	s_wait_kmcnt 0x0
	s_cmp_lt_u32 s12, s18
	s_cselect_b32 s18, 12, 18
	s_delay_alu instid0(SALU_CYCLE_1)
	s_add_nc_u64 s[48:49], s[20:21], s[18:19]
	s_load_u16 s18, s[48:49], 0x0
	s_wait_kmcnt 0x0
	v_mad_u32_u24 v3, v1, s18, v58
	s_mov_b32 s18, exec_lo
	s_wait_dscnt 0x0
	s_delay_alu instid0(VALU_DEP_1) | instskip(NEXT) | instid1(VALU_DEP_1)
	v_and_b32_e32 v4, 31, v3
	v_cmpx_gt_u32_e32 8, v4
	s_cbranch_execz .LBB203_30
; %bb.27:                               ;   in Loop: Header=BB203_3 Depth=1
	v_dual_mov_b32 v5, v2 :: v_dual_mov_b32 v60, 0
	s_mov_b32 s33, exec_lo
	s_delay_alu instid0(VALU_DEP_1) | instskip(NEXT) | instid1(VALU_DEP_1)
	v_add_nc_u64_e32 v[4:5], v[56:57], v[4:5]
	v_add_nc_u64_e32 v[4:5], s[22:23], v[4:5]
	s_delay_alu instid0(VALU_DEP_1)
	v_cmpx_gt_i64_e64 s[4:5], v[4:5]
	s_cbranch_execz .LBB203_29
; %bb.28:                               ;   in Loop: Header=BB203_3 Depth=1
	v_lshl_add_u64 v[4:5], v[4:5], 2, s[14:15]
	global_load_b32 v60, v[4:5], off
.LBB203_29:                             ;   in Loop: Header=BB203_3 Depth=1
	s_wait_xcnt 0x0
	s_or_b32 exec_lo, exec_lo, s33
.LBB203_30:                             ;   in Loop: Header=BB203_3 Depth=1
	s_delay_alu instid0(SALU_CYCLE_1) | instskip(SKIP_4) | instid1(VALU_DEP_3)
	s_or_b32 exec_lo, exec_lo, s18
	v_dual_mov_b32 v7, v2 :: v_dual_mov_b32 v8, v2
	v_dual_mov_b32 v9, v2 :: v_dual_mov_b32 v3, v2
	;; [unrolled: 1-line block ×3, first 2 shown]
	v_mov_b32_e32 v6, v2
	v_mov_b64_e32 v[18:19], v[8:9]
	s_delay_alu instid0(VALU_DEP_4) | instskip(NEXT) | instid1(VALU_DEP_4)
	v_mov_b64_e32 v[12:13], v[2:3]
	v_mov_b64_e32 v[14:15], v[4:5]
	s_delay_alu instid0(VALU_DEP_4)
	v_mov_b64_e32 v[16:17], v[6:7]
	v_mov_b64_e32 v[10:11], v[8:9]
	;; [unrolled: 1-line block ×5, first 2 shown]
	s_and_saveexec_b32 s18, s2
	s_cbranch_execnz .LBB203_42
; %bb.31:                               ;   in Loop: Header=BB203_3 Depth=1
	s_or_b32 exec_lo, exec_lo, s18
	s_and_saveexec_b32 s18, s2
	s_cbranch_execnz .LBB203_43
.LBB203_32:                             ;   in Loop: Header=BB203_3 Depth=1
	s_or_b32 exec_lo, exec_lo, s18
	s_and_saveexec_b32 s18, s2
	s_cbranch_execnz .LBB203_44
.LBB203_33:                             ;   in Loop: Header=BB203_3 Depth=1
	s_or_b32 exec_lo, exec_lo, s18
	s_and_saveexec_b32 s18, s2
	s_cbranch_execnz .LBB203_45
.LBB203_34:                             ;   in Loop: Header=BB203_3 Depth=1
	s_or_b32 exec_lo, exec_lo, s18
	s_and_saveexec_b32 s18, s2
	s_cbranch_execnz .LBB203_46
.LBB203_35:                             ;   in Loop: Header=BB203_3 Depth=1
	s_or_b32 exec_lo, exec_lo, s18
	s_and_saveexec_b32 s18, s2
	s_cbranch_execnz .LBB203_47
.LBB203_36:                             ;   in Loop: Header=BB203_3 Depth=1
	s_or_b32 exec_lo, exec_lo, s18
	s_and_saveexec_b32 s18, s2
	s_cbranch_execnz .LBB203_48
.LBB203_37:                             ;   in Loop: Header=BB203_3 Depth=1
	s_or_b32 exec_lo, exec_lo, s18
	s_and_saveexec_b32 s18, s2
	s_cbranch_execz .LBB203_39
.LBB203_38:                             ;   in Loop: Header=BB203_3 Depth=1
	v_add_nc_u64_e32 v[56:57], v[28:29], v[22:23]
	v_add_nc_u64_e32 v[62:63], v[30:31], v[22:23]
	global_load_u16 v3, v[56:57], off
	global_load_u16 v19, v[62:63], off
	s_wait_loadcnt 0x1
	v_lshlrev_b32_e32 v11, 16, v3
	s_wait_loadcnt 0x0
	v_lshlrev_b32_e32 v19, 16, v19
.LBB203_39:                             ;   in Loop: Header=BB203_3 Depth=1
	s_or_b32 exec_lo, exec_lo, s18
	s_wait_loadcnt 0x0
	ds_bpermute_b32 v3, v2, v60
	ds_bpermute_b32 v56, v2, v60 offset:4
	ds_bpermute_b32 v57, v2, v60 offset:8
	;; [unrolled: 1-line block ×4, first 2 shown]
	v_pk_mul_f32 v[6:7], v[14:15], v[6:7]
	v_dual_mul_f32 v14, v12, v4 :: v_dual_mul_f32 v4, v13, v5
	v_pk_mul_f32 v[8:9], v[16:17], v[8:9]
	ds_bpermute_b32 v12, v2, v60 offset:20
	v_dual_mov_b32 v5, v6 :: v_dual_mov_b32 v6, v7
	ds_bpermute_b32 v13, v2, v60 offset:24
	v_dual_mov_b32 v7, v8 :: v_dual_mul_f32 v15, v18, v10
	s_wait_dscnt 0x6
	v_dual_fmac_f32 v59, v14, v3 :: v_dual_mov_b32 v14, v9
	s_wait_dscnt 0x4
	v_pk_mul_f32 v[4:5], v[4:5], v[56:57]
	s_wait_dscnt 0x2
	v_pk_mul_f32 v[6:7], v[6:7], v[62:63]
	s_delay_alu instid0(VALU_DEP_2) | instskip(SKIP_2) | instid1(VALU_DEP_1)
	v_add_f32_e32 v3, v59, v4
	ds_bpermute_b32 v4, v2, v60 offset:28
	v_add_f32_e32 v3, v3, v5
	v_add_f32_e32 v3, v3, v6
	s_delay_alu instid0(VALU_DEP_1) | instskip(SKIP_2) | instid1(VALU_DEP_1)
	v_add_f32_e32 v3, v3, v7
	s_wait_dscnt 0x1
	v_pk_mul_f32 v[6:7], v[14:15], v[12:13]
	v_add_f32_e32 v3, v3, v6
	s_delay_alu instid0(VALU_DEP_1)
	v_add_f32_e32 v3, v3, v7
.LBB203_40:                             ;   in Loop: Header=BB203_3 Depth=1
	s_add_nc_u64 s[46:47], s[46:47], s[34:35]
	v_mul_f32_e32 v5, v11, v19
	v_cmp_lt_i64_e64 s18, s[46:47], s[4:5]
	v_add_nc_u64_e32 v[24:25], s[42:43], v[24:25]
	v_add_nc_u64_e32 v[26:27], s[42:43], v[26:27]
	;; [unrolled: 1-line block ×16, first 2 shown]
	s_wait_dscnt 0x0
	v_fmac_f32_e32 v3, v5, v4
	s_and_b32 vcc_lo, exec_lo, s18
	s_add_nc_u64 s[44:45], s[44:45], s[34:35]
	s_cbranch_vccz .LBB203_50
; %bb.41:                               ;   in Loop: Header=BB203_3 Depth=1
	s_delay_alu instid0(VALU_DEP_1)
	v_mov_b32_e32 v59, v3
	s_branch .LBB203_3
.LBB203_42:                             ;   in Loop: Header=BB203_3 Depth=1
	v_add_nc_u64_e32 v[4:5], v[24:25], v[22:23]
	v_add_nc_u64_e32 v[6:7], v[26:27], v[22:23]
	v_dual_mov_b32 v9, v2 :: v_dual_mov_b32 v10, v2
	v_dual_mov_b32 v11, v2 :: v_dual_mov_b32 v13, v2
	v_dual_mov_b32 v14, v2 :: v_dual_mov_b32 v15, v2
	global_load_u16 v3, v[4:5], off
	global_load_u16 v12, v[6:7], off
	s_wait_xcnt 0x0
	v_dual_mov_b32 v5, v2 :: v_dual_mov_b32 v6, v2
	v_dual_mov_b32 v7, v2 :: v_dual_mov_b32 v8, v2
	v_dual_mov_b32 v16, v2 :: v_dual_mov_b32 v17, v2
	v_dual_mov_b32 v18, v2 :: v_dual_mov_b32 v19, v2
	s_wait_loadcnt 0x0
	v_dual_lshlrev_b32 v4, 16, v3 :: v_dual_lshlrev_b32 v12, 16, v12
	s_or_b32 exec_lo, exec_lo, s18
	s_and_saveexec_b32 s18, s2
	s_cbranch_execz .LBB203_32
.LBB203_43:                             ;   in Loop: Header=BB203_3 Depth=1
	v_add_nc_u64_e32 v[56:57], v[52:53], v[22:23]
	v_add_nc_u64_e32 v[62:63], v[54:55], v[22:23]
	global_load_u16 v3, v[56:57], off
	global_load_u16 v13, v[62:63], off
	s_wait_loadcnt 0x0
	v_dual_lshlrev_b32 v5, 16, v3 :: v_dual_lshlrev_b32 v13, 16, v13
	s_or_b32 exec_lo, exec_lo, s18
	s_and_saveexec_b32 s18, s2
	s_cbranch_execz .LBB203_33
.LBB203_44:                             ;   in Loop: Header=BB203_3 Depth=1
	v_add_nc_u64_e32 v[56:57], v[48:49], v[22:23]
	v_add_nc_u64_e32 v[62:63], v[50:51], v[22:23]
	global_load_u16 v3, v[56:57], off
	global_load_u16 v14, v[62:63], off
	s_wait_loadcnt 0x0
	v_dual_lshlrev_b32 v6, 16, v3 :: v_dual_lshlrev_b32 v14, 16, v14
	s_or_b32 exec_lo, exec_lo, s18
	s_and_saveexec_b32 s18, s2
	s_cbranch_execz .LBB203_34
.LBB203_45:                             ;   in Loop: Header=BB203_3 Depth=1
	v_add_nc_u64_e32 v[56:57], v[44:45], v[22:23]
	v_add_nc_u64_e32 v[62:63], v[46:47], v[22:23]
	global_load_u16 v3, v[56:57], off
	global_load_u16 v15, v[62:63], off
	s_wait_loadcnt 0x1
	v_lshlrev_b32_e32 v7, 16, v3
	s_wait_loadcnt 0x0
	v_lshlrev_b32_e32 v15, 16, v15
	s_or_b32 exec_lo, exec_lo, s18
	s_and_saveexec_b32 s18, s2
	s_cbranch_execz .LBB203_35
.LBB203_46:                             ;   in Loop: Header=BB203_3 Depth=1
	v_add_nc_u64_e32 v[56:57], v[40:41], v[22:23]
	v_add_nc_u64_e32 v[62:63], v[42:43], v[22:23]
	global_load_u16 v3, v[56:57], off
	global_load_u16 v16, v[62:63], off
	s_wait_loadcnt 0x0
	v_dual_lshlrev_b32 v8, 16, v3 :: v_dual_lshlrev_b32 v16, 16, v16
	s_or_b32 exec_lo, exec_lo, s18
	s_and_saveexec_b32 s18, s2
	s_cbranch_execz .LBB203_36
.LBB203_47:                             ;   in Loop: Header=BB203_3 Depth=1
	v_add_nc_u64_e32 v[56:57], v[36:37], v[22:23]
	v_add_nc_u64_e32 v[62:63], v[38:39], v[22:23]
	global_load_u16 v3, v[56:57], off
	global_load_u16 v17, v[62:63], off
	s_wait_loadcnt 0x0
	v_dual_lshlrev_b32 v9, 16, v3 :: v_dual_lshlrev_b32 v17, 16, v17
	s_or_b32 exec_lo, exec_lo, s18
	s_and_saveexec_b32 s18, s2
	s_cbranch_execz .LBB203_37
.LBB203_48:                             ;   in Loop: Header=BB203_3 Depth=1
	v_add_nc_u64_e32 v[56:57], v[32:33], v[22:23]
	v_add_nc_u64_e32 v[62:63], v[34:35], v[22:23]
	global_load_u16 v3, v[56:57], off
	global_load_u16 v18, v[62:63], off
	s_wait_loadcnt 0x0
	v_dual_lshlrev_b32 v10, 16, v3 :: v_dual_lshlrev_b32 v18, 16, v18
	s_or_b32 exec_lo, exec_lo, s18
	s_and_saveexec_b32 s18, s2
	s_cbranch_execnz .LBB203_38
	s_branch .LBB203_39
.LBB203_49:
                                        ; implicit-def: $vgpr3
	s_branch .LBB203_51
.LBB203_50:
	s_cbranch_execnz .LBB203_83
.LBB203_51:
	v_mov_b32_e32 v3, 0
	s_and_not1_b32 vcc_lo, exec_lo, s13
	s_cbranch_vccnz .LBB203_83
; %bb.52:
	v_bfe_u32 v1, v0, 10, 10
	v_mov_b32_e32 v2, 0
	v_and_b32_e32 v86, 0x3ff, v0
	s_load_b32 s2, s[0:1], 0x44
	s_mov_b64 s[20:21], 0xffffffffffffffc3
	s_delay_alu instid0(VALU_DEP_2) | instskip(SKIP_3) | instid1(VALU_DEP_2)
	v_dual_mov_b32 v5, v2 :: v_dual_lshlrev_b32 v4, 4, v1
	v_dual_mov_b32 v21, v2 :: v_dual_lshlrev_b32 v20, 3, v1
	s_mov_b64 s[22:23], 0xffffffffffffffc4
	s_mov_b64 s[24:25], 0xffffffffffffffc5
	v_lshl_add_u64 v[4:5], s[16:17], 1, v[4:5]
	s_mov_b64 s[26:27], 0xffffffffffffffc6
	s_mov_b64 s[28:29], 0xffffffffffffffc7
	;; [unrolled: 1-line block ×3, first 2 shown]
	s_add_nc_u64 s[34:35], s[0:1], 64
	v_add_nc_u64_e32 v[6:7], 2, v[4:5]
	v_add_nc_u64_e32 v[10:11], 4, v[4:5]
	v_add_nc_u64_e32 v[12:13], 6, v[4:5]
	v_add_nc_u64_e32 v[14:15], 8, v[4:5]
	v_add_nc_u64_e32 v[16:17], 10, v[4:5]
	v_add_nc_u64_e32 v[18:19], 12, v[4:5]
	v_add_nc_u64_e32 v[4:5], 14, v[4:5]
	v_mad_nc_u64_u32 v[22:23], s6, v6, s[8:9]
	v_mul_lo_u32 v3, s6, v7
	v_mul_lo_u32 v44, s7, v6
	v_mad_nc_u64_u32 v[24:25], s6, v10, s[8:9]
	v_mul_lo_u32 v46, s6, v11
	v_mul_lo_u32 v47, s7, v10
	;; [unrolled: 3-line block ×3, first 2 shown]
	v_mad_nc_u64_u32 v[32:33], s6, v6, s[10:11]
	v_mad_nc_u64_u32 v[34:35], s6, v10, s[10:11]
	;; [unrolled: 1-line block ×4, first 2 shown]
	v_add3_u32 v23, v44, v23, v3
	v_mul_lo_u32 v53, s7, v18
	v_mad_nc_u64_u32 v[28:29], s6, v14, s[8:9]
	v_add3_u32 v25, v47, v25, v46
	v_mul_lo_u32 v50, s6, v15
	v_mul_lo_u32 v51, s7, v14
	v_add3_u32 v27, v49, v27, v48
	v_add3_u32 v33, v44, v33, v3
	v_mad_nc_u64_u32 v[44:45], s6, v18, s[10:11]
	v_add3_u32 v35, v47, v35, v46
	v_add3_u32 v37, v49, v37, v48
	v_mad_nc_u64_u32 v[46:47], s6, v4, s[8:9]
	v_mul_lo_u32 v18, s7, v4
	v_mad_nc_u64_u32 v[48:49], s6, v4, s[10:11]
	v_add_nc_u32_e32 v4, s3, v86
	v_add_nc_u64_e32 v[8:9], s[16:17], v[20:21]
	v_mad_nc_u64_u32 v[40:41], s6, v14, s[10:11]
	v_mul_lo_u32 v3, s6, v5
	v_dual_mov_b32 v5, v2 :: v_dual_mov_b32 v87, 0
	v_mad_nc_u64_u32 v[30:31], s6, v16, s[8:9]
	v_mul_lo_u32 v17, s6, v17
	v_add_nc_u64_e32 v[6:7], 7, v[8:9]
	v_add_nc_u64_e32 v[10:11], 6, v[8:9]
	;; [unrolled: 1-line block ×3, first 2 shown]
	v_mul_u64_e32 v[60:61], s[6:7], v[8:9]
	v_add_nc_u64_e32 v[42:43], 4, v[8:9]
	v_add_nc_u64_e32 v[14:15], 3, v[8:9]
	;; [unrolled: 1-line block ×3, first 2 shown]
	v_mul_u64_e32 v[6:7], s[6:7], v[6:7]
	v_mul_u64_e32 v[10:11], s[6:7], v[10:11]
	v_mul_u64_e32 v[12:13], s[6:7], v[12:13]
	v_mul_lo_u32 v52, s7, v16
	v_mul_u64_e32 v[62:63], s[6:7], v[42:43]
	v_mul_u64_e32 v[14:15], s[6:7], v[14:15]
	;; [unrolled: 1-line block ×3, first 2 shown]
	v_mad_nc_u64_u32 v[42:43], s6, v16, s[10:11]
	v_add3_u32 v29, v51, v29, v50
	v_add3_u32 v41, v51, v41, v50
	v_lshlrev_b64_e32 v[50:51], 1, v[4:5]
	v_mul_lo_u32 v19, s6, v19
	s_mov_b32 s3, 0
	s_wait_kmcnt 0x0
	s_lshl_b32 s18, s2, 6
	v_add3_u32 v31, v52, v31, v17
	s_mov_b32 s19, s3
	v_add3_u32 v47, v18, v47, v3
	v_add3_u32 v49, v18, v49, v3
	;; [unrolled: 1-line block ×3, first 2 shown]
	s_mul_u64 s[36:37], s[6:7], s[18:19]
	s_add_nc_u64 s[38:39], s[16:17], 63
	s_lshl_b64 s[36:37], s[36:37], 1
	v_add3_u32 v39, v53, v39, v19
	v_add3_u32 v45, v53, v45, v19
	v_lshlrev_b64_e32 v[16:17], 1, v[60:61]
	v_lshlrev_b64_e32 v[6:7], 1, v[6:7]
	;; [unrolled: 1-line block ×3, first 2 shown]
	s_delay_alu instid0(VALU_DEP_3)
	v_add_nc_u64_e32 v[52:53], s[8:9], v[16:17]
	v_lshlrev_b64_e32 v[10:11], 1, v[62:63]
	v_add_nc_u64_e32 v[54:55], s[10:11], v[16:17]
	v_lshlrev_b64_e32 v[8:9], 1, v[8:9]
	v_add_nc_u64_e32 v[56:57], s[8:9], v[6:7]
	v_add_nc_u64_e32 v[58:59], s[10:11], v[6:7]
	v_lshlrev_b64_e32 v[6:7], 1, v[12:13]
	v_add_nc_u64_e32 v[12:13], s[6:7], v[60:61]
	v_add_nc_u64_e32 v[60:61], s[8:9], v[4:5]
	;; [unrolled: 1-line block ×3, first 2 shown]
	v_lshlrev_b64_e32 v[4:5], 1, v[14:15]
	v_add_nc_u64_e32 v[68:69], s[8:9], v[10:11]
	v_add_nc_u64_e32 v[70:71], s[10:11], v[10:11]
	;; [unrolled: 1-line block ×4, first 2 shown]
	v_lshlrev_b64_e32 v[6:7], 1, v[12:13]
	v_add_nc_u64_e32 v[76:77], s[8:9], v[8:9]
	v_add_nc_u64_e32 v[72:73], s[8:9], v[4:5]
	v_add_nc_u64_e32 v[74:75], s[10:11], v[4:5]
	v_add_nc_u64_e32 v[78:79], s[10:11], v[8:9]
	v_add_nc_u64_e32 v[80:81], s[8:9], v[6:7]
	v_add_nc_u64_e32 v[82:83], s[10:11], v[6:7]
	s_mov_b64 s[8:9], 0xffffffffffffffc1
	s_mov_b64 s[10:11], 0xffffffffffffffc2
.LBB203_53:                             ; =>This Inner Loop Header: Depth=1
	v_cmp_ge_i64_e64 s2, s[38:39], s[4:5]
	v_add_nc_u64_e32 v[84:85], s[38:39], v[20:21]
                                        ; implicit-def: $vgpr3
	s_and_b32 vcc_lo, exec_lo, s2
	s_mov_b32 s2, -1
	s_cbranch_vccz .LBB203_75
; %bb.54:                               ;   in Loop: Header=BB203_53 Depth=1
	s_load_b32 s2, s[34:35], 0xc
	v_mov_b32_e32 v88, 0
	s_wait_kmcnt 0x0
	s_and_b32 s2, s2, 0xffff
	s_delay_alu instid0(SALU_CYCLE_1) | instskip(SKIP_1) | instid1(VALU_DEP_1)
	v_mad_u32_u24 v3, v1, s2, v86
	s_mov_b32 s2, exec_lo
	v_and_b32_e32 v4, 31, v3
	s_delay_alu instid0(VALU_DEP_1)
	v_cmpx_gt_u32_e32 8, v4
	s_cbranch_execz .LBB203_58
; %bb.55:                               ;   in Loop: Header=BB203_53 Depth=1
	v_dual_mov_b32 v5, v2 :: v_dual_mov_b32 v88, 0
	s_mov_b32 s13, exec_lo
	s_delay_alu instid0(VALU_DEP_1) | instskip(NEXT) | instid1(VALU_DEP_1)
	v_add_nc_u64_e32 v[4:5], v[84:85], v[4:5]
	v_add_nc_u64_e32 v[4:5], s[8:9], v[4:5]
	s_delay_alu instid0(VALU_DEP_1)
	v_cmpx_gt_i64_e64 s[4:5], v[4:5]
	s_cbranch_execz .LBB203_57
; %bb.56:                               ;   in Loop: Header=BB203_53 Depth=1
	v_lshl_add_u64 v[4:5], v[4:5], 2, s[14:15]
	global_load_b32 v88, v[4:5], off
.LBB203_57:                             ;   in Loop: Header=BB203_53 Depth=1
	s_wait_xcnt 0x0
	s_or_b32 exec_lo, exec_lo, s13
.LBB203_58:                             ;   in Loop: Header=BB203_53 Depth=1
	s_delay_alu instid0(SALU_CYCLE_1)
	s_or_b32 exec_lo, exec_lo, s2
	v_add_nc_u64_e32 v[10:11], s[8:9], v[84:85]
	v_dual_mov_b32 v7, v2 :: v_dual_mov_b32 v8, v2
	v_dual_mov_b32 v9, v2 :: v_dual_mov_b32 v3, v2
	;; [unrolled: 1-line block ×3, first 2 shown]
	v_mov_b32_e32 v6, v2
	s_delay_alu instid0(VALU_DEP_3)
	v_mov_b64_e32 v[18:19], v[8:9]
	v_cmp_gt_i64_e32 vcc_lo, s[4:5], v[10:11]
	v_mov_b64_e32 v[12:13], v[2:3]
	v_mov_b64_e32 v[14:15], v[4:5]
	v_mov_b64_e32 v[16:17], v[6:7]
	v_mov_b64_e32 v[10:11], v[8:9]
	v_mov_b64_e32 v[8:9], v[6:7]
	v_mov_b64_e32 v[6:7], v[4:5]
	v_mov_b64_e32 v[4:5], v[2:3]
	s_and_saveexec_b32 s2, vcc_lo
	s_cbranch_execz .LBB203_60
; %bb.59:                               ;   in Loop: Header=BB203_53 Depth=1
	v_add_nc_u64_e32 v[4:5], v[52:53], v[50:51]
	v_add_nc_u64_e32 v[6:7], v[54:55], v[50:51]
	v_dual_mov_b32 v9, v2 :: v_dual_mov_b32 v10, v2
	v_dual_mov_b32 v11, v2 :: v_dual_mov_b32 v13, v2
	;; [unrolled: 1-line block ×3, first 2 shown]
	global_load_u16 v3, v[4:5], off
	global_load_u16 v12, v[6:7], off
	s_wait_xcnt 0x0
	v_dual_mov_b32 v5, v2 :: v_dual_mov_b32 v6, v2
	v_dual_mov_b32 v7, v2 :: v_dual_mov_b32 v8, v2
	v_dual_mov_b32 v16, v2 :: v_dual_mov_b32 v17, v2
	v_dual_mov_b32 v18, v2 :: v_dual_mov_b32 v19, v2
	s_wait_loadcnt 0x0
	v_dual_lshlrev_b32 v4, 16, v3 :: v_dual_lshlrev_b32 v12, 16, v12
.LBB203_60:                             ;   in Loop: Header=BB203_53 Depth=1
	s_or_b32 exec_lo, exec_lo, s2
	v_add_nc_u64_e32 v[90:91], s[10:11], v[84:85]
	s_mov_b32 s2, exec_lo
	s_delay_alu instid0(VALU_DEP_1)
	v_cmpx_gt_i64_e64 s[4:5], v[90:91]
	s_cbranch_execz .LBB203_62
; %bb.61:                               ;   in Loop: Header=BB203_53 Depth=1
	v_add_nc_u64_e32 v[90:91], v[80:81], v[50:51]
	v_add_nc_u64_e32 v[92:93], v[82:83], v[50:51]
	global_load_u16 v3, v[90:91], off
	global_load_u16 v13, v[92:93], off
	s_wait_loadcnt 0x0
	v_dual_lshlrev_b32 v5, 16, v3 :: v_dual_lshlrev_b32 v13, 16, v13
.LBB203_62:                             ;   in Loop: Header=BB203_53 Depth=1
	s_or_b32 exec_lo, exec_lo, s2
	v_add_nc_u64_e32 v[90:91], s[20:21], v[84:85]
	s_mov_b32 s2, exec_lo
	s_delay_alu instid0(VALU_DEP_1)
	v_cmpx_gt_i64_e64 s[4:5], v[90:91]
	s_cbranch_execz .LBB203_64
; %bb.63:                               ;   in Loop: Header=BB203_53 Depth=1
	v_add_nc_u64_e32 v[90:91], v[76:77], v[50:51]
	v_add_nc_u64_e32 v[92:93], v[78:79], v[50:51]
	global_load_u16 v3, v[90:91], off
	global_load_u16 v14, v[92:93], off
	s_wait_loadcnt 0x0
	v_dual_lshlrev_b32 v6, 16, v3 :: v_dual_lshlrev_b32 v14, 16, v14
.LBB203_64:                             ;   in Loop: Header=BB203_53 Depth=1
	s_or_b32 exec_lo, exec_lo, s2
	v_add_nc_u64_e32 v[90:91], s[22:23], v[84:85]
	s_mov_b32 s2, exec_lo
	s_delay_alu instid0(VALU_DEP_1)
	v_cmpx_gt_i64_e64 s[4:5], v[90:91]
	s_cbranch_execz .LBB203_66
; %bb.65:                               ;   in Loop: Header=BB203_53 Depth=1
	v_add_nc_u64_e32 v[90:91], v[72:73], v[50:51]
	v_add_nc_u64_e32 v[92:93], v[74:75], v[50:51]
	global_load_u16 v3, v[90:91], off
	global_load_u16 v15, v[92:93], off
	s_wait_loadcnt 0x1
	v_lshlrev_b32_e32 v7, 16, v3
	s_wait_loadcnt 0x0
	v_lshlrev_b32_e32 v15, 16, v15
.LBB203_66:                             ;   in Loop: Header=BB203_53 Depth=1
	s_or_b32 exec_lo, exec_lo, s2
	v_add_nc_u64_e32 v[90:91], s[24:25], v[84:85]
	s_mov_b32 s2, exec_lo
	s_delay_alu instid0(VALU_DEP_1)
	v_cmpx_gt_i64_e64 s[4:5], v[90:91]
	s_cbranch_execz .LBB203_68
; %bb.67:                               ;   in Loop: Header=BB203_53 Depth=1
	v_add_nc_u64_e32 v[90:91], v[68:69], v[50:51]
	v_add_nc_u64_e32 v[92:93], v[70:71], v[50:51]
	global_load_u16 v3, v[90:91], off
	global_load_u16 v16, v[92:93], off
	s_wait_loadcnt 0x0
	v_dual_lshlrev_b32 v8, 16, v3 :: v_dual_lshlrev_b32 v16, 16, v16
.LBB203_68:                             ;   in Loop: Header=BB203_53 Depth=1
	s_or_b32 exec_lo, exec_lo, s2
	v_add_nc_u64_e32 v[90:91], s[26:27], v[84:85]
	s_mov_b32 s2, exec_lo
	s_delay_alu instid0(VALU_DEP_1)
	v_cmpx_gt_i64_e64 s[4:5], v[90:91]
	s_cbranch_execz .LBB203_70
; %bb.69:                               ;   in Loop: Header=BB203_53 Depth=1
	v_add_nc_u64_e32 v[90:91], v[64:65], v[50:51]
	v_add_nc_u64_e32 v[92:93], v[66:67], v[50:51]
	global_load_u16 v3, v[90:91], off
	global_load_u16 v17, v[92:93], off
	s_wait_loadcnt 0x0
	v_dual_lshlrev_b32 v9, 16, v3 :: v_dual_lshlrev_b32 v17, 16, v17
.LBB203_70:                             ;   in Loop: Header=BB203_53 Depth=1
	;; [unrolled: 14-line block ×3, first 2 shown]
	s_or_b32 exec_lo, exec_lo, s2
	v_add_nc_u64_e32 v[90:91], s[30:31], v[84:85]
	s_mov_b32 s2, exec_lo
	s_delay_alu instid0(VALU_DEP_1)
	v_cmpx_gt_i64_e64 s[4:5], v[90:91]
	s_cbranch_execz .LBB203_74
; %bb.73:                               ;   in Loop: Header=BB203_53 Depth=1
	v_add_nc_u64_e32 v[90:91], v[56:57], v[50:51]
	v_add_nc_u64_e32 v[92:93], v[58:59], v[50:51]
	global_load_u16 v3, v[90:91], off
	global_load_u16 v19, v[92:93], off
	s_wait_loadcnt 0x1
	v_lshlrev_b32_e32 v11, 16, v3
	s_wait_loadcnt 0x0
	v_lshlrev_b32_e32 v19, 16, v19
.LBB203_74:                             ;   in Loop: Header=BB203_53 Depth=1
	s_or_b32 exec_lo, exec_lo, s2
	s_wait_loadcnt 0x0
	ds_bpermute_b32 v90, v2, v88
	ds_bpermute_b32 v91, v2, v88 offset:4
	ds_bpermute_b32 v92, v2, v88 offset:8
	;; [unrolled: 1-line block ×3, first 2 shown]
	v_pk_mul_f32 v[4:5], v[12:13], v[4:5]
	ds_bpermute_b32 v12, v2, v88 offset:16
	ds_bpermute_b32 v13, v2, v88 offset:20
	v_pk_mul_f32 v[6:7], v[14:15], v[6:7]
	v_pk_mul_f32 v[8:9], v[16:17], v[8:9]
	s_mov_b32 s2, 0
	s_wait_dscnt 0x4
	v_pk_mul_f32 v[4:5], v[4:5], v[90:91]
	s_wait_dscnt 0x2
	v_pk_mul_f32 v[6:7], v[6:7], v[92:93]
	;; [unrolled: 2-line block ×3, first 2 shown]
	v_add_f32_e32 v3, v87, v4
	ds_bpermute_b32 v4, v2, v88 offset:24
	v_add_f32_e32 v3, v3, v5
	ds_bpermute_b32 v5, v2, v88 offset:28
	v_add_f32_e32 v3, v3, v6
	s_delay_alu instid0(VALU_DEP_1) | instskip(SKIP_1) | instid1(VALU_DEP_2)
	v_add_f32_e32 v3, v3, v7
	v_pk_mul_f32 v[6:7], v[18:19], v[10:11]
	v_add_f32_e32 v3, v3, v8
	s_delay_alu instid0(VALU_DEP_1) | instskip(SKIP_1) | instid1(VALU_DEP_3)
	v_add_f32_e32 v3, v3, v9
	s_wait_dscnt 0x0
	v_pk_mul_f32 v[4:5], v[6:7], v[4:5]
	s_delay_alu instid0(VALU_DEP_1) | instskip(NEXT) | instid1(VALU_DEP_1)
	v_add_f32_e32 v3, v3, v4
	v_add_f32_e32 v3, v3, v5
.LBB203_75:                             ;   in Loop: Header=BB203_53 Depth=1
	s_and_b32 vcc_lo, exec_lo, s2
	s_cbranch_vccz .LBB203_81
; %bb.76:                               ;   in Loop: Header=BB203_53 Depth=1
	s_load_b32 s2, s[34:35], 0x0
	s_wait_kmcnt 0x0
	s_cmp_lt_u32 s12, s2
	s_cselect_b32 s2, 12, 18
	s_delay_alu instid0(SALU_CYCLE_1) | instskip(SKIP_4) | instid1(VALU_DEP_1)
	s_add_nc_u64 s[40:41], s[34:35], s[2:3]
	s_load_u16 s2, s[40:41], 0x0
	s_wait_kmcnt 0x0
	v_mad_u32_u24 v3, v1, s2, v86
	s_mov_b32 s2, exec_lo
	v_dual_mov_b32 v3, 0 :: v_dual_bitop2_b32 v4, 31, v3 bitop3:0x40
	s_delay_alu instid0(VALU_DEP_1)
	v_cmpx_gt_u32_e32 8, v4
	s_cbranch_execz .LBB203_80
; %bb.77:                               ;   in Loop: Header=BB203_53 Depth=1
	v_dual_mov_b32 v5, v2 :: v_dual_mov_b32 v3, 0
	s_mov_b32 s13, exec_lo
	s_delay_alu instid0(VALU_DEP_1) | instskip(NEXT) | instid1(VALU_DEP_1)
	v_add_nc_u64_e32 v[4:5], v[84:85], v[4:5]
	v_add_nc_u64_e32 v[4:5], s[8:9], v[4:5]
	s_delay_alu instid0(VALU_DEP_1)
	v_cmpx_gt_i64_e64 s[4:5], v[4:5]
	s_cbranch_execz .LBB203_79
; %bb.78:                               ;   in Loop: Header=BB203_53 Depth=1
	v_lshl_add_u64 v[4:5], v[4:5], 2, s[14:15]
	global_load_b32 v3, v[4:5], off
.LBB203_79:                             ;   in Loop: Header=BB203_53 Depth=1
	s_wait_xcnt 0x0
	s_or_b32 exec_lo, exec_lo, s13
.LBB203_80:                             ;   in Loop: Header=BB203_53 Depth=1
	s_delay_alu instid0(SALU_CYCLE_1)
	s_or_b32 exec_lo, exec_lo, s2
	v_add_nc_u64_e32 v[4:5], v[22:23], v[50:51]
	v_add_nc_u64_e32 v[6:7], v[52:53], v[50:51]
	;; [unrolled: 1-line block ×6, first 2 shown]
	global_load_u16 v16, v[4:5], off
	global_load_u16 v17, v[6:7], off
	;; [unrolled: 1-line block ×4, first 2 shown]
	s_wait_xcnt 0x3
	v_add_nc_u64_e32 v[4:5], v[36:37], v[50:51]
	s_wait_xcnt 0x2
	v_add_nc_u64_e32 v[6:7], v[34:35], v[50:51]
	s_wait_xcnt 0x0
	v_add_nc_u64_e32 v[10:11], v[30:31], v[50:51]
	v_add_nc_u64_e32 v[8:9], v[28:29], v[50:51]
	global_load_u16 v84, v[14:15], off
	global_load_u16 v85, v[12:13], off
	;; [unrolled: 1-line block ×4, first 2 shown]
	s_wait_xcnt 0x1
	v_add_nc_u64_e32 v[4:5], v[42:43], v[50:51]
	s_wait_xcnt 0x0
	v_add_nc_u64_e32 v[6:7], v[40:41], v[50:51]
	s_wait_loadcnt 0x8
	ds_bpermute_b32 v12, v2, v3 offset:16
	global_load_u16 v90, v[10:11], off
	global_load_u16 v91, v[8:9], off
	global_load_u16 v92, v[4:5], off
	global_load_u16 v93, v[6:7], off
	s_wait_xcnt 0x1
	v_add_nc_u64_e32 v[4:5], v[46:47], v[50:51]
	s_wait_xcnt 0x0
	v_add_nc_u64_e32 v[6:7], v[38:39], v[50:51]
	v_add_nc_u64_e32 v[8:9], v[48:49], v[50:51]
	;; [unrolled: 1-line block ×3, first 2 shown]
	global_load_u16 v94, v[4:5], off
	global_load_u16 v95, v[6:7], off
	;; [unrolled: 1-line block ×4, first 2 shown]
	s_wait_xcnt 0x3
	ds_bpermute_b32 v4, v2, v3
	ds_bpermute_b32 v5, v2, v3 offset:4
	s_wait_xcnt 0x2
	ds_bpermute_b32 v6, v2, v3 offset:8
	ds_bpermute_b32 v7, v2, v3 offset:12
	;; [unrolled: 1-line block ×3, first 2 shown]
	s_wait_loadcnt 0xe
	s_wait_xcnt 0x1
	v_dual_lshlrev_b32 v9, 16, v16 :: v_dual_lshlrev_b32 v8, 16, v17
	s_wait_loadcnt 0xc
	s_wait_xcnt 0x0
	v_dual_lshlrev_b32 v11, 16, v18 :: v_dual_lshlrev_b32 v10, 16, v19
	s_wait_loadcnt 0x8
	v_dual_lshlrev_b32 v15, 16, v88 :: v_dual_lshlrev_b32 v14, 16, v89
	s_delay_alu instid0(VALU_DEP_2)
	v_pk_mul_f32 v[8:9], v[8:9], v[10:11]
	v_dual_lshlrev_b32 v11, 16, v84 :: v_dual_lshlrev_b32 v10, 16, v85
	s_wait_loadcnt 0x6
	v_lshlrev_b32_e32 v16, 16, v91
	s_wait_dscnt 0x3
	v_pk_mul_f32 v[4:5], v[8:9], v[4:5]
	v_lshlrev_b32_e32 v17, 16, v90
	v_pk_mul_f32 v[10:11], v[10:11], v[14:15]
	ds_bpermute_b32 v8, v2, v3 offset:24
	s_wait_loadcnt 0x5
	v_lshlrev_b32_e32 v15, 16, v92
	v_add_f32_e32 v4, v87, v4
	ds_bpermute_b32 v9, v2, v3 offset:28
	s_wait_dscnt 0x3
	v_pk_mul_f32 v[6:7], v[10:11], v[6:7]
	s_wait_loadcnt 0x3
	v_dual_add_f32 v10, v4, v5 :: v_dual_lshlrev_b32 v11, 16, v94
	s_delay_alu instid0(VALU_DEP_1) | instskip(NEXT) | instid1(VALU_DEP_1)
	v_dual_add_f32 v3, v10, v6 :: v_dual_lshlrev_b32 v14, 16, v93
	v_pk_mul_f32 v[4:5], v[16:17], v[14:15]
	s_wait_loadcnt 0x1
	v_dual_lshlrev_b32 v10, 16, v95 :: v_dual_lshlrev_b32 v15, 16, v96
	s_wait_loadcnt 0x0
	v_dual_add_f32 v3, v3, v7 :: v_dual_lshlrev_b32 v14, 16, v97
	s_wait_dscnt 0x2
	v_pk_mul_f32 v[4:5], v[4:5], v[12:13]
	s_delay_alu instid0(VALU_DEP_2) | instskip(NEXT) | instid1(VALU_DEP_2)
	v_pk_mul_f32 v[6:7], v[10:11], v[14:15]
	v_add_f32_e32 v3, v3, v4
	s_delay_alu instid0(VALU_DEP_1) | instskip(SKIP_1) | instid1(VALU_DEP_3)
	v_add_f32_e32 v3, v3, v5
	s_wait_dscnt 0x0
	v_pk_mul_f32 v[4:5], v[6:7], v[8:9]
	s_delay_alu instid0(VALU_DEP_1) | instskip(NEXT) | instid1(VALU_DEP_1)
	v_add_f32_e32 v3, v3, v4
	v_add_f32_e32 v3, v3, v5
.LBB203_81:                             ;   in Loop: Header=BB203_53 Depth=1
	s_add_nc_u64 s[16:17], s[16:17], s[18:19]
	v_add_nc_u64_e32 v[52:53], s[36:37], v[52:53]
	v_cmp_ge_i64_e64 s2, s[16:17], s[4:5]
	v_add_nc_u64_e32 v[54:55], s[36:37], v[54:55]
	v_add_nc_u64_e32 v[22:23], s[36:37], v[22:23]
	;; [unrolled: 1-line block ×29, first 2 shown]
	s_and_b32 vcc_lo, exec_lo, s2
	s_add_nc_u64 s[38:39], s[38:39], s[18:19]
	s_cbranch_vccnz .LBB203_83
; %bb.82:                               ;   in Loop: Header=BB203_53 Depth=1
	v_mov_b32_e32 v87, v3
	s_branch .LBB203_53
.LBB203_83:
	v_and_b32_e32 v1, 0x3ff, v0
	v_bfe_u32 v2, v0, 10, 10
	v_bfe_u32 v0, v0, 5, 5
	s_mov_b32 s2, exec_lo
	s_delay_alu instid0(VALU_DEP_2) | instskip(NEXT) | instid1(VALU_DEP_2)
	v_mad_u32_u24 v4, v2, 33, v1
	v_add_nc_u32_e32 v0, v0, v2
	s_delay_alu instid0(VALU_DEP_2)
	v_lshl_add_u32 v2, v4, 2, 0
	v_mov_b32_e32 v4, 0
	ds_store_b32 v2, v3
	ds_store_b32 v2, v4 offset:1056
	s_wait_dscnt 0x0
	s_barrier_signal -1
	s_barrier_wait -1
	v_cmpx_gt_u32_e32 32, v0
	s_cbranch_execz .LBB203_103
; %bb.84:
	s_load_b64 s[2:3], s[0:1], 0x30
	v_and_b32_e32 v2, 31, v1
	s_delay_alu instid0(VALU_DEP_1)
	v_cmp_gt_u32_e32 vcc_lo, 8, v2
	v_mul_u32_u24_e32 v4, 33, v2
                                        ; implicit-def: $vgpr2
	s_wait_xcnt 0x0
	s_and_saveexec_b32 s0, vcc_lo
	s_cbranch_execz .LBB203_86
; %bb.85:
	v_lshlrev_b32_e32 v2, 2, v0
	v_lshlrev_b32_e32 v3, 2, v4
	s_delay_alu instid0(VALU_DEP_1)
	v_add3_u32 v2, 0, v2, v3
	ds_load_b32 v2, v2
.LBB203_86:
	s_or_b32 exec_lo, exec_lo, s0
	v_mbcnt_lo_u32_b32 v3, -1, 0
	s_mov_b32 s13, 0
	s_delay_alu instid0(SALU_CYCLE_1)
	s_lshl_b64 s[4:5], s[12:13], 5
	s_wait_kmcnt 0x0
	s_cmp_eq_u64 s[2:3], 0
	v_xor_b32_e32 v8, 1, v3
	v_xor_b32_e32 v6, 2, v3
	;; [unrolled: 1-line block ×3, first 2 shown]
	s_cselect_b32 s8, -1, 0
	s_delay_alu instid0(VALU_DEP_1) | instskip(NEXT) | instid1(VALU_DEP_1)
	v_cmp_gt_i32_e64 s0, 32, v5
	v_cndmask_b32_e64 v5, v3, v5, s0
	v_cmp_gt_i32_e64 s0, 32, v6
	s_delay_alu instid0(VALU_DEP_1) | instskip(SKIP_1) | instid1(VALU_DEP_2)
	v_cndmask_b32_e64 v6, v3, v6, s0
	v_cmp_gt_i32_e64 s0, 32, v8
	v_dual_lshlrev_b32 v6, 2, v6 :: v_dual_lshlrev_b32 v5, 2, v5
	s_delay_alu instid0(VALU_DEP_2)
	v_cndmask_b32_e64 v3, v3, v8, s0
	v_cmp_ne_u32_e64 s0, 0, v1
	s_wait_dscnt 0x0
	ds_bpermute_b32 v7, v5, v2
	s_wait_dscnt 0x0
	v_add_f32_e32 v2, v2, v7
	ds_bpermute_b32 v7, v6, v2
	s_wait_dscnt 0x0
	v_dual_add_f32 v8, v2, v7 :: v_dual_bitop2_b32 v2, s4, v0 bitop3:0x54
	v_lshlrev_b32_e32 v7, 2, v3
	ds_bpermute_b32 v9, v7, v8
	s_wait_dscnt 0x0
	v_dual_mov_b32 v3, s5 :: v_dual_add_f32 v8, v8, v9
	s_delay_alu instid0(VALU_DEP_1) | instskip(SKIP_1) | instid1(SALU_CYCLE_1)
	v_cmp_le_i64_e64 s1, s[6:7], v[2:3]
	s_or_b32 s1, s0, s1
	s_nor_b32 s1, s8, s1
	s_delay_alu instid0(SALU_CYCLE_1)
	s_and_saveexec_b32 s9, s1
	s_cbranch_execz .LBB203_88
; %bb.87:
	v_bfe_u32 v1, v8, 16, 1
	v_cmp_o_f32_e64 s1, v8, v8
	v_lshl_add_u64 v[2:3], v[2:3], 1, s[2:3]
	s_delay_alu instid0(VALU_DEP_3) | instskip(NEXT) | instid1(VALU_DEP_1)
	v_add3_u32 v1, v8, v1, 0x7fff
	v_lshrrev_b32_e32 v1, 16, v1
	s_delay_alu instid0(VALU_DEP_1)
	v_cndmask_b32_e64 v1, 0x7fc0, v1, s1
	global_store_b16 v[2:3], v1, off
.LBB203_88:
	s_wait_xcnt 0x0
	s_or_b32 exec_lo, exec_lo, s9
	v_cmp_gt_u32_e64 s1, 24, v0
	s_and_b32 exec_lo, exec_lo, s1
	s_cbranch_execz .LBB203_103
; %bb.89:
	v_mov_b32_e32 v1, 0
	s_and_saveexec_b32 s1, vcc_lo
	s_cbranch_execz .LBB203_91
; %bb.90:
	v_lshlrev_b32_e32 v2, 2, v0
	v_lshlrev_b32_e32 v3, 2, v4
	s_delay_alu instid0(VALU_DEP_1)
	v_add3_u32 v2, 0, v2, v3
	ds_load_b32 v8, v2 offset:32
.LBB203_91:
	s_or_b32 exec_lo, exec_lo, s1
	s_wait_dscnt 0x0
	ds_bpermute_b32 v2, v5, v8
	s_wait_dscnt 0x0
	v_add_f32_e32 v2, v8, v2
	ds_bpermute_b32 v3, v6, v2
	s_wait_dscnt 0x0
	v_dual_add_f32 v8, v2, v3 :: v_dual_add_nc_u32 v2, 8, v0
	v_mov_b32_e32 v3, v1
	ds_bpermute_b32 v9, v7, v8
	v_add_nc_u64_e32 v[2:3], s[4:5], v[2:3]
	s_delay_alu instid0(VALU_DEP_1) | instskip(SKIP_1) | instid1(SALU_CYCLE_1)
	v_cmp_le_i64_e64 s1, s[6:7], v[2:3]
	s_or_b32 s1, s0, s1
	s_nor_b32 s1, s8, s1
	s_wait_dscnt 0x0
	v_add_f32_e32 v2, v8, v9
	s_and_saveexec_b32 s9, s1
	s_cbranch_execz .LBB203_93
; %bb.92:
	s_delay_alu instid0(VALU_DEP_1) | instskip(SKIP_2) | instid1(VALU_DEP_3)
	v_bfe_u32 v3, v2, 16, 1
	v_add_nc_u64_e32 v[8:9], s[4:5], v[0:1]
	v_cmp_o_f32_e64 s1, v2, v2
	v_add3_u32 v3, v2, v3, 0x7fff
	s_delay_alu instid0(VALU_DEP_3) | instskip(NEXT) | instid1(VALU_DEP_2)
	v_lshl_add_u64 v[8:9], v[8:9], 1, s[2:3]
	v_lshrrev_b32_e32 v3, 16, v3
	s_delay_alu instid0(VALU_DEP_1)
	v_cndmask_b32_e64 v3, 0x7fc0, v3, s1
	global_store_b16 v[8:9], v3, off offset:16
.LBB203_93:
	s_wait_xcnt 0x0
	s_or_b32 exec_lo, exec_lo, s9
	v_cmp_gt_u32_e64 s1, 16, v0
	s_and_b32 exec_lo, exec_lo, s1
	s_cbranch_execz .LBB203_103
; %bb.94:
	s_and_saveexec_b32 s1, vcc_lo
	s_cbranch_execz .LBB203_96
; %bb.95:
	v_lshlrev_b32_e32 v2, 2, v0
	v_lshlrev_b32_e32 v3, 2, v4
	s_delay_alu instid0(VALU_DEP_1)
	v_add3_u32 v2, 0, v2, v3
	ds_load_b32 v2, v2 offset:64
.LBB203_96:
	s_or_b32 exec_lo, exec_lo, s1
	s_wait_dscnt 0x0
	ds_bpermute_b32 v3, v5, v2
	s_wait_dscnt 0x0
	v_add_f32_e32 v2, v2, v3
	ds_bpermute_b32 v3, v6, v2
	s_wait_dscnt 0x0
	v_dual_add_f32 v8, v2, v3 :: v_dual_add_nc_u32 v2, 16, v0
	v_mov_b32_e32 v3, s5
	ds_bpermute_b32 v9, v7, v8
	v_or_b32_e32 v2, s4, v2
	s_delay_alu instid0(VALU_DEP_1) | instskip(SKIP_1) | instid1(SALU_CYCLE_1)
	v_cmp_le_i64_e64 s1, s[6:7], v[2:3]
	s_or_b32 s1, s0, s1
	s_nor_b32 s1, s8, s1
	s_wait_dscnt 0x0
	v_add_f32_e32 v2, v8, v9
	s_and_saveexec_b32 s9, s1
	s_cbranch_execz .LBB203_98
; %bb.97:
	s_delay_alu instid0(VALU_DEP_1) | instskip(SKIP_2) | instid1(VALU_DEP_3)
	v_bfe_u32 v3, v2, 16, 1
	v_add_nc_u64_e32 v[8:9], s[4:5], v[0:1]
	v_cmp_o_f32_e64 s1, v2, v2
	v_add3_u32 v3, v2, v3, 0x7fff
	s_delay_alu instid0(VALU_DEP_3) | instskip(NEXT) | instid1(VALU_DEP_2)
	v_lshl_add_u64 v[8:9], v[8:9], 1, s[2:3]
	v_lshrrev_b32_e32 v3, 16, v3
	s_delay_alu instid0(VALU_DEP_1)
	v_cndmask_b32_e64 v3, 0x7fc0, v3, s1
	global_store_b16 v[8:9], v3, off offset:32
.LBB203_98:
	s_wait_xcnt 0x0
	s_or_b32 exec_lo, exec_lo, s9
	v_cmp_gt_u32_e64 s1, 8, v0
	s_and_b32 exec_lo, exec_lo, s1
	s_cbranch_execz .LBB203_103
; %bb.99:
	s_and_saveexec_b32 s1, vcc_lo
	s_cbranch_execz .LBB203_101
; %bb.100:
	v_lshlrev_b32_e32 v2, 2, v0
	v_lshlrev_b32_e32 v3, 2, v4
	s_delay_alu instid0(VALU_DEP_1)
	v_add3_u32 v2, 0, v2, v3
	ds_load_b32 v2, v2 offset:96
.LBB203_101:
	s_or_b32 exec_lo, exec_lo, s1
	s_wait_dscnt 0x0
	ds_bpermute_b32 v3, v5, v2
	v_dual_mov_b32 v5, s5 :: v_dual_add_nc_u32 v4, 24, v0
	s_delay_alu instid0(VALU_DEP_1) | instskip(NEXT) | instid1(VALU_DEP_1)
	v_or_b32_e32 v4, s4, v4
	v_cmp_le_i64_e32 vcc_lo, s[6:7], v[4:5]
	s_or_b32 s0, s0, vcc_lo
	s_wait_dscnt 0x0
	v_add_f32_e32 v2, v2, v3
	s_nor_b32 s0, s8, s0
	ds_bpermute_b32 v3, v6, v2
	s_wait_dscnt 0x0
	v_add_f32_e32 v2, v2, v3
	ds_bpermute_b32 v3, v7, v2
	s_and_saveexec_b32 s1, s0
	s_delay_alu instid0(SALU_CYCLE_1)
	s_xor_b32 s1, exec_lo, s1
	s_cbranch_execz .LBB203_103
; %bb.102:
	s_wait_dscnt 0x0
	v_add_f32_e32 v2, v2, v3
	v_add_nc_u64_e32 v[0:1], s[4:5], v[0:1]
	s_delay_alu instid0(VALU_DEP_2) | instskip(NEXT) | instid1(VALU_DEP_2)
	v_bfe_u32 v3, v2, 16, 1
	v_lshl_add_u64 v[0:1], v[0:1], 1, s[2:3]
	s_delay_alu instid0(VALU_DEP_2) | instskip(NEXT) | instid1(VALU_DEP_1)
	v_add3_u32 v3, v2, v3, 0x7fff
	v_lshrrev_b32_e32 v3, 16, v3
	v_cmp_o_f32_e32 vcc_lo, v2, v2
	s_delay_alu instid0(VALU_DEP_2)
	v_cndmask_b32_e32 v2, 0x7fc0, v3, vcc_lo
	global_store_b16 v[0:1], v2, off offset:48
.LBB203_103:
	s_sendmsg sendmsg(MSG_DEALLOC_VGPRS)
	s_endpgm
	.section	.rodata,"a",@progbits
	.p2align	6, 0x0
	.amdhsa_kernel _ZN2at6native12_GLOBAL__N_135GammaBetaBackwardCUDAKernelTemplateIN3c108BFloat16EfLj32ELj8ELj64ELb0ELb0ELb1EEEvllPKT_S7_PKT0_SA_PS5_SB_
		.amdhsa_group_segment_fixed_size 0
		.amdhsa_private_segment_fixed_size 0
		.amdhsa_kernarg_size 320
		.amdhsa_user_sgpr_count 2
		.amdhsa_user_sgpr_dispatch_ptr 0
		.amdhsa_user_sgpr_queue_ptr 0
		.amdhsa_user_sgpr_kernarg_segment_ptr 1
		.amdhsa_user_sgpr_dispatch_id 0
		.amdhsa_user_sgpr_kernarg_preload_length 0
		.amdhsa_user_sgpr_kernarg_preload_offset 0
		.amdhsa_user_sgpr_private_segment_size 0
		.amdhsa_wavefront_size32 1
		.amdhsa_uses_dynamic_stack 0
		.amdhsa_enable_private_segment 0
		.amdhsa_system_sgpr_workgroup_id_x 1
		.amdhsa_system_sgpr_workgroup_id_y 1
		.amdhsa_system_sgpr_workgroup_id_z 0
		.amdhsa_system_sgpr_workgroup_info 0
		.amdhsa_system_vgpr_workitem_id 1
		.amdhsa_next_free_vgpr 98
		.amdhsa_next_free_sgpr 50
		.amdhsa_named_barrier_count 0
		.amdhsa_reserve_vcc 1
		.amdhsa_float_round_mode_32 0
		.amdhsa_float_round_mode_16_64 0
		.amdhsa_float_denorm_mode_32 3
		.amdhsa_float_denorm_mode_16_64 3
		.amdhsa_fp16_overflow 0
		.amdhsa_memory_ordered 1
		.amdhsa_forward_progress 1
		.amdhsa_inst_pref_size 53
		.amdhsa_round_robin_scheduling 0
		.amdhsa_exception_fp_ieee_invalid_op 0
		.amdhsa_exception_fp_denorm_src 0
		.amdhsa_exception_fp_ieee_div_zero 0
		.amdhsa_exception_fp_ieee_overflow 0
		.amdhsa_exception_fp_ieee_underflow 0
		.amdhsa_exception_fp_ieee_inexact 0
		.amdhsa_exception_int_div_zero 0
	.end_amdhsa_kernel
	.section	.text._ZN2at6native12_GLOBAL__N_135GammaBetaBackwardCUDAKernelTemplateIN3c108BFloat16EfLj32ELj8ELj64ELb0ELb0ELb1EEEvllPKT_S7_PKT0_SA_PS5_SB_,"axG",@progbits,_ZN2at6native12_GLOBAL__N_135GammaBetaBackwardCUDAKernelTemplateIN3c108BFloat16EfLj32ELj8ELj64ELb0ELb0ELb1EEEvllPKT_S7_PKT0_SA_PS5_SB_,comdat
.Lfunc_end203:
	.size	_ZN2at6native12_GLOBAL__N_135GammaBetaBackwardCUDAKernelTemplateIN3c108BFloat16EfLj32ELj8ELj64ELb0ELb0ELb1EEEvllPKT_S7_PKT0_SA_PS5_SB_, .Lfunc_end203-_ZN2at6native12_GLOBAL__N_135GammaBetaBackwardCUDAKernelTemplateIN3c108BFloat16EfLj32ELj8ELj64ELb0ELb0ELb1EEEvllPKT_S7_PKT0_SA_PS5_SB_
                                        ; -- End function
	.set _ZN2at6native12_GLOBAL__N_135GammaBetaBackwardCUDAKernelTemplateIN3c108BFloat16EfLj32ELj8ELj64ELb0ELb0ELb1EEEvllPKT_S7_PKT0_SA_PS5_SB_.num_vgpr, 98
	.set _ZN2at6native12_GLOBAL__N_135GammaBetaBackwardCUDAKernelTemplateIN3c108BFloat16EfLj32ELj8ELj64ELb0ELb0ELb1EEEvllPKT_S7_PKT0_SA_PS5_SB_.num_agpr, 0
	.set _ZN2at6native12_GLOBAL__N_135GammaBetaBackwardCUDAKernelTemplateIN3c108BFloat16EfLj32ELj8ELj64ELb0ELb0ELb1EEEvllPKT_S7_PKT0_SA_PS5_SB_.numbered_sgpr, 50
	.set _ZN2at6native12_GLOBAL__N_135GammaBetaBackwardCUDAKernelTemplateIN3c108BFloat16EfLj32ELj8ELj64ELb0ELb0ELb1EEEvllPKT_S7_PKT0_SA_PS5_SB_.num_named_barrier, 0
	.set _ZN2at6native12_GLOBAL__N_135GammaBetaBackwardCUDAKernelTemplateIN3c108BFloat16EfLj32ELj8ELj64ELb0ELb0ELb1EEEvllPKT_S7_PKT0_SA_PS5_SB_.private_seg_size, 0
	.set _ZN2at6native12_GLOBAL__N_135GammaBetaBackwardCUDAKernelTemplateIN3c108BFloat16EfLj32ELj8ELj64ELb0ELb0ELb1EEEvllPKT_S7_PKT0_SA_PS5_SB_.uses_vcc, 1
	.set _ZN2at6native12_GLOBAL__N_135GammaBetaBackwardCUDAKernelTemplateIN3c108BFloat16EfLj32ELj8ELj64ELb0ELb0ELb1EEEvllPKT_S7_PKT0_SA_PS5_SB_.uses_flat_scratch, 0
	.set _ZN2at6native12_GLOBAL__N_135GammaBetaBackwardCUDAKernelTemplateIN3c108BFloat16EfLj32ELj8ELj64ELb0ELb0ELb1EEEvllPKT_S7_PKT0_SA_PS5_SB_.has_dyn_sized_stack, 0
	.set _ZN2at6native12_GLOBAL__N_135GammaBetaBackwardCUDAKernelTemplateIN3c108BFloat16EfLj32ELj8ELj64ELb0ELb0ELb1EEEvllPKT_S7_PKT0_SA_PS5_SB_.has_recursion, 0
	.set _ZN2at6native12_GLOBAL__N_135GammaBetaBackwardCUDAKernelTemplateIN3c108BFloat16EfLj32ELj8ELj64ELb0ELb0ELb1EEEvllPKT_S7_PKT0_SA_PS5_SB_.has_indirect_call, 0
	.section	.AMDGPU.csdata,"",@progbits
; Kernel info:
; codeLenInByte = 6684
; TotalNumSgprs: 52
; NumVgprs: 98
; ScratchSize: 0
; MemoryBound: 0
; FloatMode: 240
; IeeeMode: 1
; LDSByteSize: 0 bytes/workgroup (compile time only)
; SGPRBlocks: 0
; VGPRBlocks: 6
; NumSGPRsForWavesPerEU: 52
; NumVGPRsForWavesPerEU: 98
; NamedBarCnt: 0
; Occupancy: 9
; WaveLimiterHint : 0
; COMPUTE_PGM_RSRC2:SCRATCH_EN: 0
; COMPUTE_PGM_RSRC2:USER_SGPR: 2
; COMPUTE_PGM_RSRC2:TRAP_HANDLER: 0
; COMPUTE_PGM_RSRC2:TGID_X_EN: 1
; COMPUTE_PGM_RSRC2:TGID_Y_EN: 1
; COMPUTE_PGM_RSRC2:TGID_Z_EN: 0
; COMPUTE_PGM_RSRC2:TIDIG_COMP_CNT: 1
	.section	.text._ZN2at6native12_GLOBAL__N_135GammaBetaBackwardCUDAKernelTemplateIN3c108BFloat16EfLj32ELj16ELj128ELb0ELb1ELb1EEEvllPKT_S7_PKT0_SA_PS5_SB_,"axG",@progbits,_ZN2at6native12_GLOBAL__N_135GammaBetaBackwardCUDAKernelTemplateIN3c108BFloat16EfLj32ELj16ELj128ELb0ELb1ELb1EEEvllPKT_S7_PKT0_SA_PS5_SB_,comdat
	.globl	_ZN2at6native12_GLOBAL__N_135GammaBetaBackwardCUDAKernelTemplateIN3c108BFloat16EfLj32ELj16ELj128ELb0ELb1ELb1EEEvllPKT_S7_PKT0_SA_PS5_SB_ ; -- Begin function _ZN2at6native12_GLOBAL__N_135GammaBetaBackwardCUDAKernelTemplateIN3c108BFloat16EfLj32ELj16ELj128ELb0ELb1ELb1EEEvllPKT_S7_PKT0_SA_PS5_SB_
	.p2align	8
	.type	_ZN2at6native12_GLOBAL__N_135GammaBetaBackwardCUDAKernelTemplateIN3c108BFloat16EfLj32ELj16ELj128ELb0ELb1ELb1EEEvllPKT_S7_PKT0_SA_PS5_SB_,@function
_ZN2at6native12_GLOBAL__N_135GammaBetaBackwardCUDAKernelTemplateIN3c108BFloat16EfLj32ELj16ELj128ELb0ELb1ELb1EEEvllPKT_S7_PKT0_SA_PS5_SB_: ; @_ZN2at6native12_GLOBAL__N_135GammaBetaBackwardCUDAKernelTemplateIN3c108BFloat16EfLj32ELj16ELj128ELb0ELb1ELb1EEEvllPKT_S7_PKT0_SA_PS5_SB_
; %bb.0:
	s_load_b128 s[4:7], s[0:1], 0x0
	s_bfe_u32 s2, ttmp6, 0x40010
	s_bfe_u32 s3, ttmp6, 0x40004
	s_add_co_i32 s2, s2, 1
	s_getreg_b32 s20, hwreg(HW_REG_IB_STS2, 6, 4)
	s_mul_i32 s2, ttmp7, s2
	s_mov_b32 s13, 0
	s_add_co_i32 s3, s3, s2
	s_cmp_eq_u32 s20, 0
	v_bfe_u32 v9, v0, 10, 10
	s_cselect_b32 s2, ttmp7, s3
	s_delay_alu instid0(SALU_CYCLE_1)
	s_lshl_b32 s12, s2, 7
	s_wait_kmcnt 0x0
	v_cmp_gt_i64_e64 s2, s[4:5], s[12:13]
	s_and_b32 vcc_lo, exec_lo, s2
	s_cbranch_vccnz .LBB204_2
; %bb.1:
	v_bfe_u32 v1, v0, 10, 10
	s_mov_b32 s2, s13
	v_and_b32_e32 v8, 0x3ff, v0
	v_mov_b32_e32 v16, 0
	s_and_not1_b32 vcc_lo, exec_lo, s2
	s_cbranch_vccz .LBB204_3
	s_branch .LBB204_10
.LBB204_2:
                                        ; implicit-def: $vgpr1
	v_and_b32_e32 v8, 0x3ff, v0
	v_mov_b32_e32 v16, 0
.LBB204_3:
	v_dual_mov_b32 v1, 0 :: v_dual_lshlrev_b32 v0, 3, v9
	s_load_b32 s2, s[0:1], 0x4c
	s_bfe_u32 s14, ttmp6, 0x4000c
	s_clause 0x2
	s_load_b32 s3, s[0:1], 0x44
	s_load_b128 s[8:11], s[0:1], 0x10
	s_load_b64 s[16:17], s[0:1], 0x28
	s_add_co_i32 s14, s14, 1
	v_add_nc_u64_e32 v[2:3], s[12:13], v[0:1]
	s_and_b32 s18, ttmp6, 15
	s_mul_i32 s14, ttmp9, s14
	v_dual_mov_b32 v5, v1 :: v_dual_mov_b32 v15, v1
	s_add_co_i32 s18, s18, s14
	s_mov_b32 s15, 0
	s_delay_alu instid0(VALU_DEP_2)
	v_mul_u64_e32 v[6:7], s[6:7], v[2:3]
	v_dual_mov_b32 v0, 8 :: v_dual_mov_b32 v10, 4
	v_dual_mov_b32 v12, 16 :: v_dual_mov_b32 v13, 20
	v_mov_b32_e32 v11, 12
	s_wait_kmcnt 0x0
	s_and_b32 s2, s2, 0xffff
	s_cmp_eq_u32 s20, 0
	v_mad_u32_u24 v4, v9, s2, v8
	s_cselect_b32 s2, ttmp9, s18
	s_lshl_b32 s14, s3, 7
	v_lshl_add_u32 v14, s2, 5, v8
	s_mul_u64 s[18:19], s[6:7], s[14:15]
	v_and_b32_e32 v4, 31, v4
	s_lshl_b64 s[18:19], s[18:19], 1
	s_lshl_b64 s[6:7], s[6:7], 1
	v_lshlrev_b64_e32 v[16:17], 1, v[14:15]
	v_dual_mov_b32 v14, 24 :: v_dual_mov_b32 v15, 28
	v_add_nc_u64_e32 v[2:3], v[2:3], v[4:5]
	v_cmp_gt_u32_e64 s2, 8, v4
	s_delay_alu instid0(VALU_DEP_2)
	v_lshl_add_u64 v[4:5], v[2:3], 2, s[16:17]
	s_lshl_b64 s[16:17], s[14:15], 2
	v_lshl_add_u64 v[6:7], v[6:7], 1, v[16:17]
	v_mov_b32_e32 v16, 0
	s_branch .LBB204_6
.LBB204_4:                              ;   in Loop: Header=BB204_6 Depth=1
	s_wait_xcnt 0x0
	s_or_b32 exec_lo, exec_lo, s21
.LBB204_5:                              ;   in Loop: Header=BB204_6 Depth=1
	s_delay_alu instid0(SALU_CYCLE_1)
	s_or_b32 exec_lo, exec_lo, s3
	v_add_nc_u64_e32 v[18:19], s[8:9], v[6:7]
	v_add_nc_u64_e32 v[20:21], s[10:11], v[6:7]
	s_add_nc_u64 s[12:13], s[12:13], s[14:15]
	v_add_nc_u64_e32 v[4:5], s[16:17], v[4:5]
	v_cmp_lt_i64_e64 s3, s[12:13], s[4:5]
	v_add_nc_u64_e32 v[2:3], s[14:15], v[2:3]
	v_add_nc_u64_e32 v[6:7], s[18:19], v[6:7]
	;; [unrolled: 1-line block ×4, first 2 shown]
	global_load_u16 v30, v[18:19], off
	global_load_u16 v31, v[20:21], off
	;; [unrolled: 1-line block ×4, first 2 shown]
	s_and_b32 vcc_lo, exec_lo, s3
	v_add_nc_u64_e32 v[26:27], s[6:7], v[22:23]
	v_add_nc_u64_e32 v[28:29], s[6:7], v[24:25]
	global_load_u16 v34, v[26:27], off
	global_load_u16 v35, v[28:29], off
	s_wait_xcnt 0x5
	v_add_nc_u64_e32 v[18:19], s[6:7], v[26:27]
	s_wait_xcnt 0x4
	v_add_nc_u64_e32 v[20:21], s[6:7], v[28:29]
	global_load_u16 v27, v[18:19], off
	global_load_u16 v28, v[20:21], off
	v_add_nc_u64_e32 v[22:23], s[6:7], v[18:19]
	v_add_nc_u64_e32 v[24:25], s[6:7], v[20:21]
	global_load_u16 v29, v[22:23], off
	global_load_u16 v36, v[24:25], off
	s_wait_xcnt 0x3
	v_add_nc_u64_e32 v[18:19], s[6:7], v[22:23]
	s_wait_xcnt 0x2
	v_add_nc_u64_e32 v[20:21], s[6:7], v[24:25]
	global_load_u16 v37, v[18:19], off
	global_load_u16 v38, v[20:21], off
	s_wait_xcnt 0x3
	v_add_nc_u64_e32 v[22:23], s[6:7], v[18:19]
	s_wait_xcnt 0x2
	v_add_nc_u64_e32 v[24:25], s[6:7], v[20:21]
	s_wait_xcnt 0x1
	s_delay_alu instid0(VALU_DEP_2) | instskip(SKIP_1) | instid1(VALU_DEP_2)
	v_add_nc_u64_e32 v[18:19], s[6:7], v[22:23]
	s_wait_xcnt 0x0
	v_add_nc_u64_e32 v[20:21], s[6:7], v[24:25]
	global_load_u16 v39, v[22:23], off
	global_load_u16 v40, v[24:25], off
	;; [unrolled: 1-line block ×4, first 2 shown]
	s_wait_loadcnt 0x10
	s_wait_xcnt 0x1
	ds_bpermute_b32 v18, v1, v17
	ds_bpermute_b32 v19, v10, v17
	;; [unrolled: 1-line block ×4, first 2 shown]
	s_wait_loadcnt 0xe
	s_wait_xcnt 0x0
	v_dual_lshlrev_b32 v20, 16, v30 :: v_dual_lshlrev_b32 v22, 16, v31
	s_wait_loadcnt 0xc
	v_dual_lshlrev_b32 v21, 16, v32 :: v_dual_lshlrev_b32 v23, 16, v33
	s_delay_alu instid0(VALU_DEP_1) | instskip(SKIP_3) | instid1(VALU_DEP_2)
	v_pk_mul_f32 v[20:21], v[20:21], v[22:23]
	s_wait_loadcnt 0xa
	v_dual_lshlrev_b32 v22, 16, v34 :: v_dual_lshlrev_b32 v26, 16, v35
	s_wait_dscnt 0x2
	v_pk_mul_f32 v[18:19], v[20:21], v[18:19]
	ds_bpermute_b32 v20, v12, v17
	ds_bpermute_b32 v21, v13, v17
	s_wait_loadcnt 0x9
	v_dual_add_f32 v18, v16, v18 :: v_dual_lshlrev_b32 v23, 16, v27
	s_wait_loadcnt 0x8
	v_lshlrev_b32_e32 v27, 16, v28
	ds_bpermute_b32 v16, v14, v17
	ds_bpermute_b32 v17, v15, v17
	v_pk_mul_f32 v[22:23], v[22:23], v[26:27]
	s_wait_dscnt 0x4
	s_delay_alu instid0(VALU_DEP_1)
	v_pk_mul_f32 v[22:23], v[22:23], v[24:25]
	s_wait_loadcnt 0x6
	v_dual_lshlrev_b32 v24, 16, v36 :: v_dual_add_f32 v26, v18, v19
	v_lshlrev_b32_e32 v18, 16, v29
	s_wait_loadcnt 0x4
	v_dual_lshlrev_b32 v19, 16, v37 :: v_dual_lshlrev_b32 v25, 16, v38
	s_delay_alu instid0(VALU_DEP_3) | instskip(NEXT) | instid1(VALU_DEP_2)
	v_add_f32_e32 v22, v26, v22
	v_pk_mul_f32 v[18:19], v[18:19], v[24:25]
	s_wait_dscnt 0x2
	s_delay_alu instid0(VALU_DEP_1)
	v_pk_mul_f32 v[18:19], v[18:19], v[20:21]
	s_wait_loadcnt 0x2
	v_dual_lshlrev_b32 v24, 16, v40 :: v_dual_add_f32 v26, v22, v23
	s_wait_loadcnt 0x1
	v_dual_lshlrev_b32 v23, 16, v41 :: v_dual_lshlrev_b32 v22, 16, v39
	s_wait_loadcnt 0x0
	v_lshlrev_b32_e32 v25, 16, v42
	s_delay_alu instid0(VALU_DEP_1) | instskip(SKIP_1) | instid1(VALU_DEP_1)
	v_pk_mul_f32 v[20:21], v[22:23], v[24:25]
	s_wait_dscnt 0x0
	v_pk_mul_f32 v[16:17], v[20:21], v[16:17]
	v_add_f32_e32 v18, v26, v18
	s_delay_alu instid0(VALU_DEP_1) | instskip(NEXT) | instid1(VALU_DEP_1)
	v_add_f32_e32 v18, v18, v19
	v_add_f32_e32 v16, v18, v16
	s_delay_alu instid0(VALU_DEP_1)
	v_add_f32_e32 v16, v16, v17
	s_cbranch_vccz .LBB204_9
.LBB204_6:                              ; =>This Inner Loop Header: Depth=1
	v_mov_b32_e32 v17, 0
	s_and_saveexec_b32 s3, s2
	s_cbranch_execz .LBB204_5
; %bb.7:                                ;   in Loop: Header=BB204_6 Depth=1
	v_mov_b32_e32 v17, 0
	s_mov_b32 s21, exec_lo
	v_cmpx_gt_i64_e64 s[4:5], v[2:3]
	s_cbranch_execz .LBB204_4
; %bb.8:                                ;   in Loop: Header=BB204_6 Depth=1
	global_load_b32 v17, v[4:5], off
	s_branch .LBB204_4
.LBB204_9:
	v_mov_b32_e32 v1, v9
.LBB204_10:
	s_load_b64 s[2:3], s[0:1], 0x30
	s_delay_alu instid0(VALU_DEP_1) | instskip(SKIP_3) | instid1(VALU_DEP_2)
	v_mad_u32_u24 v0, v1, 33, v8
	v_dual_lshrrev_b32 v2, 5, v8 :: v_dual_mov_b32 v4, 0
	s_wait_xcnt 0x0
	s_mov_b32 s0, exec_lo
	v_lshl_add_u32 v3, v0, 2, 0
	s_delay_alu instid0(VALU_DEP_2)
	v_add_nc_u32_e32 v0, v2, v1
	ds_store_b32 v3, v16
	ds_store_b32 v3, v4 offset:2112
	s_wait_dscnt 0x0
	s_barrier_signal -1
	s_barrier_wait -1
	v_cmpx_gt_u32_e32 32, v0
	s_cbranch_execz .LBB204_20
; %bb.11:
	v_and_b32_e32 v1, 31, v8
                                        ; implicit-def: $vgpr4
	s_delay_alu instid0(VALU_DEP_1)
	v_cmp_gt_u32_e32 vcc_lo, 16, v1
	v_mul_u32_u24_e32 v1, 33, v1
	s_and_saveexec_b32 s0, vcc_lo
; %bb.12:
	s_delay_alu instid0(VALU_DEP_1) | instskip(NEXT) | instid1(VALU_DEP_1)
	v_dual_lshlrev_b32 v2, 2, v0 :: v_dual_lshlrev_b32 v3, 2, v1
	v_add3_u32 v2, 0, v2, v3
	ds_load_b32 v4, v2
; %bb.13:
	s_or_b32 exec_lo, exec_lo, s0
	v_mbcnt_lo_u32_b32 v5, -1, 0
	s_wait_kmcnt 0x0
	s_cmp_lg_u64 s[2:3], 0
	s_cselect_b32 s1, -1, 0
	s_bfe_u32 s4, ttmp6, 0x4000c
	v_xor_b32_e32 v3, 4, v5
	v_xor_b32_e32 v2, 8, v5
	s_add_co_i32 s4, s4, 1
	s_and_b32 s5, ttmp6, 15
	s_mul_i32 s4, ttmp9, s4
	v_xor_b32_e32 v9, 1, v5
	v_cmp_gt_i32_e64 s0, 32, v2
	s_delay_alu instid0(VALU_DEP_1) | instskip(SKIP_1) | instid1(VALU_DEP_1)
	v_cndmask_b32_e64 v2, v5, v2, s0
	v_cmp_gt_i32_e64 s0, 32, v3
	v_cndmask_b32_e64 v3, v5, v3, s0
	s_delay_alu instid0(VALU_DEP_1)
	v_dual_lshlrev_b32 v3, 2, v3 :: v_dual_lshlrev_b32 v2, 2, v2
	s_wait_dscnt 0x0
	ds_bpermute_b32 v6, v2, v4
	s_wait_dscnt 0x0
	v_dual_add_f32 v6, v4, v6 :: v_dual_bitop2_b32 v4, 2, v5 bitop3:0x14
	ds_bpermute_b32 v7, v3, v6
	v_cmp_gt_i32_e64 s0, 32, v4
	s_delay_alu instid0(VALU_DEP_1) | instskip(SKIP_2) | instid1(VALU_DEP_2)
	v_cndmask_b32_e64 v4, v5, v4, s0
	v_cmp_gt_i32_e64 s0, 32, v9
	s_wait_dscnt 0x0
	v_dual_add_f32 v6, v6, v7 :: v_dual_lshlrev_b32 v4, 2, v4
	ds_bpermute_b32 v7, v4, v6
	v_cndmask_b32_e64 v5, v5, v9, s0
	v_cmp_eq_u32_e64 s0, 0, v8
	s_and_b32 s1, s0, s1
	s_add_co_i32 s0, s5, s4
	s_cmp_eq_u32 s20, 0
	s_mov_b32 s5, 0
	s_cselect_b32 s4, ttmp9, s0
	s_delay_alu instid0(SALU_CYCLE_1) | instskip(NEXT) | instid1(SALU_CYCLE_1)
	s_lshl_b64 s[4:5], s[4:5], 6
	s_add_nc_u64 s[2:3], s[2:3], s[4:5]
	s_wait_dscnt 0x0
	v_dual_add_f32 v6, v6, v7 :: v_dual_lshlrev_b32 v5, 2, v5
	ds_bpermute_b32 v7, v5, v6
	s_wait_dscnt 0x0
	v_add_f32_e32 v6, v6, v7
	s_and_saveexec_b32 s4, s1
	s_cbranch_execz .LBB204_15
; %bb.14:
	s_delay_alu instid0(VALU_DEP_1) | instskip(SKIP_1) | instid1(VALU_DEP_2)
	v_bfe_u32 v7, v6, 16, 1
	v_cmp_o_f32_e64 s0, v6, v6
	v_add3_u32 v7, v6, v7, 0x7fff
	s_delay_alu instid0(VALU_DEP_1) | instskip(NEXT) | instid1(VALU_DEP_1)
	v_lshrrev_b32_e32 v7, 16, v7
	v_cndmask_b32_e64 v7, 0x7fc0, v7, s0
	global_store_b16 v0, v7, s[2:3] scale_offset
.LBB204_15:
	s_wait_xcnt 0x0
	s_or_b32 exec_lo, exec_lo, s4
	v_cmp_gt_u32_e64 s0, 16, v0
	s_and_b32 exec_lo, exec_lo, s0
	s_cbranch_execz .LBB204_20
; %bb.16:
	s_and_saveexec_b32 s0, vcc_lo
; %bb.17:
	v_dual_lshlrev_b32 v6, 2, v0 :: v_dual_lshlrev_b32 v1, 2, v1
	s_delay_alu instid0(VALU_DEP_1)
	v_add3_u32 v1, 0, v6, v1
	ds_load_b32 v6, v1 offset:64
; %bb.18:
	s_or_b32 exec_lo, exec_lo, s0
	s_wait_dscnt 0x0
	ds_bpermute_b32 v1, v2, v6
	s_wait_dscnt 0x0
	v_add_f32_e32 v1, v6, v1
	ds_bpermute_b32 v2, v3, v1
	s_wait_dscnt 0x0
	v_add_f32_e32 v1, v1, v2
	;; [unrolled: 3-line block ×3, first 2 shown]
	ds_bpermute_b32 v2, v5, v1
	s_and_saveexec_b32 s0, s1
	s_delay_alu instid0(SALU_CYCLE_1)
	s_xor_b32 s0, exec_lo, s0
	s_cbranch_execz .LBB204_20
; %bb.19:
	s_wait_dscnt 0x0
	v_add_f32_e32 v1, v1, v2
	s_delay_alu instid0(VALU_DEP_1) | instskip(NEXT) | instid1(VALU_DEP_1)
	v_bfe_u32 v2, v1, 16, 1
	v_add3_u32 v2, v1, v2, 0x7fff
	s_delay_alu instid0(VALU_DEP_1) | instskip(SKIP_1) | instid1(VALU_DEP_2)
	v_lshrrev_b32_e32 v2, 16, v2
	v_cmp_o_f32_e32 vcc_lo, v1, v1
	v_cndmask_b32_e32 v1, 0x7fc0, v2, vcc_lo
	global_store_b16 v0, v1, s[2:3] offset:32 scale_offset
.LBB204_20:
	s_endpgm
	.section	.rodata,"a",@progbits
	.p2align	6, 0x0
	.amdhsa_kernel _ZN2at6native12_GLOBAL__N_135GammaBetaBackwardCUDAKernelTemplateIN3c108BFloat16EfLj32ELj16ELj128ELb0ELb1ELb1EEEvllPKT_S7_PKT0_SA_PS5_SB_
		.amdhsa_group_segment_fixed_size 0
		.amdhsa_private_segment_fixed_size 0
		.amdhsa_kernarg_size 320
		.amdhsa_user_sgpr_count 2
		.amdhsa_user_sgpr_dispatch_ptr 0
		.amdhsa_user_sgpr_queue_ptr 0
		.amdhsa_user_sgpr_kernarg_segment_ptr 1
		.amdhsa_user_sgpr_dispatch_id 0
		.amdhsa_user_sgpr_kernarg_preload_length 0
		.amdhsa_user_sgpr_kernarg_preload_offset 0
		.amdhsa_user_sgpr_private_segment_size 0
		.amdhsa_wavefront_size32 1
		.amdhsa_uses_dynamic_stack 0
		.amdhsa_enable_private_segment 0
		.amdhsa_system_sgpr_workgroup_id_x 1
		.amdhsa_system_sgpr_workgroup_id_y 1
		.amdhsa_system_sgpr_workgroup_id_z 0
		.amdhsa_system_sgpr_workgroup_info 0
		.amdhsa_system_vgpr_workitem_id 1
		.amdhsa_next_free_vgpr 43
		.amdhsa_next_free_sgpr 22
		.amdhsa_named_barrier_count 0
		.amdhsa_reserve_vcc 1
		.amdhsa_float_round_mode_32 0
		.amdhsa_float_round_mode_16_64 0
		.amdhsa_float_denorm_mode_32 3
		.amdhsa_float_denorm_mode_16_64 3
		.amdhsa_fp16_overflow 0
		.amdhsa_memory_ordered 1
		.amdhsa_forward_progress 1
		.amdhsa_inst_pref_size 15
		.amdhsa_round_robin_scheduling 0
		.amdhsa_exception_fp_ieee_invalid_op 0
		.amdhsa_exception_fp_denorm_src 0
		.amdhsa_exception_fp_ieee_div_zero 0
		.amdhsa_exception_fp_ieee_overflow 0
		.amdhsa_exception_fp_ieee_underflow 0
		.amdhsa_exception_fp_ieee_inexact 0
		.amdhsa_exception_int_div_zero 0
	.end_amdhsa_kernel
	.section	.text._ZN2at6native12_GLOBAL__N_135GammaBetaBackwardCUDAKernelTemplateIN3c108BFloat16EfLj32ELj16ELj128ELb0ELb1ELb1EEEvllPKT_S7_PKT0_SA_PS5_SB_,"axG",@progbits,_ZN2at6native12_GLOBAL__N_135GammaBetaBackwardCUDAKernelTemplateIN3c108BFloat16EfLj32ELj16ELj128ELb0ELb1ELb1EEEvllPKT_S7_PKT0_SA_PS5_SB_,comdat
.Lfunc_end204:
	.size	_ZN2at6native12_GLOBAL__N_135GammaBetaBackwardCUDAKernelTemplateIN3c108BFloat16EfLj32ELj16ELj128ELb0ELb1ELb1EEEvllPKT_S7_PKT0_SA_PS5_SB_, .Lfunc_end204-_ZN2at6native12_GLOBAL__N_135GammaBetaBackwardCUDAKernelTemplateIN3c108BFloat16EfLj32ELj16ELj128ELb0ELb1ELb1EEEvllPKT_S7_PKT0_SA_PS5_SB_
                                        ; -- End function
	.set _ZN2at6native12_GLOBAL__N_135GammaBetaBackwardCUDAKernelTemplateIN3c108BFloat16EfLj32ELj16ELj128ELb0ELb1ELb1EEEvllPKT_S7_PKT0_SA_PS5_SB_.num_vgpr, 43
	.set _ZN2at6native12_GLOBAL__N_135GammaBetaBackwardCUDAKernelTemplateIN3c108BFloat16EfLj32ELj16ELj128ELb0ELb1ELb1EEEvllPKT_S7_PKT0_SA_PS5_SB_.num_agpr, 0
	.set _ZN2at6native12_GLOBAL__N_135GammaBetaBackwardCUDAKernelTemplateIN3c108BFloat16EfLj32ELj16ELj128ELb0ELb1ELb1EEEvllPKT_S7_PKT0_SA_PS5_SB_.numbered_sgpr, 22
	.set _ZN2at6native12_GLOBAL__N_135GammaBetaBackwardCUDAKernelTemplateIN3c108BFloat16EfLj32ELj16ELj128ELb0ELb1ELb1EEEvllPKT_S7_PKT0_SA_PS5_SB_.num_named_barrier, 0
	.set _ZN2at6native12_GLOBAL__N_135GammaBetaBackwardCUDAKernelTemplateIN3c108BFloat16EfLj32ELj16ELj128ELb0ELb1ELb1EEEvllPKT_S7_PKT0_SA_PS5_SB_.private_seg_size, 0
	.set _ZN2at6native12_GLOBAL__N_135GammaBetaBackwardCUDAKernelTemplateIN3c108BFloat16EfLj32ELj16ELj128ELb0ELb1ELb1EEEvllPKT_S7_PKT0_SA_PS5_SB_.uses_vcc, 1
	.set _ZN2at6native12_GLOBAL__N_135GammaBetaBackwardCUDAKernelTemplateIN3c108BFloat16EfLj32ELj16ELj128ELb0ELb1ELb1EEEvllPKT_S7_PKT0_SA_PS5_SB_.uses_flat_scratch, 0
	.set _ZN2at6native12_GLOBAL__N_135GammaBetaBackwardCUDAKernelTemplateIN3c108BFloat16EfLj32ELj16ELj128ELb0ELb1ELb1EEEvllPKT_S7_PKT0_SA_PS5_SB_.has_dyn_sized_stack, 0
	.set _ZN2at6native12_GLOBAL__N_135GammaBetaBackwardCUDAKernelTemplateIN3c108BFloat16EfLj32ELj16ELj128ELb0ELb1ELb1EEEvllPKT_S7_PKT0_SA_PS5_SB_.has_recursion, 0
	.set _ZN2at6native12_GLOBAL__N_135GammaBetaBackwardCUDAKernelTemplateIN3c108BFloat16EfLj32ELj16ELj128ELb0ELb1ELb1EEEvllPKT_S7_PKT0_SA_PS5_SB_.has_indirect_call, 0
	.section	.AMDGPU.csdata,"",@progbits
; Kernel info:
; codeLenInByte = 1804
; TotalNumSgprs: 24
; NumVgprs: 43
; ScratchSize: 0
; MemoryBound: 0
; FloatMode: 240
; IeeeMode: 1
; LDSByteSize: 0 bytes/workgroup (compile time only)
; SGPRBlocks: 0
; VGPRBlocks: 2
; NumSGPRsForWavesPerEU: 24
; NumVGPRsForWavesPerEU: 43
; NamedBarCnt: 0
; Occupancy: 16
; WaveLimiterHint : 0
; COMPUTE_PGM_RSRC2:SCRATCH_EN: 0
; COMPUTE_PGM_RSRC2:USER_SGPR: 2
; COMPUTE_PGM_RSRC2:TRAP_HANDLER: 0
; COMPUTE_PGM_RSRC2:TGID_X_EN: 1
; COMPUTE_PGM_RSRC2:TGID_Y_EN: 1
; COMPUTE_PGM_RSRC2:TGID_Z_EN: 0
; COMPUTE_PGM_RSRC2:TIDIG_COMP_CNT: 1
	.section	.text._ZN2at6native12_GLOBAL__N_135GammaBetaBackwardCUDAKernelTemplateIN3c108BFloat16EfLj32ELj16ELj128ELb0ELb0ELb1EEEvllPKT_S7_PKT0_SA_PS5_SB_,"axG",@progbits,_ZN2at6native12_GLOBAL__N_135GammaBetaBackwardCUDAKernelTemplateIN3c108BFloat16EfLj32ELj16ELj128ELb0ELb0ELb1EEEvllPKT_S7_PKT0_SA_PS5_SB_,comdat
	.globl	_ZN2at6native12_GLOBAL__N_135GammaBetaBackwardCUDAKernelTemplateIN3c108BFloat16EfLj32ELj16ELj128ELb0ELb0ELb1EEEvllPKT_S7_PKT0_SA_PS5_SB_ ; -- Begin function _ZN2at6native12_GLOBAL__N_135GammaBetaBackwardCUDAKernelTemplateIN3c108BFloat16EfLj32ELj16ELj128ELb0ELb0ELb1EEEvllPKT_S7_PKT0_SA_PS5_SB_
	.p2align	8
	.type	_ZN2at6native12_GLOBAL__N_135GammaBetaBackwardCUDAKernelTemplateIN3c108BFloat16EfLj32ELj16ELj128ELb0ELb0ELb1EEEvllPKT_S7_PKT0_SA_PS5_SB_,@function
_ZN2at6native12_GLOBAL__N_135GammaBetaBackwardCUDAKernelTemplateIN3c108BFloat16EfLj32ELj16ELj128ELb0ELb0ELb1EEEvllPKT_S7_PKT0_SA_PS5_SB_: ; @_ZN2at6native12_GLOBAL__N_135GammaBetaBackwardCUDAKernelTemplateIN3c108BFloat16EfLj32ELj16ELj128ELb0ELb0ELb1EEEvllPKT_S7_PKT0_SA_PS5_SB_
; %bb.0:
	s_load_b256 s[4:11], s[0:1], 0x0
	s_bfe_u32 s3, ttmp6, 0x4000c
	s_bfe_u32 s12, ttmp6, 0x40010
	s_add_co_i32 s3, s3, 1
	s_add_co_i32 s12, s12, 1
	s_and_b32 s2, ttmp6, 15
	s_bfe_u32 s13, ttmp6, 0x40004
	s_mul_i32 s3, ttmp9, s3
	s_mul_i32 s12, ttmp7, s12
	s_getreg_b32 s14, hwreg(HW_REG_IB_STS2, 6, 4)
	s_add_co_i32 s2, s2, s3
	s_add_co_i32 s13, s13, s12
	s_cmp_eq_u32 s14, 0
	s_mov_b32 s17, 0
	s_cselect_b32 s12, ttmp9, s2
	s_cselect_b32 s2, ttmp7, s13
	s_lshl_b32 s3, s12, 5
	s_load_b64 s[14:15], s[0:1], 0x28
	s_or_b32 s16, s3, 31
	s_wait_kmcnt 0x0
	v_cmp_le_i64_e64 s18, s[6:7], s[16:17]
	s_lshl_b32 s16, s2, 7
	s_delay_alu instid0(SALU_CYCLE_1) | instskip(SKIP_2) | instid1(VALU_DEP_1)
	v_cmp_gt_i64_e64 s13, s[4:5], s[16:17]
	s_and_b32 vcc_lo, exec_lo, s18
	v_cndmask_b32_e64 v1, 0, 1, s13
	v_cmp_ne_u32_e64 s2, 1, v1
	s_cbranch_vccz .LBB205_49
; %bb.1:
	v_mov_b32_e32 v3, 0
	s_and_b32 vcc_lo, exec_lo, s2
	s_cbranch_vccnz .LBB205_50
; %bb.2:
	v_bfe_u32 v1, v0, 10, 10
	v_mov_b32_e32 v2, 0
	v_and_b32_e32 v58, 0x3ff, v0
	s_load_b32 s18, s[0:1], 0x44
	s_mov_b32 s19, 0
	s_delay_alu instid0(VALU_DEP_2) | instskip(NEXT) | instid1(VALU_DEP_2)
	v_dual_mov_b32 v21, v2 :: v_dual_lshlrev_b32 v20, 3, v1
	v_dual_mov_b32 v19, v2 :: v_dual_add_nc_u32 v18, s3, v58
	v_mov_b32_e32 v59, 0
	s_mov_b32 s35, s19
	s_delay_alu instid0(VALU_DEP_3)
	v_add_nc_u64_e32 v[4:5], s[16:17], v[20:21]
	s_add_nc_u64 s[20:21], s[0:1], 64
	v_cmp_gt_i64_e64 s2, s[6:7], v[18:19]
	v_lshlrev_b64_e32 v[22:23], 1, v[18:19]
	s_mov_b64 s[22:23], 0xffffffffffffff81
	s_mov_b64 s[24:25], 0xffffffffffffff82
	;; [unrolled: 1-line block ×3, first 2 shown]
	v_mul_u64_e32 v[6:7], s[6:7], v[4:5]
	v_add_nc_u64_e32 v[8:9], 7, v[4:5]
	v_add_nc_u64_e32 v[10:11], 6, v[4:5]
	;; [unrolled: 1-line block ×6, first 2 shown]
	s_wait_kmcnt 0x0
	s_lshl_b32 s34, s18, 7
	v_mul_u64_e32 v[8:9], s[6:7], v[8:9]
	v_mul_u64_e32 v[10:11], s[6:7], v[10:11]
	;; [unrolled: 1-line block ×6, first 2 shown]
	s_mul_u64 s[42:43], s[6:7], s[34:35]
	s_mov_b64 s[28:29], 0xffffffffffffff84
	s_mov_b64 s[30:31], 0xffffffffffffff85
	s_mov_b64 s[36:37], 0xffffffffffffff86
	s_mov_b64 s[38:39], 0xffffffffffffff87
	s_mov_b64 s[40:41], 0xffffffffffffff88
	s_lshl_b64 s[42:43], s[42:43], 1
	s_add_nc_u64 s[44:45], s[16:17], 0x7f
	s_mov_b64 s[46:47], s[16:17]
	v_lshlrev_b64_e32 v[26:27], 1, v[6:7]
	v_add_nc_u64_e32 v[6:7], s[6:7], v[6:7]
	s_delay_alu instid0(VALU_DEP_2)
	v_add_nc_u64_e32 v[24:25], s[8:9], v[26:27]
	v_lshlrev_b64_e32 v[8:9], 1, v[8:9]
	v_lshlrev_b64_e32 v[10:11], 1, v[10:11]
	;; [unrolled: 1-line block ×7, first 2 shown]
	v_add_nc_u64_e32 v[26:27], s[10:11], v[26:27]
	v_add_nc_u64_e32 v[28:29], s[8:9], v[8:9]
	;; [unrolled: 1-line block ×15, first 2 shown]
.LBB205_3:                              ; =>This Inner Loop Header: Depth=1
	v_cmp_ge_i64_e64 s18, s[44:45], s[4:5]
	v_add_nc_u64_e32 v[56:57], s[44:45], v[20:21]
                                        ; implicit-def: $vgpr4_vgpr5_vgpr6_vgpr7_vgpr8_vgpr9_vgpr10_vgpr11
                                        ; implicit-def: $vgpr3
                                        ; implicit-def: $vgpr12_vgpr13_vgpr14_vgpr15_vgpr16_vgpr17_vgpr18_vgpr19
                                        ; implicit-def: $vgpr4
	s_and_b32 vcc_lo, exec_lo, s18
	s_mov_b32 s18, -1
	s_cbranch_vccz .LBB205_25
; %bb.4:                                ;   in Loop: Header=BB205_3 Depth=1
	s_load_b32 s18, s[20:21], 0xc
	v_mov_b32_e32 v60, 0
	s_wait_kmcnt 0x0
	s_and_b32 s18, s18, 0xffff
	s_delay_alu instid0(SALU_CYCLE_1) | instskip(SKIP_1) | instid1(VALU_DEP_1)
	v_mad_u32_u24 v3, v1, s18, v58
	s_mov_b32 s18, exec_lo
	v_and_b32_e32 v4, 31, v3
	s_delay_alu instid0(VALU_DEP_1)
	v_cmpx_gt_u32_e32 8, v4
	s_cbranch_execz .LBB205_8
; %bb.5:                                ;   in Loop: Header=BB205_3 Depth=1
	v_dual_mov_b32 v5, v2 :: v_dual_mov_b32 v60, 0
	s_mov_b32 s33, exec_lo
	s_delay_alu instid0(VALU_DEP_1) | instskip(NEXT) | instid1(VALU_DEP_1)
	v_add_nc_u64_e32 v[4:5], v[56:57], v[4:5]
	v_add_nc_u64_e32 v[4:5], s[22:23], v[4:5]
	s_delay_alu instid0(VALU_DEP_1)
	v_cmpx_gt_i64_e64 s[4:5], v[4:5]
	s_cbranch_execz .LBB205_7
; %bb.6:                                ;   in Loop: Header=BB205_3 Depth=1
	v_lshl_add_u64 v[4:5], v[4:5], 2, s[14:15]
	global_load_b32 v60, v[4:5], off
.LBB205_7:                              ;   in Loop: Header=BB205_3 Depth=1
	s_wait_xcnt 0x0
	s_or_b32 exec_lo, exec_lo, s33
.LBB205_8:                              ;   in Loop: Header=BB205_3 Depth=1
	s_delay_alu instid0(SALU_CYCLE_1)
	s_or_b32 exec_lo, exec_lo, s18
	v_add_nc_u64_e32 v[10:11], s[22:23], v[56:57]
	v_dual_mov_b32 v7, v2 :: v_dual_mov_b32 v8, v2
	v_dual_mov_b32 v9, v2 :: v_dual_mov_b32 v3, v2
	v_dual_mov_b32 v4, v2 :: v_dual_mov_b32 v5, v2
	v_mov_b32_e32 v6, v2
	v_cmp_gt_i64_e32 vcc_lo, s[4:5], v[10:11]
	s_delay_alu instid0(VALU_DEP_4)
	v_mov_b64_e32 v[18:19], v[8:9]
	v_mov_b64_e32 v[12:13], v[2:3]
	;; [unrolled: 1-line block ×8, first 2 shown]
	s_and_b32 s33, s2, vcc_lo
	s_delay_alu instid0(SALU_CYCLE_1)
	s_and_saveexec_b32 s18, s33
	s_cbranch_execz .LBB205_10
; %bb.9:                                ;   in Loop: Header=BB205_3 Depth=1
	v_add_nc_u64_e32 v[4:5], v[24:25], v[22:23]
	v_add_nc_u64_e32 v[6:7], v[26:27], v[22:23]
	v_dual_mov_b32 v9, v2 :: v_dual_mov_b32 v10, v2
	v_dual_mov_b32 v11, v2 :: v_dual_mov_b32 v13, v2
	;; [unrolled: 1-line block ×3, first 2 shown]
	global_load_u16 v3, v[4:5], off
	global_load_u16 v12, v[6:7], off
	s_wait_xcnt 0x0
	v_dual_mov_b32 v5, v2 :: v_dual_mov_b32 v6, v2
	v_dual_mov_b32 v7, v2 :: v_dual_mov_b32 v8, v2
	;; [unrolled: 1-line block ×4, first 2 shown]
	s_wait_loadcnt 0x0
	v_dual_lshlrev_b32 v4, 16, v3 :: v_dual_lshlrev_b32 v12, 16, v12
.LBB205_10:                             ;   in Loop: Header=BB205_3 Depth=1
	s_or_b32 exec_lo, exec_lo, s18
	v_add_nc_u64_e32 v[62:63], s[24:25], v[56:57]
	s_delay_alu instid0(VALU_DEP_1) | instskip(SKIP_1) | instid1(SALU_CYCLE_1)
	v_cmp_gt_i64_e32 vcc_lo, s[4:5], v[62:63]
	s_and_b32 s33, s2, vcc_lo
	s_and_saveexec_b32 s18, s33
	s_cbranch_execz .LBB205_12
; %bb.11:                               ;   in Loop: Header=BB205_3 Depth=1
	v_add_nc_u64_e32 v[62:63], v[52:53], v[22:23]
	v_add_nc_u64_e32 v[64:65], v[54:55], v[22:23]
	global_load_u16 v3, v[62:63], off
	global_load_u16 v13, v[64:65], off
	s_wait_loadcnt 0x0
	v_dual_lshlrev_b32 v5, 16, v3 :: v_dual_lshlrev_b32 v13, 16, v13
.LBB205_12:                             ;   in Loop: Header=BB205_3 Depth=1
	s_or_b32 exec_lo, exec_lo, s18
	v_add_nc_u64_e32 v[62:63], s[26:27], v[56:57]
	s_delay_alu instid0(VALU_DEP_1) | instskip(SKIP_1) | instid1(SALU_CYCLE_1)
	v_cmp_gt_i64_e32 vcc_lo, s[4:5], v[62:63]
	s_and_b32 s33, s2, vcc_lo
	s_and_saveexec_b32 s18, s33
	s_cbranch_execz .LBB205_14
; %bb.13:                               ;   in Loop: Header=BB205_3 Depth=1
	v_add_nc_u64_e32 v[62:63], v[48:49], v[22:23]
	v_add_nc_u64_e32 v[64:65], v[50:51], v[22:23]
	global_load_u16 v3, v[62:63], off
	global_load_u16 v14, v[64:65], off
	s_wait_loadcnt 0x0
	v_dual_lshlrev_b32 v6, 16, v3 :: v_dual_lshlrev_b32 v14, 16, v14
.LBB205_14:                             ;   in Loop: Header=BB205_3 Depth=1
	s_or_b32 exec_lo, exec_lo, s18
	v_add_nc_u64_e32 v[62:63], s[28:29], v[56:57]
	s_delay_alu instid0(VALU_DEP_1) | instskip(SKIP_1) | instid1(SALU_CYCLE_1)
	v_cmp_gt_i64_e32 vcc_lo, s[4:5], v[62:63]
	s_and_b32 s33, s2, vcc_lo
	s_and_saveexec_b32 s18, s33
	s_cbranch_execz .LBB205_16
; %bb.15:                               ;   in Loop: Header=BB205_3 Depth=1
	v_add_nc_u64_e32 v[62:63], v[44:45], v[22:23]
	v_add_nc_u64_e32 v[64:65], v[46:47], v[22:23]
	global_load_u16 v3, v[62:63], off
	global_load_u16 v15, v[64:65], off
	s_wait_loadcnt 0x1
	v_lshlrev_b32_e32 v7, 16, v3
	s_wait_loadcnt 0x0
	v_lshlrev_b32_e32 v15, 16, v15
.LBB205_16:                             ;   in Loop: Header=BB205_3 Depth=1
	s_or_b32 exec_lo, exec_lo, s18
	v_add_nc_u64_e32 v[62:63], s[30:31], v[56:57]
	s_delay_alu instid0(VALU_DEP_1) | instskip(SKIP_1) | instid1(SALU_CYCLE_1)
	v_cmp_gt_i64_e32 vcc_lo, s[4:5], v[62:63]
	s_and_b32 s33, s2, vcc_lo
	s_and_saveexec_b32 s18, s33
	s_cbranch_execz .LBB205_18
; %bb.17:                               ;   in Loop: Header=BB205_3 Depth=1
	v_add_nc_u64_e32 v[62:63], v[40:41], v[22:23]
	v_add_nc_u64_e32 v[64:65], v[42:43], v[22:23]
	global_load_u16 v3, v[62:63], off
	global_load_u16 v16, v[64:65], off
	s_wait_loadcnt 0x0
	v_dual_lshlrev_b32 v8, 16, v3 :: v_dual_lshlrev_b32 v16, 16, v16
.LBB205_18:                             ;   in Loop: Header=BB205_3 Depth=1
	s_or_b32 exec_lo, exec_lo, s18
	v_add_nc_u64_e32 v[62:63], s[36:37], v[56:57]
	s_delay_alu instid0(VALU_DEP_1) | instskip(SKIP_1) | instid1(SALU_CYCLE_1)
	v_cmp_gt_i64_e32 vcc_lo, s[4:5], v[62:63]
	s_and_b32 s33, s2, vcc_lo
	s_and_saveexec_b32 s18, s33
	s_cbranch_execz .LBB205_20
; %bb.19:                               ;   in Loop: Header=BB205_3 Depth=1
	v_add_nc_u64_e32 v[62:63], v[36:37], v[22:23]
	v_add_nc_u64_e32 v[64:65], v[38:39], v[22:23]
	global_load_u16 v3, v[62:63], off
	global_load_u16 v17, v[64:65], off
	s_wait_loadcnt 0x0
	v_dual_lshlrev_b32 v9, 16, v3 :: v_dual_lshlrev_b32 v17, 16, v17
.LBB205_20:                             ;   in Loop: Header=BB205_3 Depth=1
	;; [unrolled: 15-line block ×3, first 2 shown]
	s_or_b32 exec_lo, exec_lo, s18
	v_add_nc_u64_e32 v[62:63], s[40:41], v[56:57]
	s_delay_alu instid0(VALU_DEP_1) | instskip(SKIP_1) | instid1(SALU_CYCLE_1)
	v_cmp_gt_i64_e32 vcc_lo, s[4:5], v[62:63]
	s_and_b32 s33, s2, vcc_lo
	s_and_saveexec_b32 s18, s33
	s_cbranch_execz .LBB205_24
; %bb.23:                               ;   in Loop: Header=BB205_3 Depth=1
	v_add_nc_u64_e32 v[62:63], v[28:29], v[22:23]
	v_add_nc_u64_e32 v[64:65], v[30:31], v[22:23]
	global_load_u16 v3, v[62:63], off
	global_load_u16 v19, v[64:65], off
	s_wait_loadcnt 0x1
	v_lshlrev_b32_e32 v11, 16, v3
	s_wait_loadcnt 0x0
	v_lshlrev_b32_e32 v19, 16, v19
.LBB205_24:                             ;   in Loop: Header=BB205_3 Depth=1
	s_or_b32 exec_lo, exec_lo, s18
	s_wait_loadcnt 0x0
	ds_bpermute_b32 v3, v2, v60
	ds_bpermute_b32 v62, v2, v60 offset:4
	ds_bpermute_b32 v63, v2, v60 offset:8
	;; [unrolled: 1-line block ×4, first 2 shown]
	v_pk_mul_f32 v[6:7], v[14:15], v[6:7]
	v_dual_mul_f32 v14, v12, v4 :: v_dual_mul_f32 v4, v13, v5
	v_pk_mul_f32 v[8:9], v[16:17], v[8:9]
	ds_bpermute_b32 v12, v2, v60 offset:20
	v_dual_mov_b32 v5, v6 :: v_dual_mov_b32 v6, v7
	ds_bpermute_b32 v13, v2, v60 offset:24
	s_mov_b32 s18, 0
	v_dual_mov_b32 v7, v8 :: v_dual_mul_f32 v15, v18, v10
	s_wait_dscnt 0x6
	v_dual_fma_f32 v3, v14, v3, v59 :: v_dual_mov_b32 v14, v9
	s_wait_dscnt 0x4
	v_pk_mul_f32 v[4:5], v[4:5], v[62:63]
	s_wait_dscnt 0x2
	v_pk_mul_f32 v[6:7], v[6:7], v[64:65]
	s_delay_alu instid0(VALU_DEP_2) | instskip(SKIP_2) | instid1(VALU_DEP_1)
	v_add_f32_e32 v3, v3, v4
	ds_bpermute_b32 v4, v2, v60 offset:28
	v_add_f32_e32 v3, v3, v5
	v_add_f32_e32 v3, v3, v6
	s_delay_alu instid0(VALU_DEP_1) | instskip(SKIP_2) | instid1(VALU_DEP_1)
	v_add_f32_e32 v3, v3, v7
	s_wait_dscnt 0x1
	v_pk_mul_f32 v[6:7], v[14:15], v[12:13]
	v_add_f32_e32 v3, v3, v6
	s_delay_alu instid0(VALU_DEP_1)
	v_add_f32_e32 v3, v3, v7
.LBB205_25:                             ;   in Loop: Header=BB205_3 Depth=1
	s_and_b32 vcc_lo, exec_lo, s18
	s_cbranch_vccz .LBB205_40
; %bb.26:                               ;   in Loop: Header=BB205_3 Depth=1
	s_load_b32 s18, s[20:21], 0x0
	v_mov_b32_e32 v60, 0
	s_wait_kmcnt 0x0
	s_cmp_lt_u32 s12, s18
	s_cselect_b32 s18, 12, 18
	s_delay_alu instid0(SALU_CYCLE_1)
	s_add_nc_u64 s[48:49], s[20:21], s[18:19]
	s_load_u16 s18, s[48:49], 0x0
	s_wait_kmcnt 0x0
	v_mad_u32_u24 v3, v1, s18, v58
	s_mov_b32 s18, exec_lo
	s_wait_dscnt 0x0
	s_delay_alu instid0(VALU_DEP_1) | instskip(NEXT) | instid1(VALU_DEP_1)
	v_and_b32_e32 v4, 31, v3
	v_cmpx_gt_u32_e32 8, v4
	s_cbranch_execz .LBB205_30
; %bb.27:                               ;   in Loop: Header=BB205_3 Depth=1
	v_dual_mov_b32 v5, v2 :: v_dual_mov_b32 v60, 0
	s_mov_b32 s33, exec_lo
	s_delay_alu instid0(VALU_DEP_1) | instskip(NEXT) | instid1(VALU_DEP_1)
	v_add_nc_u64_e32 v[4:5], v[56:57], v[4:5]
	v_add_nc_u64_e32 v[4:5], s[22:23], v[4:5]
	s_delay_alu instid0(VALU_DEP_1)
	v_cmpx_gt_i64_e64 s[4:5], v[4:5]
	s_cbranch_execz .LBB205_29
; %bb.28:                               ;   in Loop: Header=BB205_3 Depth=1
	v_lshl_add_u64 v[4:5], v[4:5], 2, s[14:15]
	global_load_b32 v60, v[4:5], off
.LBB205_29:                             ;   in Loop: Header=BB205_3 Depth=1
	s_wait_xcnt 0x0
	s_or_b32 exec_lo, exec_lo, s33
.LBB205_30:                             ;   in Loop: Header=BB205_3 Depth=1
	s_delay_alu instid0(SALU_CYCLE_1) | instskip(SKIP_4) | instid1(VALU_DEP_3)
	s_or_b32 exec_lo, exec_lo, s18
	v_dual_mov_b32 v7, v2 :: v_dual_mov_b32 v8, v2
	v_dual_mov_b32 v9, v2 :: v_dual_mov_b32 v3, v2
	;; [unrolled: 1-line block ×3, first 2 shown]
	v_mov_b32_e32 v6, v2
	v_mov_b64_e32 v[18:19], v[8:9]
	s_delay_alu instid0(VALU_DEP_4) | instskip(NEXT) | instid1(VALU_DEP_4)
	v_mov_b64_e32 v[12:13], v[2:3]
	v_mov_b64_e32 v[14:15], v[4:5]
	s_delay_alu instid0(VALU_DEP_4)
	v_mov_b64_e32 v[16:17], v[6:7]
	v_mov_b64_e32 v[10:11], v[8:9]
	;; [unrolled: 1-line block ×5, first 2 shown]
	s_and_saveexec_b32 s18, s2
	s_cbranch_execnz .LBB205_42
; %bb.31:                               ;   in Loop: Header=BB205_3 Depth=1
	s_or_b32 exec_lo, exec_lo, s18
	s_and_saveexec_b32 s18, s2
	s_cbranch_execnz .LBB205_43
.LBB205_32:                             ;   in Loop: Header=BB205_3 Depth=1
	s_or_b32 exec_lo, exec_lo, s18
	s_and_saveexec_b32 s18, s2
	s_cbranch_execnz .LBB205_44
.LBB205_33:                             ;   in Loop: Header=BB205_3 Depth=1
	s_or_b32 exec_lo, exec_lo, s18
	s_and_saveexec_b32 s18, s2
	s_cbranch_execnz .LBB205_45
.LBB205_34:                             ;   in Loop: Header=BB205_3 Depth=1
	s_or_b32 exec_lo, exec_lo, s18
	s_and_saveexec_b32 s18, s2
	s_cbranch_execnz .LBB205_46
.LBB205_35:                             ;   in Loop: Header=BB205_3 Depth=1
	s_or_b32 exec_lo, exec_lo, s18
	s_and_saveexec_b32 s18, s2
	s_cbranch_execnz .LBB205_47
.LBB205_36:                             ;   in Loop: Header=BB205_3 Depth=1
	s_or_b32 exec_lo, exec_lo, s18
	s_and_saveexec_b32 s18, s2
	s_cbranch_execnz .LBB205_48
.LBB205_37:                             ;   in Loop: Header=BB205_3 Depth=1
	s_or_b32 exec_lo, exec_lo, s18
	s_and_saveexec_b32 s18, s2
	s_cbranch_execz .LBB205_39
.LBB205_38:                             ;   in Loop: Header=BB205_3 Depth=1
	v_add_nc_u64_e32 v[56:57], v[28:29], v[22:23]
	v_add_nc_u64_e32 v[62:63], v[30:31], v[22:23]
	global_load_u16 v3, v[56:57], off
	global_load_u16 v19, v[62:63], off
	s_wait_loadcnt 0x1
	v_lshlrev_b32_e32 v11, 16, v3
	s_wait_loadcnt 0x0
	v_lshlrev_b32_e32 v19, 16, v19
.LBB205_39:                             ;   in Loop: Header=BB205_3 Depth=1
	s_or_b32 exec_lo, exec_lo, s18
	s_wait_loadcnt 0x0
	ds_bpermute_b32 v3, v2, v60
	ds_bpermute_b32 v56, v2, v60 offset:4
	ds_bpermute_b32 v57, v2, v60 offset:8
	;; [unrolled: 1-line block ×4, first 2 shown]
	v_pk_mul_f32 v[6:7], v[14:15], v[6:7]
	v_dual_mul_f32 v14, v12, v4 :: v_dual_mul_f32 v4, v13, v5
	v_pk_mul_f32 v[8:9], v[16:17], v[8:9]
	ds_bpermute_b32 v12, v2, v60 offset:20
	v_dual_mov_b32 v5, v6 :: v_dual_mov_b32 v6, v7
	ds_bpermute_b32 v13, v2, v60 offset:24
	v_dual_mov_b32 v7, v8 :: v_dual_mul_f32 v15, v18, v10
	s_wait_dscnt 0x6
	v_dual_fmac_f32 v59, v14, v3 :: v_dual_mov_b32 v14, v9
	s_wait_dscnt 0x4
	v_pk_mul_f32 v[4:5], v[4:5], v[56:57]
	s_wait_dscnt 0x2
	v_pk_mul_f32 v[6:7], v[6:7], v[62:63]
	s_delay_alu instid0(VALU_DEP_2) | instskip(SKIP_2) | instid1(VALU_DEP_1)
	v_add_f32_e32 v3, v59, v4
	ds_bpermute_b32 v4, v2, v60 offset:28
	v_add_f32_e32 v3, v3, v5
	v_add_f32_e32 v3, v3, v6
	s_delay_alu instid0(VALU_DEP_1) | instskip(SKIP_2) | instid1(VALU_DEP_1)
	v_add_f32_e32 v3, v3, v7
	s_wait_dscnt 0x1
	v_pk_mul_f32 v[6:7], v[14:15], v[12:13]
	v_add_f32_e32 v3, v3, v6
	s_delay_alu instid0(VALU_DEP_1)
	v_add_f32_e32 v3, v3, v7
.LBB205_40:                             ;   in Loop: Header=BB205_3 Depth=1
	s_add_nc_u64 s[46:47], s[46:47], s[34:35]
	v_mul_f32_e32 v5, v11, v19
	v_cmp_lt_i64_e64 s18, s[46:47], s[4:5]
	v_add_nc_u64_e32 v[24:25], s[42:43], v[24:25]
	v_add_nc_u64_e32 v[26:27], s[42:43], v[26:27]
	;; [unrolled: 1-line block ×16, first 2 shown]
	s_wait_dscnt 0x0
	v_fmac_f32_e32 v3, v5, v4
	s_and_b32 vcc_lo, exec_lo, s18
	s_add_nc_u64 s[44:45], s[44:45], s[34:35]
	s_cbranch_vccz .LBB205_50
; %bb.41:                               ;   in Loop: Header=BB205_3 Depth=1
	s_delay_alu instid0(VALU_DEP_1)
	v_mov_b32_e32 v59, v3
	s_branch .LBB205_3
.LBB205_42:                             ;   in Loop: Header=BB205_3 Depth=1
	v_add_nc_u64_e32 v[4:5], v[24:25], v[22:23]
	v_add_nc_u64_e32 v[6:7], v[26:27], v[22:23]
	v_dual_mov_b32 v9, v2 :: v_dual_mov_b32 v10, v2
	v_dual_mov_b32 v11, v2 :: v_dual_mov_b32 v13, v2
	;; [unrolled: 1-line block ×3, first 2 shown]
	global_load_u16 v3, v[4:5], off
	global_load_u16 v12, v[6:7], off
	s_wait_xcnt 0x0
	v_dual_mov_b32 v5, v2 :: v_dual_mov_b32 v6, v2
	v_dual_mov_b32 v7, v2 :: v_dual_mov_b32 v8, v2
	;; [unrolled: 1-line block ×4, first 2 shown]
	s_wait_loadcnt 0x0
	v_dual_lshlrev_b32 v4, 16, v3 :: v_dual_lshlrev_b32 v12, 16, v12
	s_or_b32 exec_lo, exec_lo, s18
	s_and_saveexec_b32 s18, s2
	s_cbranch_execz .LBB205_32
.LBB205_43:                             ;   in Loop: Header=BB205_3 Depth=1
	v_add_nc_u64_e32 v[56:57], v[52:53], v[22:23]
	v_add_nc_u64_e32 v[62:63], v[54:55], v[22:23]
	global_load_u16 v3, v[56:57], off
	global_load_u16 v13, v[62:63], off
	s_wait_loadcnt 0x0
	v_dual_lshlrev_b32 v5, 16, v3 :: v_dual_lshlrev_b32 v13, 16, v13
	s_or_b32 exec_lo, exec_lo, s18
	s_and_saveexec_b32 s18, s2
	s_cbranch_execz .LBB205_33
.LBB205_44:                             ;   in Loop: Header=BB205_3 Depth=1
	v_add_nc_u64_e32 v[56:57], v[48:49], v[22:23]
	v_add_nc_u64_e32 v[62:63], v[50:51], v[22:23]
	global_load_u16 v3, v[56:57], off
	global_load_u16 v14, v[62:63], off
	s_wait_loadcnt 0x0
	v_dual_lshlrev_b32 v6, 16, v3 :: v_dual_lshlrev_b32 v14, 16, v14
	s_or_b32 exec_lo, exec_lo, s18
	s_and_saveexec_b32 s18, s2
	s_cbranch_execz .LBB205_34
.LBB205_45:                             ;   in Loop: Header=BB205_3 Depth=1
	v_add_nc_u64_e32 v[56:57], v[44:45], v[22:23]
	v_add_nc_u64_e32 v[62:63], v[46:47], v[22:23]
	global_load_u16 v3, v[56:57], off
	global_load_u16 v15, v[62:63], off
	s_wait_loadcnt 0x1
	v_lshlrev_b32_e32 v7, 16, v3
	s_wait_loadcnt 0x0
	v_lshlrev_b32_e32 v15, 16, v15
	s_or_b32 exec_lo, exec_lo, s18
	s_and_saveexec_b32 s18, s2
	s_cbranch_execz .LBB205_35
.LBB205_46:                             ;   in Loop: Header=BB205_3 Depth=1
	v_add_nc_u64_e32 v[56:57], v[40:41], v[22:23]
	v_add_nc_u64_e32 v[62:63], v[42:43], v[22:23]
	global_load_u16 v3, v[56:57], off
	global_load_u16 v16, v[62:63], off
	s_wait_loadcnt 0x0
	v_dual_lshlrev_b32 v8, 16, v3 :: v_dual_lshlrev_b32 v16, 16, v16
	s_or_b32 exec_lo, exec_lo, s18
	s_and_saveexec_b32 s18, s2
	s_cbranch_execz .LBB205_36
.LBB205_47:                             ;   in Loop: Header=BB205_3 Depth=1
	v_add_nc_u64_e32 v[56:57], v[36:37], v[22:23]
	v_add_nc_u64_e32 v[62:63], v[38:39], v[22:23]
	global_load_u16 v3, v[56:57], off
	global_load_u16 v17, v[62:63], off
	s_wait_loadcnt 0x0
	v_dual_lshlrev_b32 v9, 16, v3 :: v_dual_lshlrev_b32 v17, 16, v17
	s_or_b32 exec_lo, exec_lo, s18
	s_and_saveexec_b32 s18, s2
	s_cbranch_execz .LBB205_37
.LBB205_48:                             ;   in Loop: Header=BB205_3 Depth=1
	v_add_nc_u64_e32 v[56:57], v[32:33], v[22:23]
	v_add_nc_u64_e32 v[62:63], v[34:35], v[22:23]
	global_load_u16 v3, v[56:57], off
	global_load_u16 v18, v[62:63], off
	s_wait_loadcnt 0x0
	v_dual_lshlrev_b32 v10, 16, v3 :: v_dual_lshlrev_b32 v18, 16, v18
	s_or_b32 exec_lo, exec_lo, s18
	s_and_saveexec_b32 s18, s2
	s_cbranch_execnz .LBB205_38
	s_branch .LBB205_39
.LBB205_49:
                                        ; implicit-def: $vgpr3
	s_branch .LBB205_51
.LBB205_50:
	s_cbranch_execnz .LBB205_83
.LBB205_51:
	v_mov_b32_e32 v3, 0
	s_and_not1_b32 vcc_lo, exec_lo, s13
	s_cbranch_vccnz .LBB205_83
; %bb.52:
	v_bfe_u32 v1, v0, 10, 10
	v_mov_b32_e32 v2, 0
	v_and_b32_e32 v86, 0x3ff, v0
	s_load_b32 s2, s[0:1], 0x44
	s_mov_b64 s[20:21], 0xffffffffffffff83
	s_delay_alu instid0(VALU_DEP_2) | instskip(SKIP_3) | instid1(VALU_DEP_2)
	v_dual_mov_b32 v5, v2 :: v_dual_lshlrev_b32 v4, 4, v1
	v_dual_mov_b32 v21, v2 :: v_dual_lshlrev_b32 v20, 3, v1
	s_mov_b64 s[22:23], 0xffffffffffffff84
	s_mov_b64 s[24:25], 0xffffffffffffff85
	v_lshl_add_u64 v[4:5], s[16:17], 1, v[4:5]
	s_mov_b64 s[26:27], 0xffffffffffffff86
	s_mov_b64 s[28:29], 0xffffffffffffff87
	;; [unrolled: 1-line block ×3, first 2 shown]
	s_add_nc_u64 s[34:35], s[0:1], 64
	v_add_nc_u64_e32 v[6:7], 2, v[4:5]
	v_add_nc_u64_e32 v[10:11], 4, v[4:5]
	;; [unrolled: 1-line block ×7, first 2 shown]
	v_mad_nc_u64_u32 v[22:23], s6, v6, s[8:9]
	v_mul_lo_u32 v3, s6, v7
	v_mul_lo_u32 v44, s7, v6
	v_mad_nc_u64_u32 v[24:25], s6, v10, s[8:9]
	v_mul_lo_u32 v46, s6, v11
	v_mul_lo_u32 v47, s7, v10
	;; [unrolled: 3-line block ×3, first 2 shown]
	v_mad_nc_u64_u32 v[32:33], s6, v6, s[10:11]
	v_mad_nc_u64_u32 v[34:35], s6, v10, s[10:11]
	;; [unrolled: 1-line block ×4, first 2 shown]
	v_add3_u32 v23, v44, v23, v3
	v_mul_lo_u32 v53, s7, v18
	v_mad_nc_u64_u32 v[28:29], s6, v14, s[8:9]
	v_add3_u32 v25, v47, v25, v46
	v_mul_lo_u32 v50, s6, v15
	v_mul_lo_u32 v51, s7, v14
	v_add3_u32 v27, v49, v27, v48
	v_add3_u32 v33, v44, v33, v3
	v_mad_nc_u64_u32 v[44:45], s6, v18, s[10:11]
	v_add3_u32 v35, v47, v35, v46
	v_add3_u32 v37, v49, v37, v48
	v_mad_nc_u64_u32 v[46:47], s6, v4, s[8:9]
	v_mul_lo_u32 v18, s7, v4
	v_mad_nc_u64_u32 v[48:49], s6, v4, s[10:11]
	v_add_nc_u32_e32 v4, s3, v86
	v_add_nc_u64_e32 v[8:9], s[16:17], v[20:21]
	v_mad_nc_u64_u32 v[40:41], s6, v14, s[10:11]
	v_mul_lo_u32 v3, s6, v5
	v_dual_mov_b32 v5, v2 :: v_dual_mov_b32 v87, 0
	v_mad_nc_u64_u32 v[30:31], s6, v16, s[8:9]
	v_mul_lo_u32 v17, s6, v17
	v_add_nc_u64_e32 v[6:7], 7, v[8:9]
	v_add_nc_u64_e32 v[10:11], 6, v[8:9]
	;; [unrolled: 1-line block ×3, first 2 shown]
	v_mul_u64_e32 v[60:61], s[6:7], v[8:9]
	v_add_nc_u64_e32 v[42:43], 4, v[8:9]
	v_add_nc_u64_e32 v[14:15], 3, v[8:9]
	;; [unrolled: 1-line block ×3, first 2 shown]
	v_mul_u64_e32 v[6:7], s[6:7], v[6:7]
	v_mul_u64_e32 v[10:11], s[6:7], v[10:11]
	;; [unrolled: 1-line block ×3, first 2 shown]
	v_mul_lo_u32 v52, s7, v16
	v_mul_u64_e32 v[62:63], s[6:7], v[42:43]
	v_mul_u64_e32 v[14:15], s[6:7], v[14:15]
	;; [unrolled: 1-line block ×3, first 2 shown]
	v_mad_nc_u64_u32 v[42:43], s6, v16, s[10:11]
	v_add3_u32 v29, v51, v29, v50
	v_add3_u32 v41, v51, v41, v50
	v_lshlrev_b64_e32 v[50:51], 1, v[4:5]
	v_mul_lo_u32 v19, s6, v19
	s_mov_b32 s3, 0
	s_wait_kmcnt 0x0
	s_lshl_b32 s18, s2, 7
	v_add3_u32 v31, v52, v31, v17
	s_mov_b32 s19, s3
	v_add3_u32 v47, v18, v47, v3
	v_add3_u32 v49, v18, v49, v3
	;; [unrolled: 1-line block ×3, first 2 shown]
	s_mul_u64 s[36:37], s[6:7], s[18:19]
	s_add_nc_u64 s[38:39], s[16:17], 0x7f
	s_lshl_b64 s[36:37], s[36:37], 1
	v_add3_u32 v39, v53, v39, v19
	v_add3_u32 v45, v53, v45, v19
	v_lshlrev_b64_e32 v[16:17], 1, v[60:61]
	v_lshlrev_b64_e32 v[6:7], 1, v[6:7]
	;; [unrolled: 1-line block ×3, first 2 shown]
	s_delay_alu instid0(VALU_DEP_3)
	v_add_nc_u64_e32 v[52:53], s[8:9], v[16:17]
	v_lshlrev_b64_e32 v[10:11], 1, v[62:63]
	v_add_nc_u64_e32 v[54:55], s[10:11], v[16:17]
	v_lshlrev_b64_e32 v[8:9], 1, v[8:9]
	v_add_nc_u64_e32 v[56:57], s[8:9], v[6:7]
	v_add_nc_u64_e32 v[58:59], s[10:11], v[6:7]
	v_lshlrev_b64_e32 v[6:7], 1, v[12:13]
	v_add_nc_u64_e32 v[12:13], s[6:7], v[60:61]
	v_add_nc_u64_e32 v[60:61], s[8:9], v[4:5]
	;; [unrolled: 1-line block ×3, first 2 shown]
	v_lshlrev_b64_e32 v[4:5], 1, v[14:15]
	v_add_nc_u64_e32 v[68:69], s[8:9], v[10:11]
	v_add_nc_u64_e32 v[70:71], s[10:11], v[10:11]
	;; [unrolled: 1-line block ×4, first 2 shown]
	v_lshlrev_b64_e32 v[6:7], 1, v[12:13]
	v_add_nc_u64_e32 v[76:77], s[8:9], v[8:9]
	v_add_nc_u64_e32 v[72:73], s[8:9], v[4:5]
	;; [unrolled: 1-line block ×6, first 2 shown]
	s_mov_b64 s[8:9], 0xffffffffffffff81
	s_mov_b64 s[10:11], 0xffffffffffffff82
.LBB205_53:                             ; =>This Inner Loop Header: Depth=1
	v_cmp_ge_i64_e64 s2, s[38:39], s[4:5]
	v_add_nc_u64_e32 v[84:85], s[38:39], v[20:21]
                                        ; implicit-def: $vgpr3
	s_and_b32 vcc_lo, exec_lo, s2
	s_mov_b32 s2, -1
	s_cbranch_vccz .LBB205_75
; %bb.54:                               ;   in Loop: Header=BB205_53 Depth=1
	s_load_b32 s2, s[34:35], 0xc
	v_mov_b32_e32 v88, 0
	s_wait_kmcnt 0x0
	s_and_b32 s2, s2, 0xffff
	s_delay_alu instid0(SALU_CYCLE_1) | instskip(SKIP_1) | instid1(VALU_DEP_1)
	v_mad_u32_u24 v3, v1, s2, v86
	s_mov_b32 s2, exec_lo
	v_and_b32_e32 v4, 31, v3
	s_delay_alu instid0(VALU_DEP_1)
	v_cmpx_gt_u32_e32 8, v4
	s_cbranch_execz .LBB205_58
; %bb.55:                               ;   in Loop: Header=BB205_53 Depth=1
	v_dual_mov_b32 v5, v2 :: v_dual_mov_b32 v88, 0
	s_mov_b32 s13, exec_lo
	s_delay_alu instid0(VALU_DEP_1) | instskip(NEXT) | instid1(VALU_DEP_1)
	v_add_nc_u64_e32 v[4:5], v[84:85], v[4:5]
	v_add_nc_u64_e32 v[4:5], s[8:9], v[4:5]
	s_delay_alu instid0(VALU_DEP_1)
	v_cmpx_gt_i64_e64 s[4:5], v[4:5]
	s_cbranch_execz .LBB205_57
; %bb.56:                               ;   in Loop: Header=BB205_53 Depth=1
	v_lshl_add_u64 v[4:5], v[4:5], 2, s[14:15]
	global_load_b32 v88, v[4:5], off
.LBB205_57:                             ;   in Loop: Header=BB205_53 Depth=1
	s_wait_xcnt 0x0
	s_or_b32 exec_lo, exec_lo, s13
.LBB205_58:                             ;   in Loop: Header=BB205_53 Depth=1
	s_delay_alu instid0(SALU_CYCLE_1)
	s_or_b32 exec_lo, exec_lo, s2
	v_add_nc_u64_e32 v[10:11], s[8:9], v[84:85]
	v_dual_mov_b32 v7, v2 :: v_dual_mov_b32 v8, v2
	v_dual_mov_b32 v9, v2 :: v_dual_mov_b32 v3, v2
	;; [unrolled: 1-line block ×3, first 2 shown]
	v_mov_b32_e32 v6, v2
	s_delay_alu instid0(VALU_DEP_3)
	v_mov_b64_e32 v[18:19], v[8:9]
	v_cmp_gt_i64_e32 vcc_lo, s[4:5], v[10:11]
	v_mov_b64_e32 v[12:13], v[2:3]
	v_mov_b64_e32 v[14:15], v[4:5]
	;; [unrolled: 1-line block ×7, first 2 shown]
	s_and_saveexec_b32 s2, vcc_lo
	s_cbranch_execz .LBB205_60
; %bb.59:                               ;   in Loop: Header=BB205_53 Depth=1
	v_add_nc_u64_e32 v[4:5], v[52:53], v[50:51]
	v_add_nc_u64_e32 v[6:7], v[54:55], v[50:51]
	v_dual_mov_b32 v9, v2 :: v_dual_mov_b32 v10, v2
	v_dual_mov_b32 v11, v2 :: v_dual_mov_b32 v13, v2
	;; [unrolled: 1-line block ×3, first 2 shown]
	global_load_u16 v3, v[4:5], off
	global_load_u16 v12, v[6:7], off
	s_wait_xcnt 0x0
	v_dual_mov_b32 v5, v2 :: v_dual_mov_b32 v6, v2
	v_dual_mov_b32 v7, v2 :: v_dual_mov_b32 v8, v2
	;; [unrolled: 1-line block ×4, first 2 shown]
	s_wait_loadcnt 0x0
	v_dual_lshlrev_b32 v4, 16, v3 :: v_dual_lshlrev_b32 v12, 16, v12
.LBB205_60:                             ;   in Loop: Header=BB205_53 Depth=1
	s_or_b32 exec_lo, exec_lo, s2
	v_add_nc_u64_e32 v[90:91], s[10:11], v[84:85]
	s_mov_b32 s2, exec_lo
	s_delay_alu instid0(VALU_DEP_1)
	v_cmpx_gt_i64_e64 s[4:5], v[90:91]
	s_cbranch_execz .LBB205_62
; %bb.61:                               ;   in Loop: Header=BB205_53 Depth=1
	v_add_nc_u64_e32 v[90:91], v[80:81], v[50:51]
	v_add_nc_u64_e32 v[92:93], v[82:83], v[50:51]
	global_load_u16 v3, v[90:91], off
	global_load_u16 v13, v[92:93], off
	s_wait_loadcnt 0x0
	v_dual_lshlrev_b32 v5, 16, v3 :: v_dual_lshlrev_b32 v13, 16, v13
.LBB205_62:                             ;   in Loop: Header=BB205_53 Depth=1
	s_or_b32 exec_lo, exec_lo, s2
	v_add_nc_u64_e32 v[90:91], s[20:21], v[84:85]
	s_mov_b32 s2, exec_lo
	s_delay_alu instid0(VALU_DEP_1)
	v_cmpx_gt_i64_e64 s[4:5], v[90:91]
	s_cbranch_execz .LBB205_64
; %bb.63:                               ;   in Loop: Header=BB205_53 Depth=1
	v_add_nc_u64_e32 v[90:91], v[76:77], v[50:51]
	v_add_nc_u64_e32 v[92:93], v[78:79], v[50:51]
	global_load_u16 v3, v[90:91], off
	global_load_u16 v14, v[92:93], off
	s_wait_loadcnt 0x0
	v_dual_lshlrev_b32 v6, 16, v3 :: v_dual_lshlrev_b32 v14, 16, v14
.LBB205_64:                             ;   in Loop: Header=BB205_53 Depth=1
	s_or_b32 exec_lo, exec_lo, s2
	v_add_nc_u64_e32 v[90:91], s[22:23], v[84:85]
	s_mov_b32 s2, exec_lo
	s_delay_alu instid0(VALU_DEP_1)
	v_cmpx_gt_i64_e64 s[4:5], v[90:91]
	s_cbranch_execz .LBB205_66
; %bb.65:                               ;   in Loop: Header=BB205_53 Depth=1
	v_add_nc_u64_e32 v[90:91], v[72:73], v[50:51]
	v_add_nc_u64_e32 v[92:93], v[74:75], v[50:51]
	global_load_u16 v3, v[90:91], off
	global_load_u16 v15, v[92:93], off
	s_wait_loadcnt 0x1
	v_lshlrev_b32_e32 v7, 16, v3
	s_wait_loadcnt 0x0
	v_lshlrev_b32_e32 v15, 16, v15
.LBB205_66:                             ;   in Loop: Header=BB205_53 Depth=1
	s_or_b32 exec_lo, exec_lo, s2
	v_add_nc_u64_e32 v[90:91], s[24:25], v[84:85]
	s_mov_b32 s2, exec_lo
	s_delay_alu instid0(VALU_DEP_1)
	v_cmpx_gt_i64_e64 s[4:5], v[90:91]
	s_cbranch_execz .LBB205_68
; %bb.67:                               ;   in Loop: Header=BB205_53 Depth=1
	v_add_nc_u64_e32 v[90:91], v[68:69], v[50:51]
	v_add_nc_u64_e32 v[92:93], v[70:71], v[50:51]
	global_load_u16 v3, v[90:91], off
	global_load_u16 v16, v[92:93], off
	s_wait_loadcnt 0x0
	v_dual_lshlrev_b32 v8, 16, v3 :: v_dual_lshlrev_b32 v16, 16, v16
.LBB205_68:                             ;   in Loop: Header=BB205_53 Depth=1
	s_or_b32 exec_lo, exec_lo, s2
	v_add_nc_u64_e32 v[90:91], s[26:27], v[84:85]
	s_mov_b32 s2, exec_lo
	s_delay_alu instid0(VALU_DEP_1)
	v_cmpx_gt_i64_e64 s[4:5], v[90:91]
	s_cbranch_execz .LBB205_70
; %bb.69:                               ;   in Loop: Header=BB205_53 Depth=1
	v_add_nc_u64_e32 v[90:91], v[64:65], v[50:51]
	v_add_nc_u64_e32 v[92:93], v[66:67], v[50:51]
	global_load_u16 v3, v[90:91], off
	global_load_u16 v17, v[92:93], off
	s_wait_loadcnt 0x0
	v_dual_lshlrev_b32 v9, 16, v3 :: v_dual_lshlrev_b32 v17, 16, v17
.LBB205_70:                             ;   in Loop: Header=BB205_53 Depth=1
	s_or_b32 exec_lo, exec_lo, s2
	v_add_nc_u64_e32 v[90:91], s[28:29], v[84:85]
	s_mov_b32 s2, exec_lo
	s_delay_alu instid0(VALU_DEP_1)
	v_cmpx_gt_i64_e64 s[4:5], v[90:91]
	s_cbranch_execz .LBB205_72
; %bb.71:                               ;   in Loop: Header=BB205_53 Depth=1
	v_add_nc_u64_e32 v[90:91], v[60:61], v[50:51]
	v_add_nc_u64_e32 v[92:93], v[62:63], v[50:51]
	global_load_u16 v3, v[90:91], off
	global_load_u16 v18, v[92:93], off
	s_wait_loadcnt 0x0
	v_dual_lshlrev_b32 v10, 16, v3 :: v_dual_lshlrev_b32 v18, 16, v18
.LBB205_72:                             ;   in Loop: Header=BB205_53 Depth=1
	s_or_b32 exec_lo, exec_lo, s2
	v_add_nc_u64_e32 v[90:91], s[30:31], v[84:85]
	s_mov_b32 s2, exec_lo
	s_delay_alu instid0(VALU_DEP_1)
	v_cmpx_gt_i64_e64 s[4:5], v[90:91]
	s_cbranch_execz .LBB205_74
; %bb.73:                               ;   in Loop: Header=BB205_53 Depth=1
	v_add_nc_u64_e32 v[90:91], v[56:57], v[50:51]
	v_add_nc_u64_e32 v[92:93], v[58:59], v[50:51]
	global_load_u16 v3, v[90:91], off
	global_load_u16 v19, v[92:93], off
	s_wait_loadcnt 0x1
	v_lshlrev_b32_e32 v11, 16, v3
	s_wait_loadcnt 0x0
	v_lshlrev_b32_e32 v19, 16, v19
.LBB205_74:                             ;   in Loop: Header=BB205_53 Depth=1
	s_or_b32 exec_lo, exec_lo, s2
	s_wait_loadcnt 0x0
	ds_bpermute_b32 v90, v2, v88
	ds_bpermute_b32 v91, v2, v88 offset:4
	ds_bpermute_b32 v92, v2, v88 offset:8
	;; [unrolled: 1-line block ×3, first 2 shown]
	v_pk_mul_f32 v[4:5], v[12:13], v[4:5]
	ds_bpermute_b32 v12, v2, v88 offset:16
	ds_bpermute_b32 v13, v2, v88 offset:20
	v_pk_mul_f32 v[6:7], v[14:15], v[6:7]
	v_pk_mul_f32 v[8:9], v[16:17], v[8:9]
	s_mov_b32 s2, 0
	s_wait_dscnt 0x4
	v_pk_mul_f32 v[4:5], v[4:5], v[90:91]
	s_wait_dscnt 0x2
	v_pk_mul_f32 v[6:7], v[6:7], v[92:93]
	;; [unrolled: 2-line block ×3, first 2 shown]
	v_add_f32_e32 v3, v87, v4
	ds_bpermute_b32 v4, v2, v88 offset:24
	v_add_f32_e32 v3, v3, v5
	ds_bpermute_b32 v5, v2, v88 offset:28
	v_add_f32_e32 v3, v3, v6
	s_delay_alu instid0(VALU_DEP_1) | instskip(SKIP_1) | instid1(VALU_DEP_2)
	v_add_f32_e32 v3, v3, v7
	v_pk_mul_f32 v[6:7], v[18:19], v[10:11]
	v_add_f32_e32 v3, v3, v8
	s_delay_alu instid0(VALU_DEP_1) | instskip(SKIP_1) | instid1(VALU_DEP_3)
	v_add_f32_e32 v3, v3, v9
	s_wait_dscnt 0x0
	v_pk_mul_f32 v[4:5], v[6:7], v[4:5]
	s_delay_alu instid0(VALU_DEP_1) | instskip(NEXT) | instid1(VALU_DEP_1)
	v_add_f32_e32 v3, v3, v4
	v_add_f32_e32 v3, v3, v5
.LBB205_75:                             ;   in Loop: Header=BB205_53 Depth=1
	s_and_b32 vcc_lo, exec_lo, s2
	s_cbranch_vccz .LBB205_81
; %bb.76:                               ;   in Loop: Header=BB205_53 Depth=1
	s_load_b32 s2, s[34:35], 0x0
	s_wait_kmcnt 0x0
	s_cmp_lt_u32 s12, s2
	s_cselect_b32 s2, 12, 18
	s_delay_alu instid0(SALU_CYCLE_1) | instskip(SKIP_4) | instid1(VALU_DEP_1)
	s_add_nc_u64 s[40:41], s[34:35], s[2:3]
	s_load_u16 s2, s[40:41], 0x0
	s_wait_kmcnt 0x0
	v_mad_u32_u24 v3, v1, s2, v86
	s_mov_b32 s2, exec_lo
	v_dual_mov_b32 v3, 0 :: v_dual_bitop2_b32 v4, 31, v3 bitop3:0x40
	s_delay_alu instid0(VALU_DEP_1)
	v_cmpx_gt_u32_e32 8, v4
	s_cbranch_execz .LBB205_80
; %bb.77:                               ;   in Loop: Header=BB205_53 Depth=1
	v_dual_mov_b32 v5, v2 :: v_dual_mov_b32 v3, 0
	s_mov_b32 s13, exec_lo
	s_delay_alu instid0(VALU_DEP_1) | instskip(NEXT) | instid1(VALU_DEP_1)
	v_add_nc_u64_e32 v[4:5], v[84:85], v[4:5]
	v_add_nc_u64_e32 v[4:5], s[8:9], v[4:5]
	s_delay_alu instid0(VALU_DEP_1)
	v_cmpx_gt_i64_e64 s[4:5], v[4:5]
	s_cbranch_execz .LBB205_79
; %bb.78:                               ;   in Loop: Header=BB205_53 Depth=1
	v_lshl_add_u64 v[4:5], v[4:5], 2, s[14:15]
	global_load_b32 v3, v[4:5], off
.LBB205_79:                             ;   in Loop: Header=BB205_53 Depth=1
	s_wait_xcnt 0x0
	s_or_b32 exec_lo, exec_lo, s13
.LBB205_80:                             ;   in Loop: Header=BB205_53 Depth=1
	s_delay_alu instid0(SALU_CYCLE_1)
	s_or_b32 exec_lo, exec_lo, s2
	v_add_nc_u64_e32 v[4:5], v[22:23], v[50:51]
	v_add_nc_u64_e32 v[6:7], v[52:53], v[50:51]
	;; [unrolled: 1-line block ×6, first 2 shown]
	global_load_u16 v16, v[4:5], off
	global_load_u16 v17, v[6:7], off
	global_load_u16 v18, v[8:9], off
	global_load_u16 v19, v[10:11], off
	s_wait_xcnt 0x3
	v_add_nc_u64_e32 v[4:5], v[36:37], v[50:51]
	s_wait_xcnt 0x2
	v_add_nc_u64_e32 v[6:7], v[34:35], v[50:51]
	;; [unrolled: 2-line block ×3, first 2 shown]
	v_add_nc_u64_e32 v[8:9], v[28:29], v[50:51]
	global_load_u16 v84, v[14:15], off
	global_load_u16 v85, v[12:13], off
	;; [unrolled: 1-line block ×4, first 2 shown]
	s_wait_xcnt 0x1
	v_add_nc_u64_e32 v[4:5], v[42:43], v[50:51]
	s_wait_xcnt 0x0
	v_add_nc_u64_e32 v[6:7], v[40:41], v[50:51]
	s_wait_loadcnt 0x8
	ds_bpermute_b32 v12, v2, v3 offset:16
	global_load_u16 v90, v[10:11], off
	global_load_u16 v91, v[8:9], off
	;; [unrolled: 1-line block ×4, first 2 shown]
	s_wait_xcnt 0x1
	v_add_nc_u64_e32 v[4:5], v[46:47], v[50:51]
	s_wait_xcnt 0x0
	v_add_nc_u64_e32 v[6:7], v[38:39], v[50:51]
	v_add_nc_u64_e32 v[8:9], v[48:49], v[50:51]
	;; [unrolled: 1-line block ×3, first 2 shown]
	global_load_u16 v94, v[4:5], off
	global_load_u16 v95, v[6:7], off
	;; [unrolled: 1-line block ×4, first 2 shown]
	s_wait_xcnt 0x3
	ds_bpermute_b32 v4, v2, v3
	ds_bpermute_b32 v5, v2, v3 offset:4
	s_wait_xcnt 0x2
	ds_bpermute_b32 v6, v2, v3 offset:8
	ds_bpermute_b32 v7, v2, v3 offset:12
	;; [unrolled: 1-line block ×3, first 2 shown]
	s_wait_loadcnt 0xe
	s_wait_xcnt 0x1
	v_dual_lshlrev_b32 v9, 16, v16 :: v_dual_lshlrev_b32 v8, 16, v17
	s_wait_loadcnt 0xc
	s_wait_xcnt 0x0
	v_dual_lshlrev_b32 v11, 16, v18 :: v_dual_lshlrev_b32 v10, 16, v19
	s_wait_loadcnt 0x8
	v_dual_lshlrev_b32 v15, 16, v88 :: v_dual_lshlrev_b32 v14, 16, v89
	s_delay_alu instid0(VALU_DEP_2)
	v_pk_mul_f32 v[8:9], v[8:9], v[10:11]
	v_dual_lshlrev_b32 v11, 16, v84 :: v_dual_lshlrev_b32 v10, 16, v85
	s_wait_loadcnt 0x6
	v_lshlrev_b32_e32 v16, 16, v91
	s_wait_dscnt 0x3
	v_pk_mul_f32 v[4:5], v[8:9], v[4:5]
	v_lshlrev_b32_e32 v17, 16, v90
	v_pk_mul_f32 v[10:11], v[10:11], v[14:15]
	ds_bpermute_b32 v8, v2, v3 offset:24
	s_wait_loadcnt 0x5
	v_lshlrev_b32_e32 v15, 16, v92
	v_add_f32_e32 v4, v87, v4
	ds_bpermute_b32 v9, v2, v3 offset:28
	s_wait_dscnt 0x3
	v_pk_mul_f32 v[6:7], v[10:11], v[6:7]
	s_wait_loadcnt 0x3
	v_dual_add_f32 v10, v4, v5 :: v_dual_lshlrev_b32 v11, 16, v94
	s_delay_alu instid0(VALU_DEP_1) | instskip(NEXT) | instid1(VALU_DEP_1)
	v_dual_add_f32 v3, v10, v6 :: v_dual_lshlrev_b32 v14, 16, v93
	v_pk_mul_f32 v[4:5], v[16:17], v[14:15]
	s_wait_loadcnt 0x1
	v_dual_lshlrev_b32 v10, 16, v95 :: v_dual_lshlrev_b32 v15, 16, v96
	s_wait_loadcnt 0x0
	v_dual_add_f32 v3, v3, v7 :: v_dual_lshlrev_b32 v14, 16, v97
	s_wait_dscnt 0x2
	v_pk_mul_f32 v[4:5], v[4:5], v[12:13]
	s_delay_alu instid0(VALU_DEP_2) | instskip(NEXT) | instid1(VALU_DEP_2)
	v_pk_mul_f32 v[6:7], v[10:11], v[14:15]
	v_add_f32_e32 v3, v3, v4
	s_delay_alu instid0(VALU_DEP_1) | instskip(SKIP_1) | instid1(VALU_DEP_3)
	v_add_f32_e32 v3, v3, v5
	s_wait_dscnt 0x0
	v_pk_mul_f32 v[4:5], v[6:7], v[8:9]
	s_delay_alu instid0(VALU_DEP_1) | instskip(NEXT) | instid1(VALU_DEP_1)
	v_add_f32_e32 v3, v3, v4
	v_add_f32_e32 v3, v3, v5
.LBB205_81:                             ;   in Loop: Header=BB205_53 Depth=1
	s_add_nc_u64 s[16:17], s[16:17], s[18:19]
	v_add_nc_u64_e32 v[52:53], s[36:37], v[52:53]
	v_cmp_ge_i64_e64 s2, s[16:17], s[4:5]
	v_add_nc_u64_e32 v[54:55], s[36:37], v[54:55]
	v_add_nc_u64_e32 v[22:23], s[36:37], v[22:23]
	v_add_nc_u64_e32 v[24:25], s[36:37], v[24:25]
	v_add_nc_u64_e32 v[26:27], s[36:37], v[26:27]
	v_add_nc_u64_e32 v[28:29], s[36:37], v[28:29]
	v_add_nc_u64_e32 v[30:31], s[36:37], v[30:31]
	v_add_nc_u64_e32 v[38:39], s[36:37], v[38:39]
	v_add_nc_u64_e32 v[46:47], s[36:37], v[46:47]
	v_add_nc_u64_e32 v[32:33], s[36:37], v[32:33]
	v_add_nc_u64_e32 v[34:35], s[36:37], v[34:35]
	v_add_nc_u64_e32 v[36:37], s[36:37], v[36:37]
	v_add_nc_u64_e32 v[40:41], s[36:37], v[40:41]
	v_add_nc_u64_e32 v[42:43], s[36:37], v[42:43]
	v_add_nc_u64_e32 v[44:45], s[36:37], v[44:45]
	v_add_nc_u64_e32 v[48:49], s[36:37], v[48:49]
	v_add_nc_u64_e32 v[56:57], s[36:37], v[56:57]
	v_add_nc_u64_e32 v[58:59], s[36:37], v[58:59]
	v_add_nc_u64_e32 v[60:61], s[36:37], v[60:61]
	v_add_nc_u64_e32 v[62:63], s[36:37], v[62:63]
	v_add_nc_u64_e32 v[64:65], s[36:37], v[64:65]
	v_add_nc_u64_e32 v[66:67], s[36:37], v[66:67]
	v_add_nc_u64_e32 v[68:69], s[36:37], v[68:69]
	v_add_nc_u64_e32 v[70:71], s[36:37], v[70:71]
	v_add_nc_u64_e32 v[72:73], s[36:37], v[72:73]
	v_add_nc_u64_e32 v[74:75], s[36:37], v[74:75]
	v_add_nc_u64_e32 v[76:77], s[36:37], v[76:77]
	v_add_nc_u64_e32 v[78:79], s[36:37], v[78:79]
	v_add_nc_u64_e32 v[80:81], s[36:37], v[80:81]
	v_add_nc_u64_e32 v[82:83], s[36:37], v[82:83]
	s_and_b32 vcc_lo, exec_lo, s2
	s_add_nc_u64 s[38:39], s[38:39], s[18:19]
	s_cbranch_vccnz .LBB205_83
; %bb.82:                               ;   in Loop: Header=BB205_53 Depth=1
	v_mov_b32_e32 v87, v3
	s_branch .LBB205_53
.LBB205_83:
	v_and_b32_e32 v4, 0x3ff, v0
	v_bfe_u32 v1, v0, 10, 10
	v_bfe_u32 v0, v0, 5, 5
	s_mov_b32 s2, exec_lo
	s_delay_alu instid0(VALU_DEP_2) | instskip(NEXT) | instid1(VALU_DEP_2)
	v_mad_u32_u24 v2, v1, 33, v4
	v_add_nc_u32_e32 v0, v0, v1
	s_delay_alu instid0(VALU_DEP_2)
	v_lshl_add_u32 v1, v2, 2, 0
	v_mov_b32_e32 v2, 0
	ds_store_b32 v1, v3
	ds_store_b32 v1, v2 offset:2112
	s_wait_dscnt 0x0
	s_barrier_signal -1
	s_barrier_wait -1
	v_cmpx_gt_u32_e32 32, v0
	s_cbranch_execz .LBB205_93
; %bb.84:
	s_load_b64 s[2:3], s[0:1], 0x30
	v_and_b32_e32 v1, 31, v4
                                        ; implicit-def: $vgpr2
	s_delay_alu instid0(VALU_DEP_1)
	v_cmp_gt_u32_e32 vcc_lo, 16, v1
	v_mul_u32_u24_e32 v1, 33, v1
	s_wait_xcnt 0x0
	s_and_saveexec_b32 s0, vcc_lo
; %bb.85:
	s_delay_alu instid0(VALU_DEP_1) | instskip(NEXT) | instid1(VALU_DEP_1)
	v_dual_lshlrev_b32 v2, 2, v0 :: v_dual_lshlrev_b32 v3, 2, v1
	v_add3_u32 v2, 0, v2, v3
	ds_load_b32 v2, v2
; %bb.86:
	s_or_b32 exec_lo, exec_lo, s0
	v_mbcnt_lo_u32_b32 v3, -1, 0
	s_mov_b32 s13, 0
	s_delay_alu instid0(SALU_CYCLE_1)
	s_lshl_b64 s[4:5], s[12:13], 5
	s_wait_kmcnt 0x0
	s_cmp_eq_u64 s[2:3], 0
	v_xor_b32_e32 v6, 4, v3
	v_xor_b32_e32 v5, 8, v3
	;; [unrolled: 1-line block ×3, first 2 shown]
	s_cselect_b32 s8, -1, 0
	s_delay_alu instid0(VALU_DEP_2) | instskip(NEXT) | instid1(VALU_DEP_1)
	v_cmp_gt_i32_e64 s0, 32, v5
	v_cndmask_b32_e64 v5, v3, v5, s0
	v_cmp_gt_i32_e64 s0, 32, v6
	s_delay_alu instid0(VALU_DEP_1) | instskip(NEXT) | instid1(VALU_DEP_1)
	v_cndmask_b32_e64 v6, v3, v6, s0
	v_dual_lshlrev_b32 v6, 2, v6 :: v_dual_lshlrev_b32 v5, 2, v5
	s_wait_dscnt 0x0
	ds_bpermute_b32 v7, v5, v2
	s_wait_dscnt 0x0
	v_add_f32_e32 v2, v2, v7
	v_xor_b32_e32 v7, 2, v3
	ds_bpermute_b32 v8, v6, v2
	v_cmp_gt_i32_e64 s0, 32, v7
	s_wait_dscnt 0x0
	s_delay_alu instid0(VALU_DEP_1) | instskip(SKIP_1) | instid1(VALU_DEP_1)
	v_dual_add_f32 v2, v2, v8 :: v_dual_cndmask_b32 v7, v3, v7, s0
	v_cmp_gt_i32_e64 s0, 32, v9
	v_dual_lshlrev_b32 v7, 2, v7 :: v_dual_cndmask_b32 v3, v3, v9, s0
	v_cmp_ne_u32_e64 s0, 0, v4
	ds_bpermute_b32 v8, v7, v2
	s_wait_dscnt 0x0
	v_dual_add_f32 v9, v2, v8 :: v_dual_lshlrev_b32 v8, 2, v3
	v_or_b32_e32 v2, s4, v0
	ds_bpermute_b32 v10, v8, v9
	s_wait_dscnt 0x0
	v_dual_mov_b32 v3, s5 :: v_dual_add_f32 v4, v9, v10
	s_delay_alu instid0(VALU_DEP_1) | instskip(SKIP_1) | instid1(SALU_CYCLE_1)
	v_cmp_le_i64_e64 s1, s[6:7], v[2:3]
	s_or_b32 s1, s0, s1
	s_nor_b32 s1, s8, s1
	s_delay_alu instid0(SALU_CYCLE_1)
	s_and_saveexec_b32 s9, s1
	s_cbranch_execz .LBB205_88
; %bb.87:
	v_bfe_u32 v9, v4, 16, 1
	v_cmp_o_f32_e64 s1, v4, v4
	v_lshl_add_u64 v[2:3], v[2:3], 1, s[2:3]
	s_delay_alu instid0(VALU_DEP_3) | instskip(NEXT) | instid1(VALU_DEP_1)
	v_add3_u32 v9, v4, v9, 0x7fff
	v_lshrrev_b32_e32 v9, 16, v9
	s_delay_alu instid0(VALU_DEP_1)
	v_cndmask_b32_e64 v9, 0x7fc0, v9, s1
	global_store_b16 v[2:3], v9, off
.LBB205_88:
	s_wait_xcnt 0x0
	s_or_b32 exec_lo, exec_lo, s9
	v_cmp_gt_u32_e64 s1, 16, v0
	s_and_b32 exec_lo, exec_lo, s1
	s_cbranch_execz .LBB205_93
; %bb.89:
	s_and_saveexec_b32 s1, vcc_lo
; %bb.90:
	v_dual_lshlrev_b32 v2, 2, v0 :: v_dual_lshlrev_b32 v1, 2, v1
	s_delay_alu instid0(VALU_DEP_1)
	v_add3_u32 v1, 0, v2, v1
	ds_load_b32 v4, v1 offset:64
; %bb.91:
	s_or_b32 exec_lo, exec_lo, s1
	s_wait_dscnt 0x0
	ds_bpermute_b32 v1, v5, v4
	v_dual_add_nc_u32 v3, 16, v0 :: v_dual_mov_b32 v5, s5
	s_wait_dscnt 0x0
	s_delay_alu instid0(VALU_DEP_1) | instskip(SKIP_3) | instid1(SALU_CYCLE_1)
	v_dual_add_f32 v1, v4, v1 :: v_dual_bitop2_b32 v4, s4, v3 bitop3:0x54
	ds_bpermute_b32 v2, v6, v1
	v_cmp_le_i64_e32 vcc_lo, s[6:7], v[4:5]
	s_or_b32 s0, s0, vcc_lo
	s_nor_b32 s0, s8, s0
	s_wait_dscnt 0x0
	v_add_f32_e32 v1, v1, v2
	ds_bpermute_b32 v2, v7, v1
	s_wait_dscnt 0x0
	v_add_f32_e32 v1, v1, v2
	ds_bpermute_b32 v2, v8, v1
	s_and_saveexec_b32 s1, s0
	s_delay_alu instid0(SALU_CYCLE_1)
	s_xor_b32 s1, exec_lo, s1
	s_cbranch_execz .LBB205_93
; %bb.92:
	s_wait_dscnt 0x0
	v_dual_add_f32 v2, v1, v2 :: v_dual_mov_b32 v1, 0
	s_delay_alu instid0(VALU_DEP_1) | instskip(NEXT) | instid1(VALU_DEP_2)
	v_bfe_u32 v3, v2, 16, 1
	v_add_nc_u64_e32 v[0:1], s[4:5], v[0:1]
	v_cmp_o_f32_e32 vcc_lo, v2, v2
	s_delay_alu instid0(VALU_DEP_3) | instskip(NEXT) | instid1(VALU_DEP_3)
	v_add3_u32 v3, v2, v3, 0x7fff
	v_lshl_add_u64 v[0:1], v[0:1], 1, s[2:3]
	s_delay_alu instid0(VALU_DEP_2) | instskip(NEXT) | instid1(VALU_DEP_1)
	v_lshrrev_b32_e32 v3, 16, v3
	v_cndmask_b32_e32 v2, 0x7fc0, v3, vcc_lo
	global_store_b16 v[0:1], v2, off offset:32
.LBB205_93:
	s_sendmsg sendmsg(MSG_DEALLOC_VGPRS)
	s_endpgm
	.section	.rodata,"a",@progbits
	.p2align	6, 0x0
	.amdhsa_kernel _ZN2at6native12_GLOBAL__N_135GammaBetaBackwardCUDAKernelTemplateIN3c108BFloat16EfLj32ELj16ELj128ELb0ELb0ELb1EEEvllPKT_S7_PKT0_SA_PS5_SB_
		.amdhsa_group_segment_fixed_size 0
		.amdhsa_private_segment_fixed_size 0
		.amdhsa_kernarg_size 320
		.amdhsa_user_sgpr_count 2
		.amdhsa_user_sgpr_dispatch_ptr 0
		.amdhsa_user_sgpr_queue_ptr 0
		.amdhsa_user_sgpr_kernarg_segment_ptr 1
		.amdhsa_user_sgpr_dispatch_id 0
		.amdhsa_user_sgpr_kernarg_preload_length 0
		.amdhsa_user_sgpr_kernarg_preload_offset 0
		.amdhsa_user_sgpr_private_segment_size 0
		.amdhsa_wavefront_size32 1
		.amdhsa_uses_dynamic_stack 0
		.amdhsa_enable_private_segment 0
		.amdhsa_system_sgpr_workgroup_id_x 1
		.amdhsa_system_sgpr_workgroup_id_y 1
		.amdhsa_system_sgpr_workgroup_id_z 0
		.amdhsa_system_sgpr_workgroup_info 0
		.amdhsa_system_vgpr_workitem_id 1
		.amdhsa_next_free_vgpr 98
		.amdhsa_next_free_sgpr 50
		.amdhsa_named_barrier_count 0
		.amdhsa_reserve_vcc 1
		.amdhsa_float_round_mode_32 0
		.amdhsa_float_round_mode_16_64 0
		.amdhsa_float_denorm_mode_32 3
		.amdhsa_float_denorm_mode_16_64 3
		.amdhsa_fp16_overflow 0
		.amdhsa_memory_ordered 1
		.amdhsa_forward_progress 1
		.amdhsa_inst_pref_size 49
		.amdhsa_round_robin_scheduling 0
		.amdhsa_exception_fp_ieee_invalid_op 0
		.amdhsa_exception_fp_denorm_src 0
		.amdhsa_exception_fp_ieee_div_zero 0
		.amdhsa_exception_fp_ieee_overflow 0
		.amdhsa_exception_fp_ieee_underflow 0
		.amdhsa_exception_fp_ieee_inexact 0
		.amdhsa_exception_int_div_zero 0
	.end_amdhsa_kernel
	.section	.text._ZN2at6native12_GLOBAL__N_135GammaBetaBackwardCUDAKernelTemplateIN3c108BFloat16EfLj32ELj16ELj128ELb0ELb0ELb1EEEvllPKT_S7_PKT0_SA_PS5_SB_,"axG",@progbits,_ZN2at6native12_GLOBAL__N_135GammaBetaBackwardCUDAKernelTemplateIN3c108BFloat16EfLj32ELj16ELj128ELb0ELb0ELb1EEEvllPKT_S7_PKT0_SA_PS5_SB_,comdat
.Lfunc_end205:
	.size	_ZN2at6native12_GLOBAL__N_135GammaBetaBackwardCUDAKernelTemplateIN3c108BFloat16EfLj32ELj16ELj128ELb0ELb0ELb1EEEvllPKT_S7_PKT0_SA_PS5_SB_, .Lfunc_end205-_ZN2at6native12_GLOBAL__N_135GammaBetaBackwardCUDAKernelTemplateIN3c108BFloat16EfLj32ELj16ELj128ELb0ELb0ELb1EEEvllPKT_S7_PKT0_SA_PS5_SB_
                                        ; -- End function
	.set _ZN2at6native12_GLOBAL__N_135GammaBetaBackwardCUDAKernelTemplateIN3c108BFloat16EfLj32ELj16ELj128ELb0ELb0ELb1EEEvllPKT_S7_PKT0_SA_PS5_SB_.num_vgpr, 98
	.set _ZN2at6native12_GLOBAL__N_135GammaBetaBackwardCUDAKernelTemplateIN3c108BFloat16EfLj32ELj16ELj128ELb0ELb0ELb1EEEvllPKT_S7_PKT0_SA_PS5_SB_.num_agpr, 0
	.set _ZN2at6native12_GLOBAL__N_135GammaBetaBackwardCUDAKernelTemplateIN3c108BFloat16EfLj32ELj16ELj128ELb0ELb0ELb1EEEvllPKT_S7_PKT0_SA_PS5_SB_.numbered_sgpr, 50
	.set _ZN2at6native12_GLOBAL__N_135GammaBetaBackwardCUDAKernelTemplateIN3c108BFloat16EfLj32ELj16ELj128ELb0ELb0ELb1EEEvllPKT_S7_PKT0_SA_PS5_SB_.num_named_barrier, 0
	.set _ZN2at6native12_GLOBAL__N_135GammaBetaBackwardCUDAKernelTemplateIN3c108BFloat16EfLj32ELj16ELj128ELb0ELb0ELb1EEEvllPKT_S7_PKT0_SA_PS5_SB_.private_seg_size, 0
	.set _ZN2at6native12_GLOBAL__N_135GammaBetaBackwardCUDAKernelTemplateIN3c108BFloat16EfLj32ELj16ELj128ELb0ELb0ELb1EEEvllPKT_S7_PKT0_SA_PS5_SB_.uses_vcc, 1
	.set _ZN2at6native12_GLOBAL__N_135GammaBetaBackwardCUDAKernelTemplateIN3c108BFloat16EfLj32ELj16ELj128ELb0ELb0ELb1EEEvllPKT_S7_PKT0_SA_PS5_SB_.uses_flat_scratch, 0
	.set _ZN2at6native12_GLOBAL__N_135GammaBetaBackwardCUDAKernelTemplateIN3c108BFloat16EfLj32ELj16ELj128ELb0ELb0ELb1EEEvllPKT_S7_PKT0_SA_PS5_SB_.has_dyn_sized_stack, 0
	.set _ZN2at6native12_GLOBAL__N_135GammaBetaBackwardCUDAKernelTemplateIN3c108BFloat16EfLj32ELj16ELj128ELb0ELb0ELb1EEEvllPKT_S7_PKT0_SA_PS5_SB_.has_recursion, 0
	.set _ZN2at6native12_GLOBAL__N_135GammaBetaBackwardCUDAKernelTemplateIN3c108BFloat16EfLj32ELj16ELj128ELb0ELb0ELb1EEEvllPKT_S7_PKT0_SA_PS5_SB_.has_indirect_call, 0
	.section	.AMDGPU.csdata,"",@progbits
; Kernel info:
; codeLenInByte = 6272
; TotalNumSgprs: 52
; NumVgprs: 98
; ScratchSize: 0
; MemoryBound: 0
; FloatMode: 240
; IeeeMode: 1
; LDSByteSize: 0 bytes/workgroup (compile time only)
; SGPRBlocks: 0
; VGPRBlocks: 6
; NumSGPRsForWavesPerEU: 52
; NumVGPRsForWavesPerEU: 98
; NamedBarCnt: 0
; Occupancy: 9
; WaveLimiterHint : 0
; COMPUTE_PGM_RSRC2:SCRATCH_EN: 0
; COMPUTE_PGM_RSRC2:USER_SGPR: 2
; COMPUTE_PGM_RSRC2:TRAP_HANDLER: 0
; COMPUTE_PGM_RSRC2:TGID_X_EN: 1
; COMPUTE_PGM_RSRC2:TGID_Y_EN: 1
; COMPUTE_PGM_RSRC2:TGID_Z_EN: 0
; COMPUTE_PGM_RSRC2:TIDIG_COMP_CNT: 1
	.section	.text._ZN2at6native12_GLOBAL__N_135GammaBetaBackwardCUDAKernelTemplateIN3c108BFloat16EfLj32ELj32ELj256ELb0ELb1ELb1EEEvllPKT_S7_PKT0_SA_PS5_SB_,"axG",@progbits,_ZN2at6native12_GLOBAL__N_135GammaBetaBackwardCUDAKernelTemplateIN3c108BFloat16EfLj32ELj32ELj256ELb0ELb1ELb1EEEvllPKT_S7_PKT0_SA_PS5_SB_,comdat
	.globl	_ZN2at6native12_GLOBAL__N_135GammaBetaBackwardCUDAKernelTemplateIN3c108BFloat16EfLj32ELj32ELj256ELb0ELb1ELb1EEEvllPKT_S7_PKT0_SA_PS5_SB_ ; -- Begin function _ZN2at6native12_GLOBAL__N_135GammaBetaBackwardCUDAKernelTemplateIN3c108BFloat16EfLj32ELj32ELj256ELb0ELb1ELb1EEEvllPKT_S7_PKT0_SA_PS5_SB_
	.p2align	8
	.type	_ZN2at6native12_GLOBAL__N_135GammaBetaBackwardCUDAKernelTemplateIN3c108BFloat16EfLj32ELj32ELj256ELb0ELb1ELb1EEEvllPKT_S7_PKT0_SA_PS5_SB_,@function
_ZN2at6native12_GLOBAL__N_135GammaBetaBackwardCUDAKernelTemplateIN3c108BFloat16EfLj32ELj32ELj256ELb0ELb1ELb1EEEvllPKT_S7_PKT0_SA_PS5_SB_: ; @_ZN2at6native12_GLOBAL__N_135GammaBetaBackwardCUDAKernelTemplateIN3c108BFloat16EfLj32ELj32ELj256ELb0ELb1ELb1EEEvllPKT_S7_PKT0_SA_PS5_SB_
; %bb.0:
	s_load_b128 s[4:7], s[0:1], 0x0
	s_bfe_u32 s2, ttmp6, 0x40010
	s_bfe_u32 s8, ttmp6, 0x40004
	s_add_co_i32 s2, s2, 1
	s_getreg_b32 s3, hwreg(HW_REG_IB_STS2, 6, 4)
	s_mul_i32 s2, ttmp7, s2
	s_mov_b32 s13, 0
	s_add_co_i32 s8, s8, s2
	s_cmp_eq_u32 s3, 0
	v_bfe_u32 v9, v0, 10, 10
	s_cselect_b32 s2, ttmp7, s8
	s_delay_alu instid0(SALU_CYCLE_1)
	s_lshl_b32 s12, s2, 8
	s_wait_kmcnt 0x0
	v_cmp_gt_i64_e64 s2, s[4:5], s[12:13]
	s_and_b32 vcc_lo, exec_lo, s2
	s_cbranch_vccnz .LBB206_2
; %bb.1:
	v_bfe_u32 v1, v0, 10, 10
	s_mov_b32 s2, s13
	v_and_b32_e32 v8, 0x3ff, v0
	v_mov_b32_e32 v16, 0
	s_and_not1_b32 vcc_lo, exec_lo, s2
	s_cbranch_vccz .LBB206_3
	s_branch .LBB206_10
.LBB206_2:
                                        ; implicit-def: $vgpr1
	v_and_b32_e32 v8, 0x3ff, v0
	v_mov_b32_e32 v16, 0
.LBB206_3:
	v_dual_mov_b32 v1, 0 :: v_dual_lshlrev_b32 v0, 3, v9
	s_load_b32 s2, s[0:1], 0x4c
	s_bfe_u32 s19, ttmp6, 0x4000c
	s_clause 0x2
	s_load_b32 s14, s[0:1], 0x44
	s_load_b128 s[8:11], s[0:1], 0x10
	s_load_b64 s[16:17], s[0:1], 0x28
	s_add_co_i32 s19, s19, 1
	v_add_nc_u64_e32 v[2:3], s[12:13], v[0:1]
	s_and_b32 s18, ttmp6, 15
	s_mul_i32 s19, ttmp9, s19
	v_dual_mov_b32 v5, v1 :: v_dual_mov_b32 v15, v1
	s_add_co_i32 s18, s18, s19
	s_mov_b32 s15, 0
	s_delay_alu instid0(VALU_DEP_2)
	v_mul_u64_e32 v[6:7], s[6:7], v[2:3]
	v_dual_mov_b32 v0, 4 :: v_dual_mov_b32 v10, 8
	v_dual_mov_b32 v12, 16 :: v_dual_mov_b32 v13, 20
	v_mov_b32_e32 v11, 12
	s_wait_kmcnt 0x0
	s_and_b32 s2, s2, 0xffff
	s_cmp_eq_u32 s3, 0
	v_mad_u32_u24 v4, v9, s2, v8
	s_cselect_b32 s2, ttmp9, s18
	s_lshl_b32 s14, s14, 8
	v_lshl_add_u32 v14, s2, 5, v8
	s_mul_u64 s[18:19], s[6:7], s[14:15]
	v_and_b32_e32 v4, 31, v4
	s_lshl_b64 s[18:19], s[18:19], 1
	s_lshl_b64 s[6:7], s[6:7], 1
	v_lshlrev_b64_e32 v[16:17], 1, v[14:15]
	v_dual_mov_b32 v14, 24 :: v_dual_mov_b32 v15, 28
	v_add_nc_u64_e32 v[2:3], v[2:3], v[4:5]
	v_cmp_gt_u32_e64 s2, 8, v4
	s_delay_alu instid0(VALU_DEP_2)
	v_lshl_add_u64 v[4:5], v[2:3], 2, s[16:17]
	s_lshl_b64 s[16:17], s[14:15], 2
	v_lshl_add_u64 v[6:7], v[6:7], 1, v[16:17]
	v_mov_b32_e32 v16, 0
	s_branch .LBB206_6
.LBB206_4:                              ;   in Loop: Header=BB206_6 Depth=1
	s_wait_xcnt 0x0
	s_or_b32 exec_lo, exec_lo, s21
.LBB206_5:                              ;   in Loop: Header=BB206_6 Depth=1
	s_delay_alu instid0(SALU_CYCLE_1)
	s_or_b32 exec_lo, exec_lo, s20
	v_add_nc_u64_e32 v[18:19], s[8:9], v[6:7]
	v_add_nc_u64_e32 v[20:21], s[10:11], v[6:7]
	s_add_nc_u64 s[12:13], s[12:13], s[14:15]
	v_add_nc_u64_e32 v[4:5], s[16:17], v[4:5]
	v_cmp_lt_i64_e64 s20, s[12:13], s[4:5]
	v_add_nc_u64_e32 v[2:3], s[14:15], v[2:3]
	v_add_nc_u64_e32 v[6:7], s[18:19], v[6:7]
	;; [unrolled: 1-line block ×4, first 2 shown]
	global_load_u16 v30, v[18:19], off
	global_load_u16 v31, v[20:21], off
	;; [unrolled: 1-line block ×4, first 2 shown]
	s_and_b32 vcc_lo, exec_lo, s20
	v_add_nc_u64_e32 v[26:27], s[6:7], v[22:23]
	v_add_nc_u64_e32 v[28:29], s[6:7], v[24:25]
	global_load_u16 v34, v[26:27], off
	global_load_u16 v35, v[28:29], off
	s_wait_xcnt 0x5
	v_add_nc_u64_e32 v[18:19], s[6:7], v[26:27]
	s_wait_xcnt 0x4
	v_add_nc_u64_e32 v[20:21], s[6:7], v[28:29]
	global_load_u16 v27, v[18:19], off
	global_load_u16 v28, v[20:21], off
	v_add_nc_u64_e32 v[22:23], s[6:7], v[18:19]
	v_add_nc_u64_e32 v[24:25], s[6:7], v[20:21]
	global_load_u16 v29, v[22:23], off
	global_load_u16 v36, v[24:25], off
	s_wait_xcnt 0x3
	v_add_nc_u64_e32 v[18:19], s[6:7], v[22:23]
	s_wait_xcnt 0x2
	v_add_nc_u64_e32 v[20:21], s[6:7], v[24:25]
	global_load_u16 v37, v[18:19], off
	global_load_u16 v38, v[20:21], off
	s_wait_xcnt 0x3
	v_add_nc_u64_e32 v[22:23], s[6:7], v[18:19]
	s_wait_xcnt 0x2
	v_add_nc_u64_e32 v[24:25], s[6:7], v[20:21]
	s_wait_xcnt 0x1
	s_delay_alu instid0(VALU_DEP_2) | instskip(SKIP_1) | instid1(VALU_DEP_2)
	v_add_nc_u64_e32 v[18:19], s[6:7], v[22:23]
	s_wait_xcnt 0x0
	v_add_nc_u64_e32 v[20:21], s[6:7], v[24:25]
	global_load_u16 v39, v[22:23], off
	global_load_u16 v40, v[24:25], off
	;; [unrolled: 1-line block ×4, first 2 shown]
	s_wait_loadcnt 0x10
	s_wait_xcnt 0x1
	ds_bpermute_b32 v18, v1, v17
	ds_bpermute_b32 v19, v0, v17
	;; [unrolled: 1-line block ×4, first 2 shown]
	s_wait_loadcnt 0xe
	s_wait_xcnt 0x0
	v_dual_lshlrev_b32 v20, 16, v30 :: v_dual_lshlrev_b32 v22, 16, v31
	s_wait_loadcnt 0xc
	v_dual_lshlrev_b32 v21, 16, v32 :: v_dual_lshlrev_b32 v23, 16, v33
	s_delay_alu instid0(VALU_DEP_1) | instskip(SKIP_3) | instid1(VALU_DEP_2)
	v_pk_mul_f32 v[20:21], v[20:21], v[22:23]
	s_wait_loadcnt 0xa
	v_dual_lshlrev_b32 v22, 16, v34 :: v_dual_lshlrev_b32 v26, 16, v35
	s_wait_dscnt 0x2
	v_pk_mul_f32 v[18:19], v[20:21], v[18:19]
	ds_bpermute_b32 v20, v12, v17
	ds_bpermute_b32 v21, v13, v17
	s_wait_loadcnt 0x9
	v_dual_add_f32 v18, v16, v18 :: v_dual_lshlrev_b32 v23, 16, v27
	s_wait_loadcnt 0x8
	v_lshlrev_b32_e32 v27, 16, v28
	ds_bpermute_b32 v16, v14, v17
	ds_bpermute_b32 v17, v15, v17
	v_pk_mul_f32 v[22:23], v[22:23], v[26:27]
	s_wait_dscnt 0x4
	s_delay_alu instid0(VALU_DEP_1)
	v_pk_mul_f32 v[22:23], v[22:23], v[24:25]
	s_wait_loadcnt 0x6
	v_dual_lshlrev_b32 v24, 16, v36 :: v_dual_add_f32 v26, v18, v19
	v_lshlrev_b32_e32 v18, 16, v29
	s_wait_loadcnt 0x4
	v_dual_lshlrev_b32 v19, 16, v37 :: v_dual_lshlrev_b32 v25, 16, v38
	s_delay_alu instid0(VALU_DEP_3) | instskip(NEXT) | instid1(VALU_DEP_2)
	v_add_f32_e32 v22, v26, v22
	v_pk_mul_f32 v[18:19], v[18:19], v[24:25]
	s_wait_dscnt 0x2
	s_delay_alu instid0(VALU_DEP_1)
	v_pk_mul_f32 v[18:19], v[18:19], v[20:21]
	s_wait_loadcnt 0x2
	v_dual_lshlrev_b32 v24, 16, v40 :: v_dual_add_f32 v26, v22, v23
	s_wait_loadcnt 0x1
	v_dual_lshlrev_b32 v23, 16, v41 :: v_dual_lshlrev_b32 v22, 16, v39
	s_wait_loadcnt 0x0
	v_lshlrev_b32_e32 v25, 16, v42
	s_delay_alu instid0(VALU_DEP_1) | instskip(SKIP_1) | instid1(VALU_DEP_1)
	v_pk_mul_f32 v[20:21], v[22:23], v[24:25]
	s_wait_dscnt 0x0
	v_pk_mul_f32 v[16:17], v[20:21], v[16:17]
	v_add_f32_e32 v18, v26, v18
	s_delay_alu instid0(VALU_DEP_1) | instskip(NEXT) | instid1(VALU_DEP_1)
	v_add_f32_e32 v18, v18, v19
	v_add_f32_e32 v16, v18, v16
	s_delay_alu instid0(VALU_DEP_1)
	v_add_f32_e32 v16, v16, v17
	s_cbranch_vccz .LBB206_9
.LBB206_6:                              ; =>This Inner Loop Header: Depth=1
	v_mov_b32_e32 v17, 0
	s_and_saveexec_b32 s20, s2
	s_cbranch_execz .LBB206_5
; %bb.7:                                ;   in Loop: Header=BB206_6 Depth=1
	v_mov_b32_e32 v17, 0
	s_mov_b32 s21, exec_lo
	v_cmpx_gt_i64_e64 s[4:5], v[2:3]
	s_cbranch_execz .LBB206_4
; %bb.8:                                ;   in Loop: Header=BB206_6 Depth=1
	global_load_b32 v17, v[4:5], off
	s_branch .LBB206_4
.LBB206_9:
	v_mov_b32_e32 v1, v9
.LBB206_10:
	s_load_b64 s[0:1], s[0:1], 0x30
	s_delay_alu instid0(VALU_DEP_1) | instskip(SKIP_2) | instid1(VALU_DEP_2)
	v_mad_u32_u24 v0, v1, 33, v8
	v_dual_lshrrev_b32 v2, 5, v8 :: v_dual_mov_b32 v4, 0
	s_mov_b32 s2, exec_lo
	v_lshl_add_u32 v3, v0, 2, 0
	s_delay_alu instid0(VALU_DEP_2)
	v_add_nc_u32_e32 v0, v2, v1
	ds_store_b32 v3, v16
	ds_store_b32 v3, v4 offset:4224
	s_wait_dscnt 0x0
	s_barrier_signal -1
	s_barrier_wait -1
	v_cmpx_gt_u32_e32 32, v0
	s_cbranch_execz .LBB206_13
; %bb.11:
	v_and_b32_e32 v1, 31, v8
	v_lshlrev_b32_e32 v2, 2, v0
	s_wait_kmcnt 0x0
	s_cmp_lg_u64 s[0:1], 0
	s_cselect_b32 s2, -1, 0
	v_mul_u32_u24_e32 v1, 0x84, v1
	s_delay_alu instid0(VALU_DEP_1) | instskip(SKIP_4) | instid1(VALU_DEP_1)
	v_add3_u32 v1, 0, v2, v1
	v_mbcnt_lo_u32_b32 v2, -1, 0
	ds_load_b32 v1, v1
	v_xor_b32_e32 v4, 8, v2
	v_xor_b32_e32 v3, 16, v2
	v_cmp_gt_i32_e32 vcc_lo, 32, v3
	v_cndmask_b32_e32 v3, v2, v3, vcc_lo
	s_delay_alu instid0(VALU_DEP_1)
	v_lshlrev_b32_e32 v3, 2, v3
	s_wait_dscnt 0x0
	ds_bpermute_b32 v3, v3, v1
	s_wait_dscnt 0x0
	v_add_f32_e32 v1, v1, v3
	v_cmp_gt_i32_e32 vcc_lo, 32, v4
	v_cndmask_b32_e32 v4, v2, v4, vcc_lo
	s_delay_alu instid0(VALU_DEP_1) | instskip(SKIP_3) | instid1(VALU_DEP_1)
	v_lshlrev_b32_e32 v4, 2, v4
	ds_bpermute_b32 v3, v4, v1
	s_wait_dscnt 0x0
	v_dual_add_f32 v1, v1, v3 :: v_dual_bitop2_b32 v4, 4, v2 bitop3:0x14
	v_cmp_gt_i32_e32 vcc_lo, 32, v4
	v_cndmask_b32_e32 v4, v2, v4, vcc_lo
	s_delay_alu instid0(VALU_DEP_1) | instskip(SKIP_2) | instid1(VALU_DEP_1)
	v_lshlrev_b32_e32 v4, 2, v4
	ds_bpermute_b32 v3, v4, v1
	v_xor_b32_e32 v4, 2, v2
	v_cmp_gt_i32_e32 vcc_lo, 32, v4
	v_cndmask_b32_e32 v4, v2, v4, vcc_lo
	s_wait_dscnt 0x0
	s_delay_alu instid0(VALU_DEP_1) | instskip(SKIP_2) | instid1(VALU_DEP_1)
	v_dual_add_f32 v1, v1, v3 :: v_dual_lshlrev_b32 v4, 2, v4
	ds_bpermute_b32 v3, v4, v1
	v_xor_b32_e32 v4, 1, v2
	v_cmp_gt_i32_e32 vcc_lo, 32, v4
	v_cndmask_b32_e32 v2, v2, v4, vcc_lo
	v_cmp_eq_u32_e32 vcc_lo, 0, v8
	s_delay_alu instid0(VALU_DEP_2)
	v_lshlrev_b32_e32 v2, 2, v2
	s_and_b32 s2, vcc_lo, s2
	s_wait_dscnt 0x0
	v_add_f32_e32 v1, v1, v3
	ds_bpermute_b32 v2, v2, v1
	s_and_b32 exec_lo, exec_lo, s2
	s_cbranch_execz .LBB206_13
; %bb.12:
	s_wait_dscnt 0x0
	v_add_f32_e32 v1, v1, v2
	s_bfe_u32 s2, ttmp6, 0x4000c
	s_and_b32 s4, ttmp6, 15
	s_add_co_i32 s2, s2, 1
	s_delay_alu instid0(SALU_CYCLE_1)
	s_mul_i32 s2, ttmp9, s2
	v_bfe_u32 v2, v1, 16, 1
	s_add_co_i32 s4, s4, s2
	s_cmp_eq_u32 s3, 0
	s_mov_b32 s3, 0
	s_cselect_b32 s2, ttmp9, s4
	v_add3_u32 v2, v1, v2, 0x7fff
	s_lshl_b64 s[2:3], s[2:3], 6
	s_delay_alu instid0(SALU_CYCLE_1) | instskip(NEXT) | instid1(VALU_DEP_1)
	s_add_nc_u64 s[0:1], s[0:1], s[2:3]
	v_lshrrev_b32_e32 v2, 16, v2
	v_cmp_o_f32_e32 vcc_lo, v1, v1
	s_delay_alu instid0(VALU_DEP_2)
	v_cndmask_b32_e32 v1, 0x7fc0, v2, vcc_lo
	global_store_b16 v0, v1, s[0:1] scale_offset
.LBB206_13:
	s_endpgm
	.section	.rodata,"a",@progbits
	.p2align	6, 0x0
	.amdhsa_kernel _ZN2at6native12_GLOBAL__N_135GammaBetaBackwardCUDAKernelTemplateIN3c108BFloat16EfLj32ELj32ELj256ELb0ELb1ELb1EEEvllPKT_S7_PKT0_SA_PS5_SB_
		.amdhsa_group_segment_fixed_size 0
		.amdhsa_private_segment_fixed_size 0
		.amdhsa_kernarg_size 320
		.amdhsa_user_sgpr_count 2
		.amdhsa_user_sgpr_dispatch_ptr 0
		.amdhsa_user_sgpr_queue_ptr 0
		.amdhsa_user_sgpr_kernarg_segment_ptr 1
		.amdhsa_user_sgpr_dispatch_id 0
		.amdhsa_user_sgpr_kernarg_preload_length 0
		.amdhsa_user_sgpr_kernarg_preload_offset 0
		.amdhsa_user_sgpr_private_segment_size 0
		.amdhsa_wavefront_size32 1
		.amdhsa_uses_dynamic_stack 0
		.amdhsa_enable_private_segment 0
		.amdhsa_system_sgpr_workgroup_id_x 1
		.amdhsa_system_sgpr_workgroup_id_y 1
		.amdhsa_system_sgpr_workgroup_id_z 0
		.amdhsa_system_sgpr_workgroup_info 0
		.amdhsa_system_vgpr_workitem_id 1
		.amdhsa_next_free_vgpr 43
		.amdhsa_next_free_sgpr 22
		.amdhsa_named_barrier_count 0
		.amdhsa_reserve_vcc 1
		.amdhsa_float_round_mode_32 0
		.amdhsa_float_round_mode_16_64 0
		.amdhsa_float_denorm_mode_32 3
		.amdhsa_float_denorm_mode_16_64 3
		.amdhsa_fp16_overflow 0
		.amdhsa_memory_ordered 1
		.amdhsa_forward_progress 1
		.amdhsa_inst_pref_size 13
		.amdhsa_round_robin_scheduling 0
		.amdhsa_exception_fp_ieee_invalid_op 0
		.amdhsa_exception_fp_denorm_src 0
		.amdhsa_exception_fp_ieee_div_zero 0
		.amdhsa_exception_fp_ieee_overflow 0
		.amdhsa_exception_fp_ieee_underflow 0
		.amdhsa_exception_fp_ieee_inexact 0
		.amdhsa_exception_int_div_zero 0
	.end_amdhsa_kernel
	.section	.text._ZN2at6native12_GLOBAL__N_135GammaBetaBackwardCUDAKernelTemplateIN3c108BFloat16EfLj32ELj32ELj256ELb0ELb1ELb1EEEvllPKT_S7_PKT0_SA_PS5_SB_,"axG",@progbits,_ZN2at6native12_GLOBAL__N_135GammaBetaBackwardCUDAKernelTemplateIN3c108BFloat16EfLj32ELj32ELj256ELb0ELb1ELb1EEEvllPKT_S7_PKT0_SA_PS5_SB_,comdat
.Lfunc_end206:
	.size	_ZN2at6native12_GLOBAL__N_135GammaBetaBackwardCUDAKernelTemplateIN3c108BFloat16EfLj32ELj32ELj256ELb0ELb1ELb1EEEvllPKT_S7_PKT0_SA_PS5_SB_, .Lfunc_end206-_ZN2at6native12_GLOBAL__N_135GammaBetaBackwardCUDAKernelTemplateIN3c108BFloat16EfLj32ELj32ELj256ELb0ELb1ELb1EEEvllPKT_S7_PKT0_SA_PS5_SB_
                                        ; -- End function
	.set _ZN2at6native12_GLOBAL__N_135GammaBetaBackwardCUDAKernelTemplateIN3c108BFloat16EfLj32ELj32ELj256ELb0ELb1ELb1EEEvllPKT_S7_PKT0_SA_PS5_SB_.num_vgpr, 43
	.set _ZN2at6native12_GLOBAL__N_135GammaBetaBackwardCUDAKernelTemplateIN3c108BFloat16EfLj32ELj32ELj256ELb0ELb1ELb1EEEvllPKT_S7_PKT0_SA_PS5_SB_.num_agpr, 0
	.set _ZN2at6native12_GLOBAL__N_135GammaBetaBackwardCUDAKernelTemplateIN3c108BFloat16EfLj32ELj32ELj256ELb0ELb1ELb1EEEvllPKT_S7_PKT0_SA_PS5_SB_.numbered_sgpr, 22
	.set _ZN2at6native12_GLOBAL__N_135GammaBetaBackwardCUDAKernelTemplateIN3c108BFloat16EfLj32ELj32ELj256ELb0ELb1ELb1EEEvllPKT_S7_PKT0_SA_PS5_SB_.num_named_barrier, 0
	.set _ZN2at6native12_GLOBAL__N_135GammaBetaBackwardCUDAKernelTemplateIN3c108BFloat16EfLj32ELj32ELj256ELb0ELb1ELb1EEEvllPKT_S7_PKT0_SA_PS5_SB_.private_seg_size, 0
	.set _ZN2at6native12_GLOBAL__N_135GammaBetaBackwardCUDAKernelTemplateIN3c108BFloat16EfLj32ELj32ELj256ELb0ELb1ELb1EEEvllPKT_S7_PKT0_SA_PS5_SB_.uses_vcc, 1
	.set _ZN2at6native12_GLOBAL__N_135GammaBetaBackwardCUDAKernelTemplateIN3c108BFloat16EfLj32ELj32ELj256ELb0ELb1ELb1EEEvllPKT_S7_PKT0_SA_PS5_SB_.uses_flat_scratch, 0
	.set _ZN2at6native12_GLOBAL__N_135GammaBetaBackwardCUDAKernelTemplateIN3c108BFloat16EfLj32ELj32ELj256ELb0ELb1ELb1EEEvllPKT_S7_PKT0_SA_PS5_SB_.has_dyn_sized_stack, 0
	.set _ZN2at6native12_GLOBAL__N_135GammaBetaBackwardCUDAKernelTemplateIN3c108BFloat16EfLj32ELj32ELj256ELb0ELb1ELb1EEEvllPKT_S7_PKT0_SA_PS5_SB_.has_recursion, 0
	.set _ZN2at6native12_GLOBAL__N_135GammaBetaBackwardCUDAKernelTemplateIN3c108BFloat16EfLj32ELj32ELj256ELb0ELb1ELb1EEEvllPKT_S7_PKT0_SA_PS5_SB_.has_indirect_call, 0
	.section	.AMDGPU.csdata,"",@progbits
; Kernel info:
; codeLenInByte = 1564
; TotalNumSgprs: 24
; NumVgprs: 43
; ScratchSize: 0
; MemoryBound: 0
; FloatMode: 240
; IeeeMode: 1
; LDSByteSize: 0 bytes/workgroup (compile time only)
; SGPRBlocks: 0
; VGPRBlocks: 2
; NumSGPRsForWavesPerEU: 24
; NumVGPRsForWavesPerEU: 43
; NamedBarCnt: 0
; Occupancy: 16
; WaveLimiterHint : 0
; COMPUTE_PGM_RSRC2:SCRATCH_EN: 0
; COMPUTE_PGM_RSRC2:USER_SGPR: 2
; COMPUTE_PGM_RSRC2:TRAP_HANDLER: 0
; COMPUTE_PGM_RSRC2:TGID_X_EN: 1
; COMPUTE_PGM_RSRC2:TGID_Y_EN: 1
; COMPUTE_PGM_RSRC2:TGID_Z_EN: 0
; COMPUTE_PGM_RSRC2:TIDIG_COMP_CNT: 1
	.section	.text._ZN2at6native12_GLOBAL__N_135GammaBetaBackwardCUDAKernelTemplateIN3c108BFloat16EfLj32ELj32ELj256ELb0ELb0ELb1EEEvllPKT_S7_PKT0_SA_PS5_SB_,"axG",@progbits,_ZN2at6native12_GLOBAL__N_135GammaBetaBackwardCUDAKernelTemplateIN3c108BFloat16EfLj32ELj32ELj256ELb0ELb0ELb1EEEvllPKT_S7_PKT0_SA_PS5_SB_,comdat
	.globl	_ZN2at6native12_GLOBAL__N_135GammaBetaBackwardCUDAKernelTemplateIN3c108BFloat16EfLj32ELj32ELj256ELb0ELb0ELb1EEEvllPKT_S7_PKT0_SA_PS5_SB_ ; -- Begin function _ZN2at6native12_GLOBAL__N_135GammaBetaBackwardCUDAKernelTemplateIN3c108BFloat16EfLj32ELj32ELj256ELb0ELb0ELb1EEEvllPKT_S7_PKT0_SA_PS5_SB_
	.p2align	8
	.type	_ZN2at6native12_GLOBAL__N_135GammaBetaBackwardCUDAKernelTemplateIN3c108BFloat16EfLj32ELj32ELj256ELb0ELb0ELb1EEEvllPKT_S7_PKT0_SA_PS5_SB_,@function
_ZN2at6native12_GLOBAL__N_135GammaBetaBackwardCUDAKernelTemplateIN3c108BFloat16EfLj32ELj32ELj256ELb0ELb0ELb1EEEvllPKT_S7_PKT0_SA_PS5_SB_: ; @_ZN2at6native12_GLOBAL__N_135GammaBetaBackwardCUDAKernelTemplateIN3c108BFloat16EfLj32ELj32ELj256ELb0ELb0ELb1EEEvllPKT_S7_PKT0_SA_PS5_SB_
; %bb.0:
	s_load_b256 s[4:11], s[0:1], 0x0
	s_bfe_u32 s3, ttmp6, 0x4000c
	s_bfe_u32 s12, ttmp6, 0x40010
	s_add_co_i32 s3, s3, 1
	s_add_co_i32 s12, s12, 1
	s_and_b32 s2, ttmp6, 15
	s_bfe_u32 s13, ttmp6, 0x40004
	s_mul_i32 s3, ttmp9, s3
	s_mul_i32 s12, ttmp7, s12
	s_getreg_b32 s14, hwreg(HW_REG_IB_STS2, 6, 4)
	s_add_co_i32 s2, s2, s3
	s_add_co_i32 s13, s13, s12
	s_cmp_eq_u32 s14, 0
	s_mov_b32 s17, 0
	s_cselect_b32 s12, ttmp9, s2
	s_cselect_b32 s2, ttmp7, s13
	s_lshl_b32 s3, s12, 5
	s_load_b64 s[14:15], s[0:1], 0x28
	s_or_b32 s16, s3, 31
	s_wait_kmcnt 0x0
	v_cmp_le_i64_e64 s18, s[6:7], s[16:17]
	s_lshl_b32 s16, s2, 8
	s_delay_alu instid0(SALU_CYCLE_1) | instskip(SKIP_2) | instid1(VALU_DEP_1)
	v_cmp_gt_i64_e64 s13, s[4:5], s[16:17]
	s_and_b32 vcc_lo, exec_lo, s18
	v_cndmask_b32_e64 v1, 0, 1, s13
	v_cmp_ne_u32_e64 s2, 1, v1
	s_cbranch_vccz .LBB207_49
; %bb.1:
	v_mov_b32_e32 v3, 0
	s_and_b32 vcc_lo, exec_lo, s2
	s_cbranch_vccnz .LBB207_50
; %bb.2:
	v_bfe_u32 v1, v0, 10, 10
	v_mov_b32_e32 v2, 0
	v_and_b32_e32 v58, 0x3ff, v0
	s_load_b32 s18, s[0:1], 0x44
	s_mov_b32 s19, 0
	s_delay_alu instid0(VALU_DEP_2) | instskip(NEXT) | instid1(VALU_DEP_2)
	v_dual_mov_b32 v21, v2 :: v_dual_lshlrev_b32 v20, 3, v1
	v_dual_mov_b32 v19, v2 :: v_dual_add_nc_u32 v18, s3, v58
	v_mov_b32_e32 v59, 0
	s_mov_b32 s35, s19
	s_delay_alu instid0(VALU_DEP_3)
	v_add_nc_u64_e32 v[4:5], s[16:17], v[20:21]
	s_add_nc_u64 s[20:21], s[0:1], 64
	v_cmp_gt_i64_e64 s2, s[6:7], v[18:19]
	v_lshlrev_b64_e32 v[22:23], 1, v[18:19]
	s_mov_b64 s[22:23], 0xffffffffffffff01
	s_mov_b64 s[24:25], 0xffffffffffffff02
	;; [unrolled: 1-line block ×3, first 2 shown]
	v_mul_u64_e32 v[6:7], s[6:7], v[4:5]
	v_add_nc_u64_e32 v[8:9], 7, v[4:5]
	v_add_nc_u64_e32 v[10:11], 6, v[4:5]
	;; [unrolled: 1-line block ×6, first 2 shown]
	s_wait_kmcnt 0x0
	s_lshl_b32 s34, s18, 8
	v_mul_u64_e32 v[8:9], s[6:7], v[8:9]
	v_mul_u64_e32 v[10:11], s[6:7], v[10:11]
	;; [unrolled: 1-line block ×6, first 2 shown]
	s_mul_u64 s[42:43], s[6:7], s[34:35]
	s_mov_b64 s[28:29], 0xffffffffffffff04
	s_mov_b64 s[30:31], 0xffffffffffffff05
	;; [unrolled: 1-line block ×5, first 2 shown]
	s_lshl_b64 s[42:43], s[42:43], 1
	s_add_nc_u64 s[44:45], s[16:17], 0xff
	s_mov_b64 s[46:47], s[16:17]
	v_lshlrev_b64_e32 v[26:27], 1, v[6:7]
	v_add_nc_u64_e32 v[6:7], s[6:7], v[6:7]
	s_delay_alu instid0(VALU_DEP_2)
	v_add_nc_u64_e32 v[24:25], s[8:9], v[26:27]
	v_lshlrev_b64_e32 v[8:9], 1, v[8:9]
	v_lshlrev_b64_e32 v[10:11], 1, v[10:11]
	;; [unrolled: 1-line block ×7, first 2 shown]
	v_add_nc_u64_e32 v[26:27], s[10:11], v[26:27]
	v_add_nc_u64_e32 v[28:29], s[8:9], v[8:9]
	;; [unrolled: 1-line block ×15, first 2 shown]
.LBB207_3:                              ; =>This Inner Loop Header: Depth=1
	v_cmp_ge_i64_e64 s18, s[44:45], s[4:5]
	v_add_nc_u64_e32 v[56:57], s[44:45], v[20:21]
                                        ; implicit-def: $vgpr4_vgpr5_vgpr6_vgpr7_vgpr8_vgpr9_vgpr10_vgpr11
                                        ; implicit-def: $vgpr3
                                        ; implicit-def: $vgpr12_vgpr13_vgpr14_vgpr15_vgpr16_vgpr17_vgpr18_vgpr19
                                        ; implicit-def: $vgpr4
	s_and_b32 vcc_lo, exec_lo, s18
	s_mov_b32 s18, -1
	s_cbranch_vccz .LBB207_25
; %bb.4:                                ;   in Loop: Header=BB207_3 Depth=1
	s_load_b32 s18, s[20:21], 0xc
	v_mov_b32_e32 v60, 0
	s_wait_kmcnt 0x0
	s_and_b32 s18, s18, 0xffff
	s_delay_alu instid0(SALU_CYCLE_1) | instskip(SKIP_1) | instid1(VALU_DEP_1)
	v_mad_u32_u24 v3, v1, s18, v58
	s_mov_b32 s18, exec_lo
	v_and_b32_e32 v4, 31, v3
	s_delay_alu instid0(VALU_DEP_1)
	v_cmpx_gt_u32_e32 8, v4
	s_cbranch_execz .LBB207_8
; %bb.5:                                ;   in Loop: Header=BB207_3 Depth=1
	v_dual_mov_b32 v5, v2 :: v_dual_mov_b32 v60, 0
	s_mov_b32 s33, exec_lo
	s_delay_alu instid0(VALU_DEP_1) | instskip(NEXT) | instid1(VALU_DEP_1)
	v_add_nc_u64_e32 v[4:5], v[56:57], v[4:5]
	v_add_nc_u64_e32 v[4:5], s[22:23], v[4:5]
	s_delay_alu instid0(VALU_DEP_1)
	v_cmpx_gt_i64_e64 s[4:5], v[4:5]
	s_cbranch_execz .LBB207_7
; %bb.6:                                ;   in Loop: Header=BB207_3 Depth=1
	v_lshl_add_u64 v[4:5], v[4:5], 2, s[14:15]
	global_load_b32 v60, v[4:5], off
.LBB207_7:                              ;   in Loop: Header=BB207_3 Depth=1
	s_wait_xcnt 0x0
	s_or_b32 exec_lo, exec_lo, s33
.LBB207_8:                              ;   in Loop: Header=BB207_3 Depth=1
	s_delay_alu instid0(SALU_CYCLE_1)
	s_or_b32 exec_lo, exec_lo, s18
	v_add_nc_u64_e32 v[10:11], s[22:23], v[56:57]
	v_dual_mov_b32 v7, v2 :: v_dual_mov_b32 v8, v2
	v_dual_mov_b32 v9, v2 :: v_dual_mov_b32 v3, v2
	;; [unrolled: 1-line block ×3, first 2 shown]
	v_mov_b32_e32 v6, v2
	v_cmp_gt_i64_e32 vcc_lo, s[4:5], v[10:11]
	s_delay_alu instid0(VALU_DEP_4)
	v_mov_b64_e32 v[18:19], v[8:9]
	v_mov_b64_e32 v[12:13], v[2:3]
	;; [unrolled: 1-line block ×8, first 2 shown]
	s_and_b32 s33, s2, vcc_lo
	s_delay_alu instid0(SALU_CYCLE_1)
	s_and_saveexec_b32 s18, s33
	s_cbranch_execz .LBB207_10
; %bb.9:                                ;   in Loop: Header=BB207_3 Depth=1
	v_add_nc_u64_e32 v[4:5], v[24:25], v[22:23]
	v_add_nc_u64_e32 v[6:7], v[26:27], v[22:23]
	v_dual_mov_b32 v9, v2 :: v_dual_mov_b32 v10, v2
	v_dual_mov_b32 v11, v2 :: v_dual_mov_b32 v13, v2
	;; [unrolled: 1-line block ×3, first 2 shown]
	global_load_u16 v3, v[4:5], off
	global_load_u16 v12, v[6:7], off
	s_wait_xcnt 0x0
	v_dual_mov_b32 v5, v2 :: v_dual_mov_b32 v6, v2
	v_dual_mov_b32 v7, v2 :: v_dual_mov_b32 v8, v2
	;; [unrolled: 1-line block ×4, first 2 shown]
	s_wait_loadcnt 0x0
	v_dual_lshlrev_b32 v4, 16, v3 :: v_dual_lshlrev_b32 v12, 16, v12
.LBB207_10:                             ;   in Loop: Header=BB207_3 Depth=1
	s_or_b32 exec_lo, exec_lo, s18
	v_add_nc_u64_e32 v[62:63], s[24:25], v[56:57]
	s_delay_alu instid0(VALU_DEP_1) | instskip(SKIP_1) | instid1(SALU_CYCLE_1)
	v_cmp_gt_i64_e32 vcc_lo, s[4:5], v[62:63]
	s_and_b32 s33, s2, vcc_lo
	s_and_saveexec_b32 s18, s33
	s_cbranch_execz .LBB207_12
; %bb.11:                               ;   in Loop: Header=BB207_3 Depth=1
	v_add_nc_u64_e32 v[62:63], v[52:53], v[22:23]
	v_add_nc_u64_e32 v[64:65], v[54:55], v[22:23]
	global_load_u16 v3, v[62:63], off
	global_load_u16 v13, v[64:65], off
	s_wait_loadcnt 0x0
	v_dual_lshlrev_b32 v5, 16, v3 :: v_dual_lshlrev_b32 v13, 16, v13
.LBB207_12:                             ;   in Loop: Header=BB207_3 Depth=1
	s_or_b32 exec_lo, exec_lo, s18
	v_add_nc_u64_e32 v[62:63], s[26:27], v[56:57]
	s_delay_alu instid0(VALU_DEP_1) | instskip(SKIP_1) | instid1(SALU_CYCLE_1)
	v_cmp_gt_i64_e32 vcc_lo, s[4:5], v[62:63]
	s_and_b32 s33, s2, vcc_lo
	s_and_saveexec_b32 s18, s33
	s_cbranch_execz .LBB207_14
; %bb.13:                               ;   in Loop: Header=BB207_3 Depth=1
	v_add_nc_u64_e32 v[62:63], v[48:49], v[22:23]
	v_add_nc_u64_e32 v[64:65], v[50:51], v[22:23]
	global_load_u16 v3, v[62:63], off
	global_load_u16 v14, v[64:65], off
	s_wait_loadcnt 0x0
	v_dual_lshlrev_b32 v6, 16, v3 :: v_dual_lshlrev_b32 v14, 16, v14
.LBB207_14:                             ;   in Loop: Header=BB207_3 Depth=1
	s_or_b32 exec_lo, exec_lo, s18
	v_add_nc_u64_e32 v[62:63], s[28:29], v[56:57]
	s_delay_alu instid0(VALU_DEP_1) | instskip(SKIP_1) | instid1(SALU_CYCLE_1)
	v_cmp_gt_i64_e32 vcc_lo, s[4:5], v[62:63]
	s_and_b32 s33, s2, vcc_lo
	s_and_saveexec_b32 s18, s33
	s_cbranch_execz .LBB207_16
; %bb.15:                               ;   in Loop: Header=BB207_3 Depth=1
	v_add_nc_u64_e32 v[62:63], v[44:45], v[22:23]
	v_add_nc_u64_e32 v[64:65], v[46:47], v[22:23]
	global_load_u16 v3, v[62:63], off
	global_load_u16 v15, v[64:65], off
	s_wait_loadcnt 0x1
	v_lshlrev_b32_e32 v7, 16, v3
	s_wait_loadcnt 0x0
	v_lshlrev_b32_e32 v15, 16, v15
.LBB207_16:                             ;   in Loop: Header=BB207_3 Depth=1
	s_or_b32 exec_lo, exec_lo, s18
	v_add_nc_u64_e32 v[62:63], s[30:31], v[56:57]
	s_delay_alu instid0(VALU_DEP_1) | instskip(SKIP_1) | instid1(SALU_CYCLE_1)
	v_cmp_gt_i64_e32 vcc_lo, s[4:5], v[62:63]
	s_and_b32 s33, s2, vcc_lo
	s_and_saveexec_b32 s18, s33
	s_cbranch_execz .LBB207_18
; %bb.17:                               ;   in Loop: Header=BB207_3 Depth=1
	v_add_nc_u64_e32 v[62:63], v[40:41], v[22:23]
	v_add_nc_u64_e32 v[64:65], v[42:43], v[22:23]
	global_load_u16 v3, v[62:63], off
	global_load_u16 v16, v[64:65], off
	s_wait_loadcnt 0x0
	v_dual_lshlrev_b32 v8, 16, v3 :: v_dual_lshlrev_b32 v16, 16, v16
.LBB207_18:                             ;   in Loop: Header=BB207_3 Depth=1
	s_or_b32 exec_lo, exec_lo, s18
	v_add_nc_u64_e32 v[62:63], s[36:37], v[56:57]
	s_delay_alu instid0(VALU_DEP_1) | instskip(SKIP_1) | instid1(SALU_CYCLE_1)
	v_cmp_gt_i64_e32 vcc_lo, s[4:5], v[62:63]
	s_and_b32 s33, s2, vcc_lo
	s_and_saveexec_b32 s18, s33
	s_cbranch_execz .LBB207_20
; %bb.19:                               ;   in Loop: Header=BB207_3 Depth=1
	v_add_nc_u64_e32 v[62:63], v[36:37], v[22:23]
	v_add_nc_u64_e32 v[64:65], v[38:39], v[22:23]
	global_load_u16 v3, v[62:63], off
	global_load_u16 v17, v[64:65], off
	s_wait_loadcnt 0x0
	v_dual_lshlrev_b32 v9, 16, v3 :: v_dual_lshlrev_b32 v17, 16, v17
.LBB207_20:                             ;   in Loop: Header=BB207_3 Depth=1
	;; [unrolled: 15-line block ×3, first 2 shown]
	s_or_b32 exec_lo, exec_lo, s18
	v_add_nc_u64_e32 v[62:63], s[40:41], v[56:57]
	s_delay_alu instid0(VALU_DEP_1) | instskip(SKIP_1) | instid1(SALU_CYCLE_1)
	v_cmp_gt_i64_e32 vcc_lo, s[4:5], v[62:63]
	s_and_b32 s33, s2, vcc_lo
	s_and_saveexec_b32 s18, s33
	s_cbranch_execz .LBB207_24
; %bb.23:                               ;   in Loop: Header=BB207_3 Depth=1
	v_add_nc_u64_e32 v[62:63], v[28:29], v[22:23]
	v_add_nc_u64_e32 v[64:65], v[30:31], v[22:23]
	global_load_u16 v3, v[62:63], off
	global_load_u16 v19, v[64:65], off
	s_wait_loadcnt 0x1
	v_lshlrev_b32_e32 v11, 16, v3
	s_wait_loadcnt 0x0
	v_lshlrev_b32_e32 v19, 16, v19
.LBB207_24:                             ;   in Loop: Header=BB207_3 Depth=1
	s_or_b32 exec_lo, exec_lo, s18
	s_wait_loadcnt 0x0
	ds_bpermute_b32 v3, v2, v60
	ds_bpermute_b32 v62, v2, v60 offset:4
	ds_bpermute_b32 v63, v2, v60 offset:8
	;; [unrolled: 1-line block ×4, first 2 shown]
	v_pk_mul_f32 v[6:7], v[14:15], v[6:7]
	v_dual_mul_f32 v14, v12, v4 :: v_dual_mul_f32 v4, v13, v5
	v_pk_mul_f32 v[8:9], v[16:17], v[8:9]
	ds_bpermute_b32 v12, v2, v60 offset:20
	v_dual_mov_b32 v5, v6 :: v_dual_mov_b32 v6, v7
	ds_bpermute_b32 v13, v2, v60 offset:24
	s_mov_b32 s18, 0
	v_dual_mov_b32 v7, v8 :: v_dual_mul_f32 v15, v18, v10
	s_wait_dscnt 0x6
	v_dual_fma_f32 v3, v14, v3, v59 :: v_dual_mov_b32 v14, v9
	s_wait_dscnt 0x4
	v_pk_mul_f32 v[4:5], v[4:5], v[62:63]
	s_wait_dscnt 0x2
	v_pk_mul_f32 v[6:7], v[6:7], v[64:65]
	s_delay_alu instid0(VALU_DEP_2) | instskip(SKIP_2) | instid1(VALU_DEP_1)
	v_add_f32_e32 v3, v3, v4
	ds_bpermute_b32 v4, v2, v60 offset:28
	v_add_f32_e32 v3, v3, v5
	v_add_f32_e32 v3, v3, v6
	s_delay_alu instid0(VALU_DEP_1) | instskip(SKIP_2) | instid1(VALU_DEP_1)
	v_add_f32_e32 v3, v3, v7
	s_wait_dscnt 0x1
	v_pk_mul_f32 v[6:7], v[14:15], v[12:13]
	v_add_f32_e32 v3, v3, v6
	s_delay_alu instid0(VALU_DEP_1)
	v_add_f32_e32 v3, v3, v7
.LBB207_25:                             ;   in Loop: Header=BB207_3 Depth=1
	s_and_b32 vcc_lo, exec_lo, s18
	s_cbranch_vccz .LBB207_40
; %bb.26:                               ;   in Loop: Header=BB207_3 Depth=1
	s_load_b32 s18, s[20:21], 0x0
	v_mov_b32_e32 v60, 0
	s_wait_kmcnt 0x0
	s_cmp_lt_u32 s12, s18
	s_cselect_b32 s18, 12, 18
	s_delay_alu instid0(SALU_CYCLE_1)
	s_add_nc_u64 s[48:49], s[20:21], s[18:19]
	s_load_u16 s18, s[48:49], 0x0
	s_wait_kmcnt 0x0
	v_mad_u32_u24 v3, v1, s18, v58
	s_mov_b32 s18, exec_lo
	s_wait_dscnt 0x0
	s_delay_alu instid0(VALU_DEP_1) | instskip(NEXT) | instid1(VALU_DEP_1)
	v_and_b32_e32 v4, 31, v3
	v_cmpx_gt_u32_e32 8, v4
	s_cbranch_execz .LBB207_30
; %bb.27:                               ;   in Loop: Header=BB207_3 Depth=1
	v_dual_mov_b32 v5, v2 :: v_dual_mov_b32 v60, 0
	s_mov_b32 s33, exec_lo
	s_delay_alu instid0(VALU_DEP_1) | instskip(NEXT) | instid1(VALU_DEP_1)
	v_add_nc_u64_e32 v[4:5], v[56:57], v[4:5]
	v_add_nc_u64_e32 v[4:5], s[22:23], v[4:5]
	s_delay_alu instid0(VALU_DEP_1)
	v_cmpx_gt_i64_e64 s[4:5], v[4:5]
	s_cbranch_execz .LBB207_29
; %bb.28:                               ;   in Loop: Header=BB207_3 Depth=1
	v_lshl_add_u64 v[4:5], v[4:5], 2, s[14:15]
	global_load_b32 v60, v[4:5], off
.LBB207_29:                             ;   in Loop: Header=BB207_3 Depth=1
	s_wait_xcnt 0x0
	s_or_b32 exec_lo, exec_lo, s33
.LBB207_30:                             ;   in Loop: Header=BB207_3 Depth=1
	s_delay_alu instid0(SALU_CYCLE_1) | instskip(SKIP_4) | instid1(VALU_DEP_3)
	s_or_b32 exec_lo, exec_lo, s18
	v_dual_mov_b32 v7, v2 :: v_dual_mov_b32 v8, v2
	v_dual_mov_b32 v9, v2 :: v_dual_mov_b32 v3, v2
	;; [unrolled: 1-line block ×3, first 2 shown]
	v_mov_b32_e32 v6, v2
	v_mov_b64_e32 v[18:19], v[8:9]
	s_delay_alu instid0(VALU_DEP_4) | instskip(NEXT) | instid1(VALU_DEP_4)
	v_mov_b64_e32 v[12:13], v[2:3]
	v_mov_b64_e32 v[14:15], v[4:5]
	s_delay_alu instid0(VALU_DEP_4)
	v_mov_b64_e32 v[16:17], v[6:7]
	v_mov_b64_e32 v[10:11], v[8:9]
	;; [unrolled: 1-line block ×5, first 2 shown]
	s_and_saveexec_b32 s18, s2
	s_cbranch_execnz .LBB207_42
; %bb.31:                               ;   in Loop: Header=BB207_3 Depth=1
	s_or_b32 exec_lo, exec_lo, s18
	s_and_saveexec_b32 s18, s2
	s_cbranch_execnz .LBB207_43
.LBB207_32:                             ;   in Loop: Header=BB207_3 Depth=1
	s_or_b32 exec_lo, exec_lo, s18
	s_and_saveexec_b32 s18, s2
	s_cbranch_execnz .LBB207_44
.LBB207_33:                             ;   in Loop: Header=BB207_3 Depth=1
	s_or_b32 exec_lo, exec_lo, s18
	s_and_saveexec_b32 s18, s2
	s_cbranch_execnz .LBB207_45
.LBB207_34:                             ;   in Loop: Header=BB207_3 Depth=1
	s_or_b32 exec_lo, exec_lo, s18
	s_and_saveexec_b32 s18, s2
	s_cbranch_execnz .LBB207_46
.LBB207_35:                             ;   in Loop: Header=BB207_3 Depth=1
	s_or_b32 exec_lo, exec_lo, s18
	s_and_saveexec_b32 s18, s2
	s_cbranch_execnz .LBB207_47
.LBB207_36:                             ;   in Loop: Header=BB207_3 Depth=1
	s_or_b32 exec_lo, exec_lo, s18
	s_and_saveexec_b32 s18, s2
	s_cbranch_execnz .LBB207_48
.LBB207_37:                             ;   in Loop: Header=BB207_3 Depth=1
	s_or_b32 exec_lo, exec_lo, s18
	s_and_saveexec_b32 s18, s2
	s_cbranch_execz .LBB207_39
.LBB207_38:                             ;   in Loop: Header=BB207_3 Depth=1
	v_add_nc_u64_e32 v[56:57], v[28:29], v[22:23]
	v_add_nc_u64_e32 v[62:63], v[30:31], v[22:23]
	global_load_u16 v3, v[56:57], off
	global_load_u16 v19, v[62:63], off
	s_wait_loadcnt 0x1
	v_lshlrev_b32_e32 v11, 16, v3
	s_wait_loadcnt 0x0
	v_lshlrev_b32_e32 v19, 16, v19
.LBB207_39:                             ;   in Loop: Header=BB207_3 Depth=1
	s_or_b32 exec_lo, exec_lo, s18
	s_wait_loadcnt 0x0
	ds_bpermute_b32 v3, v2, v60
	ds_bpermute_b32 v56, v2, v60 offset:4
	ds_bpermute_b32 v57, v2, v60 offset:8
	;; [unrolled: 1-line block ×4, first 2 shown]
	v_pk_mul_f32 v[6:7], v[14:15], v[6:7]
	v_dual_mul_f32 v14, v12, v4 :: v_dual_mul_f32 v4, v13, v5
	v_pk_mul_f32 v[8:9], v[16:17], v[8:9]
	ds_bpermute_b32 v12, v2, v60 offset:20
	v_dual_mov_b32 v5, v6 :: v_dual_mov_b32 v6, v7
	ds_bpermute_b32 v13, v2, v60 offset:24
	v_dual_mov_b32 v7, v8 :: v_dual_mul_f32 v15, v18, v10
	s_wait_dscnt 0x6
	v_dual_fmac_f32 v59, v14, v3 :: v_dual_mov_b32 v14, v9
	s_wait_dscnt 0x4
	v_pk_mul_f32 v[4:5], v[4:5], v[56:57]
	s_wait_dscnt 0x2
	v_pk_mul_f32 v[6:7], v[6:7], v[62:63]
	s_delay_alu instid0(VALU_DEP_2) | instskip(SKIP_2) | instid1(VALU_DEP_1)
	v_add_f32_e32 v3, v59, v4
	ds_bpermute_b32 v4, v2, v60 offset:28
	v_add_f32_e32 v3, v3, v5
	v_add_f32_e32 v3, v3, v6
	s_delay_alu instid0(VALU_DEP_1) | instskip(SKIP_2) | instid1(VALU_DEP_1)
	v_add_f32_e32 v3, v3, v7
	s_wait_dscnt 0x1
	v_pk_mul_f32 v[6:7], v[14:15], v[12:13]
	v_add_f32_e32 v3, v3, v6
	s_delay_alu instid0(VALU_DEP_1)
	v_add_f32_e32 v3, v3, v7
.LBB207_40:                             ;   in Loop: Header=BB207_3 Depth=1
	s_add_nc_u64 s[46:47], s[46:47], s[34:35]
	v_mul_f32_e32 v5, v11, v19
	v_cmp_lt_i64_e64 s18, s[46:47], s[4:5]
	v_add_nc_u64_e32 v[24:25], s[42:43], v[24:25]
	v_add_nc_u64_e32 v[26:27], s[42:43], v[26:27]
	;; [unrolled: 1-line block ×16, first 2 shown]
	s_wait_dscnt 0x0
	v_fmac_f32_e32 v3, v5, v4
	s_and_b32 vcc_lo, exec_lo, s18
	s_add_nc_u64 s[44:45], s[44:45], s[34:35]
	s_cbranch_vccz .LBB207_50
; %bb.41:                               ;   in Loop: Header=BB207_3 Depth=1
	s_delay_alu instid0(VALU_DEP_1)
	v_mov_b32_e32 v59, v3
	s_branch .LBB207_3
.LBB207_42:                             ;   in Loop: Header=BB207_3 Depth=1
	v_add_nc_u64_e32 v[4:5], v[24:25], v[22:23]
	v_add_nc_u64_e32 v[6:7], v[26:27], v[22:23]
	v_dual_mov_b32 v9, v2 :: v_dual_mov_b32 v10, v2
	v_dual_mov_b32 v11, v2 :: v_dual_mov_b32 v13, v2
	;; [unrolled: 1-line block ×3, first 2 shown]
	global_load_u16 v3, v[4:5], off
	global_load_u16 v12, v[6:7], off
	s_wait_xcnt 0x0
	v_dual_mov_b32 v5, v2 :: v_dual_mov_b32 v6, v2
	v_dual_mov_b32 v7, v2 :: v_dual_mov_b32 v8, v2
	;; [unrolled: 1-line block ×4, first 2 shown]
	s_wait_loadcnt 0x0
	v_dual_lshlrev_b32 v4, 16, v3 :: v_dual_lshlrev_b32 v12, 16, v12
	s_or_b32 exec_lo, exec_lo, s18
	s_and_saveexec_b32 s18, s2
	s_cbranch_execz .LBB207_32
.LBB207_43:                             ;   in Loop: Header=BB207_3 Depth=1
	v_add_nc_u64_e32 v[56:57], v[52:53], v[22:23]
	v_add_nc_u64_e32 v[62:63], v[54:55], v[22:23]
	global_load_u16 v3, v[56:57], off
	global_load_u16 v13, v[62:63], off
	s_wait_loadcnt 0x0
	v_dual_lshlrev_b32 v5, 16, v3 :: v_dual_lshlrev_b32 v13, 16, v13
	s_or_b32 exec_lo, exec_lo, s18
	s_and_saveexec_b32 s18, s2
	s_cbranch_execz .LBB207_33
.LBB207_44:                             ;   in Loop: Header=BB207_3 Depth=1
	v_add_nc_u64_e32 v[56:57], v[48:49], v[22:23]
	v_add_nc_u64_e32 v[62:63], v[50:51], v[22:23]
	global_load_u16 v3, v[56:57], off
	global_load_u16 v14, v[62:63], off
	s_wait_loadcnt 0x0
	v_dual_lshlrev_b32 v6, 16, v3 :: v_dual_lshlrev_b32 v14, 16, v14
	s_or_b32 exec_lo, exec_lo, s18
	s_and_saveexec_b32 s18, s2
	s_cbranch_execz .LBB207_34
.LBB207_45:                             ;   in Loop: Header=BB207_3 Depth=1
	v_add_nc_u64_e32 v[56:57], v[44:45], v[22:23]
	v_add_nc_u64_e32 v[62:63], v[46:47], v[22:23]
	global_load_u16 v3, v[56:57], off
	global_load_u16 v15, v[62:63], off
	s_wait_loadcnt 0x1
	v_lshlrev_b32_e32 v7, 16, v3
	s_wait_loadcnt 0x0
	v_lshlrev_b32_e32 v15, 16, v15
	s_or_b32 exec_lo, exec_lo, s18
	s_and_saveexec_b32 s18, s2
	s_cbranch_execz .LBB207_35
.LBB207_46:                             ;   in Loop: Header=BB207_3 Depth=1
	v_add_nc_u64_e32 v[56:57], v[40:41], v[22:23]
	v_add_nc_u64_e32 v[62:63], v[42:43], v[22:23]
	global_load_u16 v3, v[56:57], off
	global_load_u16 v16, v[62:63], off
	s_wait_loadcnt 0x0
	v_dual_lshlrev_b32 v8, 16, v3 :: v_dual_lshlrev_b32 v16, 16, v16
	s_or_b32 exec_lo, exec_lo, s18
	s_and_saveexec_b32 s18, s2
	s_cbranch_execz .LBB207_36
.LBB207_47:                             ;   in Loop: Header=BB207_3 Depth=1
	v_add_nc_u64_e32 v[56:57], v[36:37], v[22:23]
	v_add_nc_u64_e32 v[62:63], v[38:39], v[22:23]
	global_load_u16 v3, v[56:57], off
	global_load_u16 v17, v[62:63], off
	s_wait_loadcnt 0x0
	v_dual_lshlrev_b32 v9, 16, v3 :: v_dual_lshlrev_b32 v17, 16, v17
	s_or_b32 exec_lo, exec_lo, s18
	s_and_saveexec_b32 s18, s2
	s_cbranch_execz .LBB207_37
.LBB207_48:                             ;   in Loop: Header=BB207_3 Depth=1
	v_add_nc_u64_e32 v[56:57], v[32:33], v[22:23]
	v_add_nc_u64_e32 v[62:63], v[34:35], v[22:23]
	global_load_u16 v3, v[56:57], off
	global_load_u16 v18, v[62:63], off
	s_wait_loadcnt 0x0
	v_dual_lshlrev_b32 v10, 16, v3 :: v_dual_lshlrev_b32 v18, 16, v18
	s_or_b32 exec_lo, exec_lo, s18
	s_and_saveexec_b32 s18, s2
	s_cbranch_execnz .LBB207_38
	s_branch .LBB207_39
.LBB207_49:
                                        ; implicit-def: $vgpr3
	s_branch .LBB207_51
.LBB207_50:
	s_cbranch_execnz .LBB207_83
.LBB207_51:
	v_mov_b32_e32 v3, 0
	s_and_not1_b32 vcc_lo, exec_lo, s13
	s_cbranch_vccnz .LBB207_83
; %bb.52:
	v_bfe_u32 v1, v0, 10, 10
	v_mov_b32_e32 v2, 0
	v_and_b32_e32 v86, 0x3ff, v0
	s_load_b32 s2, s[0:1], 0x44
	s_mov_b64 s[20:21], 0xffffffffffffff03
	s_delay_alu instid0(VALU_DEP_2) | instskip(SKIP_3) | instid1(VALU_DEP_2)
	v_dual_mov_b32 v5, v2 :: v_dual_lshlrev_b32 v4, 4, v1
	v_dual_mov_b32 v21, v2 :: v_dual_lshlrev_b32 v20, 3, v1
	s_mov_b64 s[22:23], 0xffffffffffffff04
	s_mov_b64 s[24:25], 0xffffffffffffff05
	v_lshl_add_u64 v[6:7], s[16:17], 1, v[4:5]
	s_mov_b64 s[26:27], 0xffffffffffffff06
	s_mov_b64 s[28:29], 0xffffffffffffff07
	;; [unrolled: 1-line block ×3, first 2 shown]
	s_add_nc_u64 s[34:35], s[0:1], 64
	v_add_nc_u64_e32 v[12:13], 2, v[6:7]
	v_add_nc_u64_e32 v[14:15], 4, v[6:7]
	;; [unrolled: 1-line block ×7, first 2 shown]
	v_mad_nc_u64_u32 v[22:23], s6, v12, s[8:9]
	v_mul_lo_u32 v3, s6, v13
	v_mul_lo_u32 v46, s7, v12
	v_mad_nc_u64_u32 v[24:25], s6, v14, s[8:9]
	v_mul_lo_u32 v47, s6, v15
	v_mul_lo_u32 v48, s7, v14
	;; [unrolled: 3-line block ×3, first 2 shown]
	v_mad_nc_u64_u32 v[32:33], s6, v12, s[10:11]
	v_mad_nc_u64_u32 v[34:35], s6, v14, s[10:11]
	;; [unrolled: 1-line block ×4, first 2 shown]
	v_add3_u32 v23, v46, v23, v3
	v_mul_lo_u32 v51, s6, v19
	v_mul_lo_u32 v52, s7, v18
	v_add3_u32 v25, v48, v25, v47
	v_mad_nc_u64_u32 v[40:41], s6, v18, s[10:11]
	v_mad_nc_u64_u32 v[30:31], s6, v10, s[8:9]
	v_add3_u32 v27, v50, v27, v49
	v_add3_u32 v33, v46, v33, v3
	;; [unrolled: 1-line block ×4, first 2 shown]
	v_mad_nc_u64_u32 v[46:47], s6, v6, s[8:9]
	v_mul_lo_u32 v50, s7, v6
	v_mad_nc_u64_u32 v[48:49], s6, v6, s[10:11]
	v_add_nc_u32_e32 v6, s3, v86
	v_add_nc_u64_e32 v[4:5], s[16:17], v[20:21]
	v_mul_lo_u32 v53, s6, v11
	v_mul_lo_u32 v54, s7, v10
	;; [unrolled: 1-line block ×3, first 2 shown]
	v_dual_mov_b32 v7, v2 :: v_dual_mov_b32 v87, 0
	v_mad_nc_u64_u32 v[38:39], s6, v44, s[8:9]
	v_add_nc_u64_e32 v[12:13], 7, v[4:5]
	v_add_nc_u64_e32 v[14:15], 6, v[4:5]
	v_mul_u64_e32 v[8:9], s[6:7], v[4:5]
	v_add_nc_u64_e32 v[16:17], 5, v[4:5]
	v_add_nc_u64_e32 v[42:43], 4, v[4:5]
	v_add_nc_u64_e32 v[18:19], 3, v[4:5]
	v_add_nc_u64_e32 v[4:5], 2, v[4:5]
	v_mul_u64_e32 v[12:13], s[6:7], v[12:13]
	v_mul_u64_e32 v[14:15], s[6:7], v[14:15]
	v_mul_lo_u32 v55, s6, v45
	v_mul_u64_e32 v[16:17], s[6:7], v[16:17]
	v_mul_u64_e32 v[60:61], s[6:7], v[42:43]
	v_mad_nc_u64_u32 v[42:43], s6, v10, s[10:11]
	v_mul_u64_e32 v[10:11], s[6:7], v[18:19]
	v_mul_u64_e32 v[4:5], s[6:7], v[4:5]
	v_mul_lo_u32 v56, s7, v44
	v_mad_nc_u64_u32 v[44:45], s6, v44, s[10:11]
	v_add3_u32 v29, v52, v29, v51
	v_add3_u32 v41, v52, v41, v51
	;; [unrolled: 1-line block ×4, first 2 shown]
	v_lshlrev_b64_e32 v[50:51], 1, v[6:7]
	s_mov_b32 s3, 0
	v_add3_u32 v31, v54, v31, v53
	v_add3_u32 v43, v54, v43, v53
	s_wait_kmcnt 0x0
	s_lshl_b32 s18, s2, 8
	v_add3_u32 v39, v56, v39, v55
	v_add3_u32 v45, v56, v45, v55
	s_mov_b32 s19, s3
	s_add_nc_u64 s[38:39], s[16:17], 0xff
	s_mul_u64 s[36:37], s[6:7], s[18:19]
	s_delay_alu instid0(SALU_CYCLE_1) | instskip(SKIP_4) | instid1(VALU_DEP_4)
	s_lshl_b64 s[36:37], s[36:37], 1
	v_lshlrev_b64_e32 v[18:19], 1, v[8:9]
	v_add_nc_u64_e32 v[8:9], s[6:7], v[8:9]
	v_lshlrev_b64_e32 v[12:13], 1, v[12:13]
	v_lshlrev_b64_e32 v[6:7], 1, v[14:15]
	v_add_nc_u64_e32 v[52:53], s[8:9], v[18:19]
	s_delay_alu instid0(VALU_DEP_4)
	v_lshlrev_b64_e32 v[8:9], 1, v[8:9]
	v_lshlrev_b64_e32 v[14:15], 1, v[60:61]
	v_add_nc_u64_e32 v[54:55], s[10:11], v[18:19]
	v_add_nc_u64_e32 v[56:57], s[8:9], v[12:13]
	;; [unrolled: 1-line block ×3, first 2 shown]
	v_lshlrev_b64_e32 v[12:13], 1, v[16:17]
	v_add_nc_u64_e32 v[60:61], s[8:9], v[6:7]
	v_add_nc_u64_e32 v[62:63], s[10:11], v[6:7]
	v_lshlrev_b64_e32 v[6:7], 1, v[10:11]
	v_lshlrev_b64_e32 v[4:5], 1, v[4:5]
	v_add_nc_u64_e32 v[68:69], s[8:9], v[14:15]
	v_add_nc_u64_e32 v[70:71], s[10:11], v[14:15]
	;; [unrolled: 1-line block ×10, first 2 shown]
	s_mov_b64 s[8:9], 0xffffffffffffff01
	s_mov_b64 s[10:11], 0xffffffffffffff02
.LBB207_53:                             ; =>This Inner Loop Header: Depth=1
	v_cmp_ge_i64_e64 s2, s[38:39], s[4:5]
	v_add_nc_u64_e32 v[84:85], s[38:39], v[20:21]
                                        ; implicit-def: $vgpr3
	s_and_b32 vcc_lo, exec_lo, s2
	s_mov_b32 s2, -1
	s_cbranch_vccz .LBB207_75
; %bb.54:                               ;   in Loop: Header=BB207_53 Depth=1
	s_load_b32 s2, s[34:35], 0xc
	v_mov_b32_e32 v88, 0
	s_wait_kmcnt 0x0
	s_and_b32 s2, s2, 0xffff
	s_delay_alu instid0(SALU_CYCLE_1) | instskip(SKIP_1) | instid1(VALU_DEP_1)
	v_mad_u32_u24 v3, v1, s2, v86
	s_mov_b32 s2, exec_lo
	v_and_b32_e32 v4, 31, v3
	s_delay_alu instid0(VALU_DEP_1)
	v_cmpx_gt_u32_e32 8, v4
	s_cbranch_execz .LBB207_58
; %bb.55:                               ;   in Loop: Header=BB207_53 Depth=1
	v_dual_mov_b32 v5, v2 :: v_dual_mov_b32 v88, 0
	s_mov_b32 s13, exec_lo
	s_delay_alu instid0(VALU_DEP_1) | instskip(NEXT) | instid1(VALU_DEP_1)
	v_add_nc_u64_e32 v[4:5], v[84:85], v[4:5]
	v_add_nc_u64_e32 v[4:5], s[8:9], v[4:5]
	s_delay_alu instid0(VALU_DEP_1)
	v_cmpx_gt_i64_e64 s[4:5], v[4:5]
	s_cbranch_execz .LBB207_57
; %bb.56:                               ;   in Loop: Header=BB207_53 Depth=1
	v_lshl_add_u64 v[4:5], v[4:5], 2, s[14:15]
	global_load_b32 v88, v[4:5], off
.LBB207_57:                             ;   in Loop: Header=BB207_53 Depth=1
	s_wait_xcnt 0x0
	s_or_b32 exec_lo, exec_lo, s13
.LBB207_58:                             ;   in Loop: Header=BB207_53 Depth=1
	s_delay_alu instid0(SALU_CYCLE_1)
	s_or_b32 exec_lo, exec_lo, s2
	v_add_nc_u64_e32 v[10:11], s[8:9], v[84:85]
	v_dual_mov_b32 v7, v2 :: v_dual_mov_b32 v8, v2
	v_dual_mov_b32 v9, v2 :: v_dual_mov_b32 v3, v2
	v_dual_mov_b32 v4, v2 :: v_dual_mov_b32 v5, v2
	v_mov_b32_e32 v6, v2
	s_delay_alu instid0(VALU_DEP_3)
	v_mov_b64_e32 v[18:19], v[8:9]
	v_cmp_gt_i64_e32 vcc_lo, s[4:5], v[10:11]
	v_mov_b64_e32 v[12:13], v[2:3]
	v_mov_b64_e32 v[14:15], v[4:5]
	;; [unrolled: 1-line block ×7, first 2 shown]
	s_and_saveexec_b32 s2, vcc_lo
	s_cbranch_execz .LBB207_60
; %bb.59:                               ;   in Loop: Header=BB207_53 Depth=1
	v_add_nc_u64_e32 v[4:5], v[52:53], v[50:51]
	v_add_nc_u64_e32 v[6:7], v[54:55], v[50:51]
	v_dual_mov_b32 v9, v2 :: v_dual_mov_b32 v10, v2
	v_dual_mov_b32 v11, v2 :: v_dual_mov_b32 v13, v2
	;; [unrolled: 1-line block ×3, first 2 shown]
	global_load_u16 v3, v[4:5], off
	global_load_u16 v12, v[6:7], off
	s_wait_xcnt 0x0
	v_dual_mov_b32 v5, v2 :: v_dual_mov_b32 v6, v2
	v_dual_mov_b32 v7, v2 :: v_dual_mov_b32 v8, v2
	;; [unrolled: 1-line block ×4, first 2 shown]
	s_wait_loadcnt 0x0
	v_dual_lshlrev_b32 v4, 16, v3 :: v_dual_lshlrev_b32 v12, 16, v12
.LBB207_60:                             ;   in Loop: Header=BB207_53 Depth=1
	s_or_b32 exec_lo, exec_lo, s2
	v_add_nc_u64_e32 v[90:91], s[10:11], v[84:85]
	s_mov_b32 s2, exec_lo
	s_delay_alu instid0(VALU_DEP_1)
	v_cmpx_gt_i64_e64 s[4:5], v[90:91]
	s_cbranch_execz .LBB207_62
; %bb.61:                               ;   in Loop: Header=BB207_53 Depth=1
	v_add_nc_u64_e32 v[90:91], v[80:81], v[50:51]
	v_add_nc_u64_e32 v[92:93], v[82:83], v[50:51]
	global_load_u16 v3, v[90:91], off
	global_load_u16 v13, v[92:93], off
	s_wait_loadcnt 0x0
	v_dual_lshlrev_b32 v5, 16, v3 :: v_dual_lshlrev_b32 v13, 16, v13
.LBB207_62:                             ;   in Loop: Header=BB207_53 Depth=1
	s_or_b32 exec_lo, exec_lo, s2
	v_add_nc_u64_e32 v[90:91], s[20:21], v[84:85]
	s_mov_b32 s2, exec_lo
	s_delay_alu instid0(VALU_DEP_1)
	v_cmpx_gt_i64_e64 s[4:5], v[90:91]
	s_cbranch_execz .LBB207_64
; %bb.63:                               ;   in Loop: Header=BB207_53 Depth=1
	v_add_nc_u64_e32 v[90:91], v[76:77], v[50:51]
	v_add_nc_u64_e32 v[92:93], v[78:79], v[50:51]
	global_load_u16 v3, v[90:91], off
	global_load_u16 v14, v[92:93], off
	s_wait_loadcnt 0x0
	v_dual_lshlrev_b32 v6, 16, v3 :: v_dual_lshlrev_b32 v14, 16, v14
.LBB207_64:                             ;   in Loop: Header=BB207_53 Depth=1
	s_or_b32 exec_lo, exec_lo, s2
	v_add_nc_u64_e32 v[90:91], s[22:23], v[84:85]
	s_mov_b32 s2, exec_lo
	s_delay_alu instid0(VALU_DEP_1)
	v_cmpx_gt_i64_e64 s[4:5], v[90:91]
	s_cbranch_execz .LBB207_66
; %bb.65:                               ;   in Loop: Header=BB207_53 Depth=1
	v_add_nc_u64_e32 v[90:91], v[72:73], v[50:51]
	v_add_nc_u64_e32 v[92:93], v[74:75], v[50:51]
	global_load_u16 v3, v[90:91], off
	global_load_u16 v15, v[92:93], off
	s_wait_loadcnt 0x1
	v_lshlrev_b32_e32 v7, 16, v3
	s_wait_loadcnt 0x0
	v_lshlrev_b32_e32 v15, 16, v15
.LBB207_66:                             ;   in Loop: Header=BB207_53 Depth=1
	s_or_b32 exec_lo, exec_lo, s2
	v_add_nc_u64_e32 v[90:91], s[24:25], v[84:85]
	s_mov_b32 s2, exec_lo
	s_delay_alu instid0(VALU_DEP_1)
	v_cmpx_gt_i64_e64 s[4:5], v[90:91]
	s_cbranch_execz .LBB207_68
; %bb.67:                               ;   in Loop: Header=BB207_53 Depth=1
	v_add_nc_u64_e32 v[90:91], v[68:69], v[50:51]
	v_add_nc_u64_e32 v[92:93], v[70:71], v[50:51]
	global_load_u16 v3, v[90:91], off
	global_load_u16 v16, v[92:93], off
	s_wait_loadcnt 0x0
	v_dual_lshlrev_b32 v8, 16, v3 :: v_dual_lshlrev_b32 v16, 16, v16
.LBB207_68:                             ;   in Loop: Header=BB207_53 Depth=1
	s_or_b32 exec_lo, exec_lo, s2
	v_add_nc_u64_e32 v[90:91], s[26:27], v[84:85]
	s_mov_b32 s2, exec_lo
	s_delay_alu instid0(VALU_DEP_1)
	v_cmpx_gt_i64_e64 s[4:5], v[90:91]
	s_cbranch_execz .LBB207_70
; %bb.69:                               ;   in Loop: Header=BB207_53 Depth=1
	v_add_nc_u64_e32 v[90:91], v[64:65], v[50:51]
	v_add_nc_u64_e32 v[92:93], v[66:67], v[50:51]
	global_load_u16 v3, v[90:91], off
	global_load_u16 v17, v[92:93], off
	s_wait_loadcnt 0x0
	v_dual_lshlrev_b32 v9, 16, v3 :: v_dual_lshlrev_b32 v17, 16, v17
.LBB207_70:                             ;   in Loop: Header=BB207_53 Depth=1
	;; [unrolled: 14-line block ×3, first 2 shown]
	s_or_b32 exec_lo, exec_lo, s2
	v_add_nc_u64_e32 v[90:91], s[30:31], v[84:85]
	s_mov_b32 s2, exec_lo
	s_delay_alu instid0(VALU_DEP_1)
	v_cmpx_gt_i64_e64 s[4:5], v[90:91]
	s_cbranch_execz .LBB207_74
; %bb.73:                               ;   in Loop: Header=BB207_53 Depth=1
	v_add_nc_u64_e32 v[90:91], v[56:57], v[50:51]
	v_add_nc_u64_e32 v[92:93], v[58:59], v[50:51]
	global_load_u16 v3, v[90:91], off
	global_load_u16 v19, v[92:93], off
	s_wait_loadcnt 0x1
	v_lshlrev_b32_e32 v11, 16, v3
	s_wait_loadcnt 0x0
	v_lshlrev_b32_e32 v19, 16, v19
.LBB207_74:                             ;   in Loop: Header=BB207_53 Depth=1
	s_or_b32 exec_lo, exec_lo, s2
	s_wait_loadcnt 0x0
	ds_bpermute_b32 v90, v2, v88
	ds_bpermute_b32 v91, v2, v88 offset:4
	ds_bpermute_b32 v92, v2, v88 offset:8
	;; [unrolled: 1-line block ×3, first 2 shown]
	v_pk_mul_f32 v[4:5], v[12:13], v[4:5]
	ds_bpermute_b32 v12, v2, v88 offset:16
	ds_bpermute_b32 v13, v2, v88 offset:20
	v_pk_mul_f32 v[6:7], v[14:15], v[6:7]
	v_pk_mul_f32 v[8:9], v[16:17], v[8:9]
	s_mov_b32 s2, 0
	s_wait_dscnt 0x4
	v_pk_mul_f32 v[4:5], v[4:5], v[90:91]
	s_wait_dscnt 0x2
	v_pk_mul_f32 v[6:7], v[6:7], v[92:93]
	;; [unrolled: 2-line block ×3, first 2 shown]
	v_add_f32_e32 v3, v87, v4
	ds_bpermute_b32 v4, v2, v88 offset:24
	v_add_f32_e32 v3, v3, v5
	ds_bpermute_b32 v5, v2, v88 offset:28
	v_add_f32_e32 v3, v3, v6
	s_delay_alu instid0(VALU_DEP_1) | instskip(SKIP_1) | instid1(VALU_DEP_2)
	v_add_f32_e32 v3, v3, v7
	v_pk_mul_f32 v[6:7], v[18:19], v[10:11]
	v_add_f32_e32 v3, v3, v8
	s_delay_alu instid0(VALU_DEP_1) | instskip(SKIP_1) | instid1(VALU_DEP_3)
	v_add_f32_e32 v3, v3, v9
	s_wait_dscnt 0x0
	v_pk_mul_f32 v[4:5], v[6:7], v[4:5]
	s_delay_alu instid0(VALU_DEP_1) | instskip(NEXT) | instid1(VALU_DEP_1)
	v_add_f32_e32 v3, v3, v4
	v_add_f32_e32 v3, v3, v5
.LBB207_75:                             ;   in Loop: Header=BB207_53 Depth=1
	s_and_b32 vcc_lo, exec_lo, s2
	s_cbranch_vccz .LBB207_81
; %bb.76:                               ;   in Loop: Header=BB207_53 Depth=1
	s_load_b32 s2, s[34:35], 0x0
	s_wait_kmcnt 0x0
	s_cmp_lt_u32 s12, s2
	s_cselect_b32 s2, 12, 18
	s_delay_alu instid0(SALU_CYCLE_1) | instskip(SKIP_4) | instid1(VALU_DEP_1)
	s_add_nc_u64 s[40:41], s[34:35], s[2:3]
	s_load_u16 s2, s[40:41], 0x0
	s_wait_kmcnt 0x0
	v_mad_u32_u24 v3, v1, s2, v86
	s_mov_b32 s2, exec_lo
	v_dual_mov_b32 v3, 0 :: v_dual_bitop2_b32 v4, 31, v3 bitop3:0x40
	s_delay_alu instid0(VALU_DEP_1)
	v_cmpx_gt_u32_e32 8, v4
	s_cbranch_execz .LBB207_80
; %bb.77:                               ;   in Loop: Header=BB207_53 Depth=1
	v_dual_mov_b32 v5, v2 :: v_dual_mov_b32 v3, 0
	s_mov_b32 s13, exec_lo
	s_delay_alu instid0(VALU_DEP_1) | instskip(NEXT) | instid1(VALU_DEP_1)
	v_add_nc_u64_e32 v[4:5], v[84:85], v[4:5]
	v_add_nc_u64_e32 v[4:5], s[8:9], v[4:5]
	s_delay_alu instid0(VALU_DEP_1)
	v_cmpx_gt_i64_e64 s[4:5], v[4:5]
	s_cbranch_execz .LBB207_79
; %bb.78:                               ;   in Loop: Header=BB207_53 Depth=1
	v_lshl_add_u64 v[4:5], v[4:5], 2, s[14:15]
	global_load_b32 v3, v[4:5], off
.LBB207_79:                             ;   in Loop: Header=BB207_53 Depth=1
	s_wait_xcnt 0x0
	s_or_b32 exec_lo, exec_lo, s13
.LBB207_80:                             ;   in Loop: Header=BB207_53 Depth=1
	s_delay_alu instid0(SALU_CYCLE_1)
	s_or_b32 exec_lo, exec_lo, s2
	v_add_nc_u64_e32 v[4:5], v[22:23], v[50:51]
	v_add_nc_u64_e32 v[6:7], v[52:53], v[50:51]
	;; [unrolled: 1-line block ×6, first 2 shown]
	global_load_u16 v16, v[4:5], off
	global_load_u16 v17, v[6:7], off
	;; [unrolled: 1-line block ×4, first 2 shown]
	s_wait_xcnt 0x3
	v_add_nc_u64_e32 v[4:5], v[36:37], v[50:51]
	s_wait_xcnt 0x2
	v_add_nc_u64_e32 v[6:7], v[34:35], v[50:51]
	;; [unrolled: 2-line block ×3, first 2 shown]
	v_add_nc_u64_e32 v[8:9], v[28:29], v[50:51]
	global_load_u16 v14, v[14:15], off
	global_load_u16 v15, v[12:13], off
	;; [unrolled: 1-line block ×4, first 2 shown]
	s_wait_xcnt 0x1
	v_add_nc_u64_e32 v[4:5], v[42:43], v[50:51]
	s_wait_xcnt 0x0
	v_add_nc_u64_e32 v[6:7], v[40:41], v[50:51]
	s_wait_loadcnt 0x8
	ds_bpermute_b32 v12, v2, v3 offset:16
	global_load_u16 v88, v[10:11], off
	global_load_u16 v89, v[8:9], off
	;; [unrolled: 1-line block ×4, first 2 shown]
	s_wait_xcnt 0x1
	v_add_nc_u64_e32 v[4:5], v[46:47], v[50:51]
	s_wait_xcnt 0x0
	v_add_nc_u64_e32 v[6:7], v[38:39], v[50:51]
	v_add_nc_u64_e32 v[8:9], v[48:49], v[50:51]
	;; [unrolled: 1-line block ×3, first 2 shown]
	global_load_u16 v92, v[4:5], off
	global_load_u16 v93, v[6:7], off
	;; [unrolled: 1-line block ×4, first 2 shown]
	s_wait_xcnt 0x3
	ds_bpermute_b32 v4, v2, v3
	ds_bpermute_b32 v5, v2, v3 offset:4
	s_wait_xcnt 0x2
	ds_bpermute_b32 v6, v2, v3 offset:8
	ds_bpermute_b32 v7, v2, v3 offset:12
	;; [unrolled: 1-line block ×3, first 2 shown]
	s_wait_loadcnt 0xe
	s_wait_xcnt 0x1
	v_dual_lshlrev_b32 v9, 16, v16 :: v_dual_lshlrev_b32 v8, 16, v17
	s_wait_loadcnt 0xc
	s_wait_xcnt 0x0
	v_dual_lshlrev_b32 v11, 16, v18 :: v_dual_lshlrev_b32 v10, 16, v19
	s_delay_alu instid0(VALU_DEP_1)
	v_pk_mul_f32 v[8:9], v[8:9], v[10:11]
	s_wait_loadcnt 0xa
	v_dual_lshlrev_b32 v11, 16, v14 :: v_dual_lshlrev_b32 v10, 16, v15
	s_wait_loadcnt 0x8
	v_dual_lshlrev_b32 v15, 16, v84 :: v_dual_lshlrev_b32 v14, 16, v85
	s_wait_dscnt 0x3
	v_pk_mul_f32 v[4:5], v[8:9], v[4:5]
	ds_bpermute_b32 v8, v2, v3 offset:24
	s_wait_loadcnt 0x6
	v_dual_lshlrev_b32 v17, 16, v88 :: v_dual_lshlrev_b32 v16, 16, v89
	v_pk_mul_f32 v[10:11], v[10:11], v[14:15]
	s_wait_loadcnt 0x5
	v_dual_add_f32 v4, v87, v4 :: v_dual_lshlrev_b32 v15, 16, v90
	s_wait_loadcnt 0x4
	v_lshlrev_b32_e32 v14, 16, v91
	ds_bpermute_b32 v9, v2, v3 offset:28
	s_wait_dscnt 0x3
	v_pk_mul_f32 v[6:7], v[10:11], v[6:7]
	s_wait_loadcnt 0x3
	v_dual_add_f32 v10, v4, v5 :: v_dual_lshlrev_b32 v11, 16, v92
	v_pk_mul_f32 v[4:5], v[16:17], v[14:15]
	s_wait_loadcnt 0x1
	v_lshlrev_b32_e32 v15, 16, v94
	s_delay_alu instid0(VALU_DEP_3) | instskip(SKIP_2) | instid1(VALU_DEP_2)
	v_dual_add_f32 v3, v10, v6 :: v_dual_lshlrev_b32 v10, 16, v93
	s_wait_dscnt 0x2
	v_pk_mul_f32 v[4:5], v[4:5], v[12:13]
	v_add_f32_e32 v3, v3, v7
	s_wait_loadcnt 0x0
	s_delay_alu instid0(VALU_DEP_1) | instskip(NEXT) | instid1(VALU_DEP_1)
	v_dual_add_f32 v3, v3, v4 :: v_dual_lshlrev_b32 v14, 16, v95
	v_pk_mul_f32 v[6:7], v[10:11], v[14:15]
	s_delay_alu instid0(VALU_DEP_2) | instskip(SKIP_1) | instid1(VALU_DEP_2)
	v_add_f32_e32 v3, v3, v5
	s_wait_dscnt 0x0
	v_pk_mul_f32 v[4:5], v[6:7], v[8:9]
	s_delay_alu instid0(VALU_DEP_1) | instskip(NEXT) | instid1(VALU_DEP_1)
	v_add_f32_e32 v3, v3, v4
	v_add_f32_e32 v3, v3, v5
.LBB207_81:                             ;   in Loop: Header=BB207_53 Depth=1
	s_add_nc_u64 s[16:17], s[16:17], s[18:19]
	v_add_nc_u64_e32 v[52:53], s[36:37], v[52:53]
	v_cmp_ge_i64_e64 s2, s[16:17], s[4:5]
	v_add_nc_u64_e32 v[54:55], s[36:37], v[54:55]
	v_add_nc_u64_e32 v[22:23], s[36:37], v[22:23]
	;; [unrolled: 1-line block ×29, first 2 shown]
	s_and_b32 vcc_lo, exec_lo, s2
	s_add_nc_u64 s[38:39], s[38:39], s[18:19]
	s_cbranch_vccnz .LBB207_83
; %bb.82:                               ;   in Loop: Header=BB207_53 Depth=1
	v_mov_b32_e32 v87, v3
	s_branch .LBB207_53
.LBB207_83:
	v_and_b32_e32 v2, 0x3ff, v0
	v_bfe_u32 v1, v0, 10, 10
	v_bfe_u32 v0, v0, 5, 5
	s_mov_b32 s13, 0
	s_mov_b32 s2, exec_lo
	s_delay_alu instid0(VALU_DEP_2) | instskip(NEXT) | instid1(VALU_DEP_2)
	v_mad_u32_u24 v4, v1, 33, v2
	v_add_nc_u32_e32 v0, v0, v1
	s_delay_alu instid0(VALU_DEP_2)
	v_lshl_add_u32 v1, v4, 2, 0
	v_mov_b32_e32 v4, 0
	ds_store_b32 v1, v3
	ds_store_b32 v1, v4 offset:4224
	s_wait_dscnt 0x0
	s_barrier_signal -1
	s_barrier_wait -1
	v_cmpx_gt_u32_e32 32, v0
	s_cbranch_execz .LBB207_86
; %bb.84:
	v_dual_lshlrev_b32 v3, 2, v0 :: v_dual_bitop2_b32 v1, 31, v2 bitop3:0x40
	s_load_b64 s[2:3], s[0:1], 0x30
	s_wait_xcnt 0x0
	s_lshl_b64 s[0:1], s[12:13], 5
	s_delay_alu instid0(VALU_DEP_1) | instskip(SKIP_2) | instid1(VALU_DEP_3)
	v_mul_u32_u24_e32 v1, 0x84, v1
	v_or_b32_e32 v0, s0, v0
	v_cmp_eq_u32_e64 s0, 0, v2
	v_add3_u32 v1, 0, v3, v1
	v_mbcnt_lo_u32_b32 v3, -1, 0
	ds_load_b32 v1, v1
	v_xor_b32_e32 v5, 8, v3
	v_xor_b32_e32 v4, 16, v3
	s_delay_alu instid0(VALU_DEP_1)
	v_cmp_gt_i32_e32 vcc_lo, 32, v4
	s_wait_kmcnt 0x0
	s_cmp_lg_u64 s[2:3], 0
	v_cndmask_b32_e32 v4, v3, v4, vcc_lo
	v_cmp_gt_i32_e32 vcc_lo, 32, v5
	v_cndmask_b32_e32 v5, v3, v5, vcc_lo
	s_delay_alu instid0(VALU_DEP_1)
	v_dual_lshlrev_b32 v5, 2, v5 :: v_dual_lshlrev_b32 v4, 2, v4
	s_wait_dscnt 0x0
	ds_bpermute_b32 v4, v4, v1
	s_wait_dscnt 0x0
	v_add_f32_e32 v1, v1, v4
	ds_bpermute_b32 v4, v5, v1
	v_xor_b32_e32 v5, 4, v3
	s_delay_alu instid0(VALU_DEP_1) | instskip(SKIP_2) | instid1(VALU_DEP_1)
	v_cmp_gt_i32_e32 vcc_lo, 32, v5
	s_wait_dscnt 0x0
	v_dual_cndmask_b32 v5, v3, v5, vcc_lo :: v_dual_add_f32 v1, v1, v4
	v_lshlrev_b32_e32 v5, 2, v5
	ds_bpermute_b32 v4, v5, v1
	s_wait_dscnt 0x0
	v_dual_add_f32 v1, v1, v4 :: v_dual_bitop2_b32 v5, 2, v3 bitop3:0x14
	s_delay_alu instid0(VALU_DEP_1) | instskip(SKIP_1) | instid1(VALU_DEP_1)
	v_cmp_gt_i32_e32 vcc_lo, 32, v5
	v_cndmask_b32_e32 v5, v3, v5, vcc_lo
	v_lshlrev_b32_e32 v5, 2, v5
	ds_bpermute_b32 v4, v5, v1
	v_xor_b32_e32 v5, 1, v3
	s_delay_alu instid0(VALU_DEP_1) | instskip(SKIP_2) | instid1(VALU_DEP_1)
	v_cmp_gt_i32_e32 vcc_lo, 32, v5
	s_wait_dscnt 0x0
	v_dual_cndmask_b32 v5, v3, v5, vcc_lo :: v_dual_add_f32 v3, v1, v4
	v_lshlrev_b32_e32 v1, 2, v5
	ds_bpermute_b32 v4, v1, v3
	v_mov_b32_e32 v1, s1
	s_cselect_b32 s1, -1, 0
	s_delay_alu instid0(VALU_DEP_1) | instskip(SKIP_1) | instid1(SALU_CYCLE_1)
	v_cmp_gt_i64_e32 vcc_lo, s[6:7], v[0:1]
	s_and_b32 s0, s0, vcc_lo
	s_and_b32 s0, s1, s0
	s_delay_alu instid0(SALU_CYCLE_1)
	s_and_b32 exec_lo, exec_lo, s0
	s_cbranch_execz .LBB207_86
; %bb.85:
	s_wait_dscnt 0x0
	v_add_f32_e32 v2, v3, v4
	v_lshl_add_u64 v[0:1], v[0:1], 1, s[2:3]
	s_delay_alu instid0(VALU_DEP_2) | instskip(NEXT) | instid1(VALU_DEP_1)
	v_bfe_u32 v3, v2, 16, 1
	v_add3_u32 v3, v2, v3, 0x7fff
	s_delay_alu instid0(VALU_DEP_1) | instskip(SKIP_1) | instid1(VALU_DEP_2)
	v_lshrrev_b32_e32 v3, 16, v3
	v_cmp_o_f32_e32 vcc_lo, v2, v2
	v_cndmask_b32_e32 v2, 0x7fc0, v3, vcc_lo
	global_store_b16 v[0:1], v2, off
.LBB207_86:
	s_sendmsg sendmsg(MSG_DEALLOC_VGPRS)
	s_endpgm
	.section	.rodata,"a",@progbits
	.p2align	6, 0x0
	.amdhsa_kernel _ZN2at6native12_GLOBAL__N_135GammaBetaBackwardCUDAKernelTemplateIN3c108BFloat16EfLj32ELj32ELj256ELb0ELb0ELb1EEEvllPKT_S7_PKT0_SA_PS5_SB_
		.amdhsa_group_segment_fixed_size 0
		.amdhsa_private_segment_fixed_size 0
		.amdhsa_kernarg_size 320
		.amdhsa_user_sgpr_count 2
		.amdhsa_user_sgpr_dispatch_ptr 0
		.amdhsa_user_sgpr_queue_ptr 0
		.amdhsa_user_sgpr_kernarg_segment_ptr 1
		.amdhsa_user_sgpr_dispatch_id 0
		.amdhsa_user_sgpr_kernarg_preload_length 0
		.amdhsa_user_sgpr_kernarg_preload_offset 0
		.amdhsa_user_sgpr_private_segment_size 0
		.amdhsa_wavefront_size32 1
		.amdhsa_uses_dynamic_stack 0
		.amdhsa_enable_private_segment 0
		.amdhsa_system_sgpr_workgroup_id_x 1
		.amdhsa_system_sgpr_workgroup_id_y 1
		.amdhsa_system_sgpr_workgroup_id_z 0
		.amdhsa_system_sgpr_workgroup_info 0
		.amdhsa_system_vgpr_workitem_id 1
		.amdhsa_next_free_vgpr 96
		.amdhsa_next_free_sgpr 50
		.amdhsa_named_barrier_count 0
		.amdhsa_reserve_vcc 1
		.amdhsa_float_round_mode_32 0
		.amdhsa_float_round_mode_16_64 0
		.amdhsa_float_denorm_mode_32 3
		.amdhsa_float_denorm_mode_16_64 3
		.amdhsa_fp16_overflow 0
		.amdhsa_memory_ordered 1
		.amdhsa_forward_progress 1
		.amdhsa_inst_pref_size 47
		.amdhsa_round_robin_scheduling 0
		.amdhsa_exception_fp_ieee_invalid_op 0
		.amdhsa_exception_fp_denorm_src 0
		.amdhsa_exception_fp_ieee_div_zero 0
		.amdhsa_exception_fp_ieee_overflow 0
		.amdhsa_exception_fp_ieee_underflow 0
		.amdhsa_exception_fp_ieee_inexact 0
		.amdhsa_exception_int_div_zero 0
	.end_amdhsa_kernel
	.section	.text._ZN2at6native12_GLOBAL__N_135GammaBetaBackwardCUDAKernelTemplateIN3c108BFloat16EfLj32ELj32ELj256ELb0ELb0ELb1EEEvllPKT_S7_PKT0_SA_PS5_SB_,"axG",@progbits,_ZN2at6native12_GLOBAL__N_135GammaBetaBackwardCUDAKernelTemplateIN3c108BFloat16EfLj32ELj32ELj256ELb0ELb0ELb1EEEvllPKT_S7_PKT0_SA_PS5_SB_,comdat
.Lfunc_end207:
	.size	_ZN2at6native12_GLOBAL__N_135GammaBetaBackwardCUDAKernelTemplateIN3c108BFloat16EfLj32ELj32ELj256ELb0ELb0ELb1EEEvllPKT_S7_PKT0_SA_PS5_SB_, .Lfunc_end207-_ZN2at6native12_GLOBAL__N_135GammaBetaBackwardCUDAKernelTemplateIN3c108BFloat16EfLj32ELj32ELj256ELb0ELb0ELb1EEEvllPKT_S7_PKT0_SA_PS5_SB_
                                        ; -- End function
	.set _ZN2at6native12_GLOBAL__N_135GammaBetaBackwardCUDAKernelTemplateIN3c108BFloat16EfLj32ELj32ELj256ELb0ELb0ELb1EEEvllPKT_S7_PKT0_SA_PS5_SB_.num_vgpr, 96
	.set _ZN2at6native12_GLOBAL__N_135GammaBetaBackwardCUDAKernelTemplateIN3c108BFloat16EfLj32ELj32ELj256ELb0ELb0ELb1EEEvllPKT_S7_PKT0_SA_PS5_SB_.num_agpr, 0
	.set _ZN2at6native12_GLOBAL__N_135GammaBetaBackwardCUDAKernelTemplateIN3c108BFloat16EfLj32ELj32ELj256ELb0ELb0ELb1EEEvllPKT_S7_PKT0_SA_PS5_SB_.numbered_sgpr, 50
	.set _ZN2at6native12_GLOBAL__N_135GammaBetaBackwardCUDAKernelTemplateIN3c108BFloat16EfLj32ELj32ELj256ELb0ELb0ELb1EEEvllPKT_S7_PKT0_SA_PS5_SB_.num_named_barrier, 0
	.set _ZN2at6native12_GLOBAL__N_135GammaBetaBackwardCUDAKernelTemplateIN3c108BFloat16EfLj32ELj32ELj256ELb0ELb0ELb1EEEvllPKT_S7_PKT0_SA_PS5_SB_.private_seg_size, 0
	.set _ZN2at6native12_GLOBAL__N_135GammaBetaBackwardCUDAKernelTemplateIN3c108BFloat16EfLj32ELj32ELj256ELb0ELb0ELb1EEEvllPKT_S7_PKT0_SA_PS5_SB_.uses_vcc, 1
	.set _ZN2at6native12_GLOBAL__N_135GammaBetaBackwardCUDAKernelTemplateIN3c108BFloat16EfLj32ELj32ELj256ELb0ELb0ELb1EEEvllPKT_S7_PKT0_SA_PS5_SB_.uses_flat_scratch, 0
	.set _ZN2at6native12_GLOBAL__N_135GammaBetaBackwardCUDAKernelTemplateIN3c108BFloat16EfLj32ELj32ELj256ELb0ELb0ELb1EEEvllPKT_S7_PKT0_SA_PS5_SB_.has_dyn_sized_stack, 0
	.set _ZN2at6native12_GLOBAL__N_135GammaBetaBackwardCUDAKernelTemplateIN3c108BFloat16EfLj32ELj32ELj256ELb0ELb0ELb1EEEvllPKT_S7_PKT0_SA_PS5_SB_.has_recursion, 0
	.set _ZN2at6native12_GLOBAL__N_135GammaBetaBackwardCUDAKernelTemplateIN3c108BFloat16EfLj32ELj32ELj256ELb0ELb0ELb1EEEvllPKT_S7_PKT0_SA_PS5_SB_.has_indirect_call, 0
	.section	.AMDGPU.csdata,"",@progbits
; Kernel info:
; codeLenInByte = 6012
; TotalNumSgprs: 52
; NumVgprs: 96
; ScratchSize: 0
; MemoryBound: 0
; FloatMode: 240
; IeeeMode: 1
; LDSByteSize: 0 bytes/workgroup (compile time only)
; SGPRBlocks: 0
; VGPRBlocks: 5
; NumSGPRsForWavesPerEU: 52
; NumVGPRsForWavesPerEU: 96
; NamedBarCnt: 0
; Occupancy: 10
; WaveLimiterHint : 0
; COMPUTE_PGM_RSRC2:SCRATCH_EN: 0
; COMPUTE_PGM_RSRC2:USER_SGPR: 2
; COMPUTE_PGM_RSRC2:TRAP_HANDLER: 0
; COMPUTE_PGM_RSRC2:TGID_X_EN: 1
; COMPUTE_PGM_RSRC2:TGID_Y_EN: 1
; COMPUTE_PGM_RSRC2:TGID_Z_EN: 0
; COMPUTE_PGM_RSRC2:TIDIG_COMP_CNT: 1
	.section	.AMDGPU.gpr_maximums,"",@progbits
	.set amdgpu.max_num_vgpr, 0
	.set amdgpu.max_num_agpr, 0
	.set amdgpu.max_num_sgpr, 0
	.section	.AMDGPU.csdata,"",@progbits
	.type	__hip_cuid_9e7fa6fb7fb737a4,@object ; @__hip_cuid_9e7fa6fb7fb737a4
	.section	.bss,"aw",@nobits
	.globl	__hip_cuid_9e7fa6fb7fb737a4
__hip_cuid_9e7fa6fb7fb737a4:
	.byte	0                               ; 0x0
	.size	__hip_cuid_9e7fa6fb7fb737a4, 1

	.ident	"AMD clang version 22.0.0git (https://github.com/RadeonOpenCompute/llvm-project roc-7.2.4 26084 f58b06dce1f9c15707c5f808fd002e18c2accf7e)"
	.section	".note.GNU-stack","",@progbits
	.addrsig
	.addrsig_sym __hip_cuid_9e7fa6fb7fb737a4
	.amdgpu_metadata
---
amdhsa.kernels:
  - .args:
      - .offset:         0
        .size:           4
        .value_kind:     by_value
      - .offset:         8
        .size:           8
        .value_kind:     by_value
      - .actual_access:  read_only
        .address_space:  global
        .offset:         16
        .size:           8
        .value_kind:     global_buffer
      - .address_space:  global
        .offset:         24
        .size:           8
        .value_kind:     global_buffer
      - .address_space:  global
        .offset:         32
        .size:           8
        .value_kind:     global_buffer
      - .address_space:  global
        .offset:         40
        .size:           8
        .value_kind:     global_buffer
      - .address_space:  global
        .offset:         48
        .size:           8
        .value_kind:     global_buffer
      - .address_space:  global
        .offset:         56
        .size:           8
        .value_kind:     global_buffer
    .group_segment_fixed_size: 0
    .kernarg_segment_align: 8
    .kernarg_segment_size: 64
    .language:       OpenCL C
    .language_version:
      - 2
      - 0
    .max_flat_workgroup_size: 1024
    .name:           _ZN2at6native12_GLOBAL__N_128vectorized_layer_norm_kernelIddLb0EEEviT0_PKT_S6_S6_PS3_S7_PS4_
    .private_segment_fixed_size: 0
    .sgpr_count:     0
    .sgpr_spill_count: 0
    .symbol:         _ZN2at6native12_GLOBAL__N_128vectorized_layer_norm_kernelIddLb0EEEviT0_PKT_S6_S6_PS3_S7_PS4_.kd
    .uniform_work_group_size: 1
    .uses_dynamic_stack: false
    .vgpr_count:     0
    .vgpr_spill_count: 0
    .wavefront_size: 32
  - .args:
      - .offset:         0
        .size:           8
        .value_kind:     by_value
      - .offset:         8
        .size:           8
        .value_kind:     by_value
      - .address_space:  global
        .offset:         16
        .size:           8
        .value_kind:     global_buffer
      - .address_space:  global
        .offset:         24
        .size:           8
        .value_kind:     global_buffer
      - .address_space:  global
        .offset:         32
        .size:           8
        .value_kind:     global_buffer
      - .offset:         40
        .size:           4
        .value_kind:     hidden_block_count_x
      - .offset:         44
        .size:           4
        .value_kind:     hidden_block_count_y
      - .offset:         48
        .size:           4
        .value_kind:     hidden_block_count_z
      - .offset:         52
        .size:           2
        .value_kind:     hidden_group_size_x
      - .offset:         54
        .size:           2
        .value_kind:     hidden_group_size_y
      - .offset:         56
        .size:           2
        .value_kind:     hidden_group_size_z
      - .offset:         58
        .size:           2
        .value_kind:     hidden_remainder_x
      - .offset:         60
        .size:           2
        .value_kind:     hidden_remainder_y
      - .offset:         62
        .size:           2
        .value_kind:     hidden_remainder_z
      - .offset:         80
        .size:           8
        .value_kind:     hidden_global_offset_x
      - .offset:         88
        .size:           8
        .value_kind:     hidden_global_offset_y
      - .offset:         96
        .size:           8
        .value_kind:     hidden_global_offset_z
      - .offset:         104
        .size:           2
        .value_kind:     hidden_grid_dims
    .group_segment_fixed_size: 1024
    .kernarg_segment_align: 8
    .kernarg_segment_size: 296
    .language:       OpenCL C
    .language_version:
      - 2
      - 0
    .max_flat_workgroup_size: 1024
    .name:           _ZN2at6native12_GLOBAL__N_124RowwiseMomentsCUDAKernelIddLb0EEEvlT0_PKT_PS3_S7_
    .private_segment_fixed_size: 0
    .sgpr_count:     24
    .sgpr_spill_count: 0
    .symbol:         _ZN2at6native12_GLOBAL__N_124RowwiseMomentsCUDAKernelIddLb0EEEvlT0_PKT_PS3_S7_.kd
    .uniform_work_group_size: 1
    .uses_dynamic_stack: false
    .vgpr_count:     30
    .vgpr_spill_count: 0
    .wavefront_size: 32
  - .args:
      - .offset:         0
        .size:           8
        .value_kind:     by_value
      - .address_space:  global
        .offset:         8
        .size:           8
        .value_kind:     global_buffer
      - .address_space:  global
        .offset:         16
        .size:           8
        .value_kind:     global_buffer
      - .address_space:  global
        .offset:         24
        .size:           8
        .value_kind:     global_buffer
      - .address_space:  global
        .offset:         32
        .size:           8
        .value_kind:     global_buffer
      - .address_space:  global
        .offset:         40
        .size:           8
        .value_kind:     global_buffer
      - .address_space:  global
        .offset:         48
        .size:           8
        .value_kind:     global_buffer
      - .offset:         56
        .size:           4
        .value_kind:     hidden_block_count_x
      - .offset:         60
        .size:           4
        .value_kind:     hidden_block_count_y
      - .offset:         64
        .size:           4
        .value_kind:     hidden_block_count_z
      - .offset:         68
        .size:           2
        .value_kind:     hidden_group_size_x
      - .offset:         70
        .size:           2
        .value_kind:     hidden_group_size_y
      - .offset:         72
        .size:           2
        .value_kind:     hidden_group_size_z
      - .offset:         74
        .size:           2
        .value_kind:     hidden_remainder_x
      - .offset:         76
        .size:           2
        .value_kind:     hidden_remainder_y
      - .offset:         78
        .size:           2
        .value_kind:     hidden_remainder_z
      - .offset:         96
        .size:           8
        .value_kind:     hidden_global_offset_x
      - .offset:         104
        .size:           8
        .value_kind:     hidden_global_offset_y
      - .offset:         112
        .size:           8
        .value_kind:     hidden_global_offset_z
      - .offset:         120
        .size:           2
        .value_kind:     hidden_grid_dims
    .group_segment_fixed_size: 0
    .kernarg_segment_align: 8
    .kernarg_segment_size: 312
    .language:       OpenCL C
    .language_version:
      - 2
      - 0
    .max_flat_workgroup_size: 1024
    .name:           _ZN2at6native12_GLOBAL__N_126LayerNormForwardCUDAKernelIddLb0EEEvlPKT_PKT0_S8_S5_S5_PS3_
    .private_segment_fixed_size: 0
    .sgpr_count:     26
    .sgpr_spill_count: 0
    .symbol:         _ZN2at6native12_GLOBAL__N_126LayerNormForwardCUDAKernelIddLb0EEEvlPKT_PKT0_S8_S5_S5_PS3_.kd
    .uniform_work_group_size: 1
    .uses_dynamic_stack: false
    .vgpr_count:     18
    .vgpr_spill_count: 0
    .wavefront_size: 32
  - .args:
      - .offset:         0
        .size:           4
        .value_kind:     by_value
      - .offset:         4
        .size:           4
        .value_kind:     by_value
      - .actual_access:  read_only
        .address_space:  global
        .offset:         8
        .size:           8
        .value_kind:     global_buffer
      - .address_space:  global
        .offset:         16
        .size:           8
        .value_kind:     global_buffer
      - .address_space:  global
        .offset:         24
        .size:           8
        .value_kind:     global_buffer
      - .address_space:  global
        .offset:         32
        .size:           8
        .value_kind:     global_buffer
      - .address_space:  global
        .offset:         40
        .size:           8
        .value_kind:     global_buffer
      - .address_space:  global
        .offset:         48
        .size:           8
        .value_kind:     global_buffer
      - .offset:         56
        .size:           4
        .value_kind:     hidden_block_count_x
      - .offset:         60
        .size:           4
        .value_kind:     hidden_block_count_y
      - .offset:         64
        .size:           4
        .value_kind:     hidden_block_count_z
      - .offset:         68
        .size:           2
        .value_kind:     hidden_group_size_x
      - .offset:         70
        .size:           2
        .value_kind:     hidden_group_size_y
      - .offset:         72
        .size:           2
        .value_kind:     hidden_group_size_z
      - .offset:         74
        .size:           2
        .value_kind:     hidden_remainder_x
      - .offset:         76
        .size:           2
        .value_kind:     hidden_remainder_y
      - .offset:         78
        .size:           2
        .value_kind:     hidden_remainder_z
      - .offset:         96
        .size:           8
        .value_kind:     hidden_global_offset_x
      - .offset:         104
        .size:           8
        .value_kind:     hidden_global_offset_y
      - .offset:         112
        .size:           8
        .value_kind:     hidden_global_offset_z
      - .offset:         120
        .size:           2
        .value_kind:     hidden_grid_dims
      - .offset:         176
        .size:           4
        .value_kind:     hidden_dynamic_lds_size
    .group_segment_fixed_size: 0
    .kernarg_segment_align: 8
    .kernarg_segment_size: 312
    .language:       OpenCL C
    .language_version:
      - 2
      - 0
    .max_flat_workgroup_size: 1024
    .name:           _ZN2at6native12_GLOBAL__N_128vectorized_layer_norm_kernelIffLb0EEEviT0_PKT_S6_S6_PS3_S7_PS4_
    .private_segment_fixed_size: 0
    .sgpr_count:     30
    .sgpr_spill_count: 0
    .symbol:         _ZN2at6native12_GLOBAL__N_128vectorized_layer_norm_kernelIffLb0EEEviT0_PKT_S6_S6_PS3_S7_PS4_.kd
    .uniform_work_group_size: 1
    .uses_dynamic_stack: false
    .vgpr_count:     31
    .vgpr_spill_count: 0
    .wavefront_size: 32
  - .args:
      - .offset:         0
        .size:           8
        .value_kind:     by_value
      - .offset:         8
        .size:           4
        .value_kind:     by_value
      - .address_space:  global
        .offset:         16
        .size:           8
        .value_kind:     global_buffer
      - .address_space:  global
        .offset:         24
        .size:           8
        .value_kind:     global_buffer
      - .address_space:  global
        .offset:         32
        .size:           8
        .value_kind:     global_buffer
      - .offset:         40
        .size:           4
        .value_kind:     hidden_block_count_x
      - .offset:         44
        .size:           4
        .value_kind:     hidden_block_count_y
      - .offset:         48
        .size:           4
        .value_kind:     hidden_block_count_z
      - .offset:         52
        .size:           2
        .value_kind:     hidden_group_size_x
      - .offset:         54
        .size:           2
        .value_kind:     hidden_group_size_y
      - .offset:         56
        .size:           2
        .value_kind:     hidden_group_size_z
      - .offset:         58
        .size:           2
        .value_kind:     hidden_remainder_x
      - .offset:         60
        .size:           2
        .value_kind:     hidden_remainder_y
      - .offset:         62
        .size:           2
        .value_kind:     hidden_remainder_z
      - .offset:         80
        .size:           8
        .value_kind:     hidden_global_offset_x
      - .offset:         88
        .size:           8
        .value_kind:     hidden_global_offset_y
      - .offset:         96
        .size:           8
        .value_kind:     hidden_global_offset_z
      - .offset:         104
        .size:           2
        .value_kind:     hidden_grid_dims
    .group_segment_fixed_size: 768
    .kernarg_segment_align: 8
    .kernarg_segment_size: 296
    .language:       OpenCL C
    .language_version:
      - 2
      - 0
    .max_flat_workgroup_size: 1024
    .name:           _ZN2at6native12_GLOBAL__N_124RowwiseMomentsCUDAKernelIffLb0EEEvlT0_PKT_PS3_S7_
    .private_segment_fixed_size: 0
    .sgpr_count:     23
    .sgpr_spill_count: 0
    .symbol:         _ZN2at6native12_GLOBAL__N_124RowwiseMomentsCUDAKernelIffLb0EEEvlT0_PKT_PS3_S7_.kd
    .uniform_work_group_size: 1
    .uses_dynamic_stack: false
    .vgpr_count:     19
    .vgpr_spill_count: 0
    .wavefront_size: 32
  - .args:
      - .offset:         0
        .size:           8
        .value_kind:     by_value
      - .address_space:  global
        .offset:         8
        .size:           8
        .value_kind:     global_buffer
      - .address_space:  global
        .offset:         16
        .size:           8
        .value_kind:     global_buffer
      - .address_space:  global
        .offset:         24
        .size:           8
        .value_kind:     global_buffer
      - .address_space:  global
        .offset:         32
        .size:           8
        .value_kind:     global_buffer
      - .address_space:  global
        .offset:         40
        .size:           8
        .value_kind:     global_buffer
      - .address_space:  global
        .offset:         48
        .size:           8
        .value_kind:     global_buffer
      - .offset:         56
        .size:           4
        .value_kind:     hidden_block_count_x
      - .offset:         60
        .size:           4
        .value_kind:     hidden_block_count_y
      - .offset:         64
        .size:           4
        .value_kind:     hidden_block_count_z
      - .offset:         68
        .size:           2
        .value_kind:     hidden_group_size_x
      - .offset:         70
        .size:           2
        .value_kind:     hidden_group_size_y
      - .offset:         72
        .size:           2
        .value_kind:     hidden_group_size_z
      - .offset:         74
        .size:           2
        .value_kind:     hidden_remainder_x
      - .offset:         76
        .size:           2
        .value_kind:     hidden_remainder_y
      - .offset:         78
        .size:           2
        .value_kind:     hidden_remainder_z
      - .offset:         96
        .size:           8
        .value_kind:     hidden_global_offset_x
      - .offset:         104
        .size:           8
        .value_kind:     hidden_global_offset_y
      - .offset:         112
        .size:           8
        .value_kind:     hidden_global_offset_z
      - .offset:         120
        .size:           2
        .value_kind:     hidden_grid_dims
    .group_segment_fixed_size: 0
    .kernarg_segment_align: 8
    .kernarg_segment_size: 312
    .language:       OpenCL C
    .language_version:
      - 2
      - 0
    .max_flat_workgroup_size: 1024
    .name:           _ZN2at6native12_GLOBAL__N_126LayerNormForwardCUDAKernelIffLb0EEEvlPKT_PKT0_S8_S5_S5_PS3_
    .private_segment_fixed_size: 0
    .sgpr_count:     26
    .sgpr_spill_count: 0
    .symbol:         _ZN2at6native12_GLOBAL__N_126LayerNormForwardCUDAKernelIffLb0EEEvlPKT_PKT0_S8_S5_S5_PS3_.kd
    .uniform_work_group_size: 1
    .uses_dynamic_stack: false
    .vgpr_count:     12
    .vgpr_spill_count: 0
    .wavefront_size: 32
  - .args:
      - .offset:         0
        .size:           4
        .value_kind:     by_value
      - .offset:         4
        .size:           4
        .value_kind:     by_value
      - .actual_access:  read_only
        .address_space:  global
        .offset:         8
        .size:           8
        .value_kind:     global_buffer
      - .address_space:  global
        .offset:         16
        .size:           8
        .value_kind:     global_buffer
      - .address_space:  global
        .offset:         24
        .size:           8
        .value_kind:     global_buffer
      - .address_space:  global
        .offset:         32
        .size:           8
        .value_kind:     global_buffer
      - .address_space:  global
        .offset:         40
        .size:           8
        .value_kind:     global_buffer
      - .address_space:  global
        .offset:         48
        .size:           8
        .value_kind:     global_buffer
      - .offset:         56
        .size:           4
        .value_kind:     hidden_block_count_x
      - .offset:         60
        .size:           4
        .value_kind:     hidden_block_count_y
      - .offset:         64
        .size:           4
        .value_kind:     hidden_block_count_z
      - .offset:         68
        .size:           2
        .value_kind:     hidden_group_size_x
      - .offset:         70
        .size:           2
        .value_kind:     hidden_group_size_y
      - .offset:         72
        .size:           2
        .value_kind:     hidden_group_size_z
      - .offset:         74
        .size:           2
        .value_kind:     hidden_remainder_x
      - .offset:         76
        .size:           2
        .value_kind:     hidden_remainder_y
      - .offset:         78
        .size:           2
        .value_kind:     hidden_remainder_z
      - .offset:         96
        .size:           8
        .value_kind:     hidden_global_offset_x
      - .offset:         104
        .size:           8
        .value_kind:     hidden_global_offset_y
      - .offset:         112
        .size:           8
        .value_kind:     hidden_global_offset_z
      - .offset:         120
        .size:           2
        .value_kind:     hidden_grid_dims
      - .offset:         176
        .size:           4
        .value_kind:     hidden_dynamic_lds_size
    .group_segment_fixed_size: 0
    .kernarg_segment_align: 8
    .kernarg_segment_size: 312
    .language:       OpenCL C
    .language_version:
      - 2
      - 0
    .max_flat_workgroup_size: 1024
    .name:           _ZN2at6native12_GLOBAL__N_128vectorized_layer_norm_kernelIN3c104HalfEfLb0EEEviT0_PKT_S8_S8_PS5_S9_PS6_
    .private_segment_fixed_size: 0
    .sgpr_count:     28
    .sgpr_spill_count: 0
    .symbol:         _ZN2at6native12_GLOBAL__N_128vectorized_layer_norm_kernelIN3c104HalfEfLb0EEEviT0_PKT_S8_S8_PS5_S9_PS6_.kd
    .uniform_work_group_size: 1
    .uses_dynamic_stack: false
    .vgpr_count:     29
    .vgpr_spill_count: 0
    .wavefront_size: 32
  - .args:
      - .offset:         0
        .size:           8
        .value_kind:     by_value
      - .offset:         8
        .size:           4
        .value_kind:     by_value
      - .address_space:  global
        .offset:         16
        .size:           8
        .value_kind:     global_buffer
      - .address_space:  global
        .offset:         24
        .size:           8
        .value_kind:     global_buffer
      - .address_space:  global
        .offset:         32
        .size:           8
        .value_kind:     global_buffer
      - .offset:         40
        .size:           4
        .value_kind:     hidden_block_count_x
      - .offset:         44
        .size:           4
        .value_kind:     hidden_block_count_y
      - .offset:         48
        .size:           4
        .value_kind:     hidden_block_count_z
      - .offset:         52
        .size:           2
        .value_kind:     hidden_group_size_x
      - .offset:         54
        .size:           2
        .value_kind:     hidden_group_size_y
      - .offset:         56
        .size:           2
        .value_kind:     hidden_group_size_z
      - .offset:         58
        .size:           2
        .value_kind:     hidden_remainder_x
      - .offset:         60
        .size:           2
        .value_kind:     hidden_remainder_y
      - .offset:         62
        .size:           2
        .value_kind:     hidden_remainder_z
      - .offset:         80
        .size:           8
        .value_kind:     hidden_global_offset_x
      - .offset:         88
        .size:           8
        .value_kind:     hidden_global_offset_y
      - .offset:         96
        .size:           8
        .value_kind:     hidden_global_offset_z
      - .offset:         104
        .size:           2
        .value_kind:     hidden_grid_dims
    .group_segment_fixed_size: 768
    .kernarg_segment_align: 8
    .kernarg_segment_size: 296
    .language:       OpenCL C
    .language_version:
      - 2
      - 0
    .max_flat_workgroup_size: 1024
    .name:           _ZN2at6native12_GLOBAL__N_124RowwiseMomentsCUDAKernelIN3c104HalfEfLb0EEEvlT0_PKT_PS5_S9_
    .private_segment_fixed_size: 0
    .sgpr_count:     23
    .sgpr_spill_count: 0
    .symbol:         _ZN2at6native12_GLOBAL__N_124RowwiseMomentsCUDAKernelIN3c104HalfEfLb0EEEvlT0_PKT_PS5_S9_.kd
    .uniform_work_group_size: 1
    .uses_dynamic_stack: false
    .vgpr_count:     19
    .vgpr_spill_count: 0
    .wavefront_size: 32
  - .args:
      - .offset:         0
        .size:           8
        .value_kind:     by_value
      - .address_space:  global
        .offset:         8
        .size:           8
        .value_kind:     global_buffer
      - .address_space:  global
        .offset:         16
        .size:           8
        .value_kind:     global_buffer
      - .address_space:  global
        .offset:         24
        .size:           8
        .value_kind:     global_buffer
      - .address_space:  global
        .offset:         32
        .size:           8
        .value_kind:     global_buffer
      - .address_space:  global
        .offset:         40
        .size:           8
        .value_kind:     global_buffer
      - .address_space:  global
        .offset:         48
        .size:           8
        .value_kind:     global_buffer
      - .offset:         56
        .size:           4
        .value_kind:     hidden_block_count_x
      - .offset:         60
        .size:           4
        .value_kind:     hidden_block_count_y
      - .offset:         64
        .size:           4
        .value_kind:     hidden_block_count_z
      - .offset:         68
        .size:           2
        .value_kind:     hidden_group_size_x
      - .offset:         70
        .size:           2
        .value_kind:     hidden_group_size_y
      - .offset:         72
        .size:           2
        .value_kind:     hidden_group_size_z
      - .offset:         74
        .size:           2
        .value_kind:     hidden_remainder_x
      - .offset:         76
        .size:           2
        .value_kind:     hidden_remainder_y
      - .offset:         78
        .size:           2
        .value_kind:     hidden_remainder_z
      - .offset:         96
        .size:           8
        .value_kind:     hidden_global_offset_x
      - .offset:         104
        .size:           8
        .value_kind:     hidden_global_offset_y
      - .offset:         112
        .size:           8
        .value_kind:     hidden_global_offset_z
      - .offset:         120
        .size:           2
        .value_kind:     hidden_grid_dims
    .group_segment_fixed_size: 0
    .kernarg_segment_align: 8
    .kernarg_segment_size: 312
    .language:       OpenCL C
    .language_version:
      - 2
      - 0
    .max_flat_workgroup_size: 1024
    .name:           _ZN2at6native12_GLOBAL__N_126LayerNormForwardCUDAKernelIN3c104HalfEfLb0EEEvlPKT_PKT0_SA_S7_S7_PS5_
    .private_segment_fixed_size: 0
    .sgpr_count:     23
    .sgpr_spill_count: 0
    .symbol:         _ZN2at6native12_GLOBAL__N_126LayerNormForwardCUDAKernelIN3c104HalfEfLb0EEEvlPKT_PKT0_SA_S7_S7_PS5_.kd
    .uniform_work_group_size: 1
    .uses_dynamic_stack: false
    .vgpr_count:     9
    .vgpr_spill_count: 0
    .wavefront_size: 32
  - .args:
      - .offset:         0
        .size:           4
        .value_kind:     by_value
      - .offset:         4
        .size:           4
        .value_kind:     by_value
      - .actual_access:  read_only
        .address_space:  global
        .offset:         8
        .size:           8
        .value_kind:     global_buffer
      - .address_space:  global
        .offset:         16
        .size:           8
        .value_kind:     global_buffer
      - .address_space:  global
        .offset:         24
        .size:           8
        .value_kind:     global_buffer
      - .address_space:  global
        .offset:         32
        .size:           8
        .value_kind:     global_buffer
      - .address_space:  global
        .offset:         40
        .size:           8
        .value_kind:     global_buffer
      - .address_space:  global
        .offset:         48
        .size:           8
        .value_kind:     global_buffer
      - .offset:         56
        .size:           4
        .value_kind:     hidden_block_count_x
      - .offset:         60
        .size:           4
        .value_kind:     hidden_block_count_y
      - .offset:         64
        .size:           4
        .value_kind:     hidden_block_count_z
      - .offset:         68
        .size:           2
        .value_kind:     hidden_group_size_x
      - .offset:         70
        .size:           2
        .value_kind:     hidden_group_size_y
      - .offset:         72
        .size:           2
        .value_kind:     hidden_group_size_z
      - .offset:         74
        .size:           2
        .value_kind:     hidden_remainder_x
      - .offset:         76
        .size:           2
        .value_kind:     hidden_remainder_y
      - .offset:         78
        .size:           2
        .value_kind:     hidden_remainder_z
      - .offset:         96
        .size:           8
        .value_kind:     hidden_global_offset_x
      - .offset:         104
        .size:           8
        .value_kind:     hidden_global_offset_y
      - .offset:         112
        .size:           8
        .value_kind:     hidden_global_offset_z
      - .offset:         120
        .size:           2
        .value_kind:     hidden_grid_dims
      - .offset:         176
        .size:           4
        .value_kind:     hidden_dynamic_lds_size
    .group_segment_fixed_size: 0
    .kernarg_segment_align: 8
    .kernarg_segment_size: 312
    .language:       OpenCL C
    .language_version:
      - 2
      - 0
    .max_flat_workgroup_size: 1024
    .name:           _ZN2at6native12_GLOBAL__N_128vectorized_layer_norm_kernelIN3c108BFloat16EfLb0EEEviT0_PKT_S8_S8_PS5_S9_PS6_
    .private_segment_fixed_size: 0
    .sgpr_count:     28
    .sgpr_spill_count: 0
    .symbol:         _ZN2at6native12_GLOBAL__N_128vectorized_layer_norm_kernelIN3c108BFloat16EfLb0EEEviT0_PKT_S8_S8_PS5_S9_PS6_.kd
    .uniform_work_group_size: 1
    .uses_dynamic_stack: false
    .vgpr_count:     29
    .vgpr_spill_count: 0
    .wavefront_size: 32
  - .args:
      - .offset:         0
        .size:           8
        .value_kind:     by_value
      - .offset:         8
        .size:           4
        .value_kind:     by_value
      - .address_space:  global
        .offset:         16
        .size:           8
        .value_kind:     global_buffer
      - .address_space:  global
        .offset:         24
        .size:           8
        .value_kind:     global_buffer
      - .address_space:  global
        .offset:         32
        .size:           8
        .value_kind:     global_buffer
      - .offset:         40
        .size:           4
        .value_kind:     hidden_block_count_x
      - .offset:         44
        .size:           4
        .value_kind:     hidden_block_count_y
      - .offset:         48
        .size:           4
        .value_kind:     hidden_block_count_z
      - .offset:         52
        .size:           2
        .value_kind:     hidden_group_size_x
      - .offset:         54
        .size:           2
        .value_kind:     hidden_group_size_y
      - .offset:         56
        .size:           2
        .value_kind:     hidden_group_size_z
      - .offset:         58
        .size:           2
        .value_kind:     hidden_remainder_x
      - .offset:         60
        .size:           2
        .value_kind:     hidden_remainder_y
      - .offset:         62
        .size:           2
        .value_kind:     hidden_remainder_z
      - .offset:         80
        .size:           8
        .value_kind:     hidden_global_offset_x
      - .offset:         88
        .size:           8
        .value_kind:     hidden_global_offset_y
      - .offset:         96
        .size:           8
        .value_kind:     hidden_global_offset_z
      - .offset:         104
        .size:           2
        .value_kind:     hidden_grid_dims
    .group_segment_fixed_size: 768
    .kernarg_segment_align: 8
    .kernarg_segment_size: 296
    .language:       OpenCL C
    .language_version:
      - 2
      - 0
    .max_flat_workgroup_size: 1024
    .name:           _ZN2at6native12_GLOBAL__N_124RowwiseMomentsCUDAKernelIN3c108BFloat16EfLb0EEEvlT0_PKT_PS5_S9_
    .private_segment_fixed_size: 0
    .sgpr_count:     23
    .sgpr_spill_count: 0
    .symbol:         _ZN2at6native12_GLOBAL__N_124RowwiseMomentsCUDAKernelIN3c108BFloat16EfLb0EEEvlT0_PKT_PS5_S9_.kd
    .uniform_work_group_size: 1
    .uses_dynamic_stack: false
    .vgpr_count:     19
    .vgpr_spill_count: 0
    .wavefront_size: 32
  - .args:
      - .offset:         0
        .size:           8
        .value_kind:     by_value
      - .address_space:  global
        .offset:         8
        .size:           8
        .value_kind:     global_buffer
      - .address_space:  global
        .offset:         16
        .size:           8
        .value_kind:     global_buffer
      - .address_space:  global
        .offset:         24
        .size:           8
        .value_kind:     global_buffer
      - .address_space:  global
        .offset:         32
        .size:           8
        .value_kind:     global_buffer
      - .address_space:  global
        .offset:         40
        .size:           8
        .value_kind:     global_buffer
      - .address_space:  global
        .offset:         48
        .size:           8
        .value_kind:     global_buffer
      - .offset:         56
        .size:           4
        .value_kind:     hidden_block_count_x
      - .offset:         60
        .size:           4
        .value_kind:     hidden_block_count_y
      - .offset:         64
        .size:           4
        .value_kind:     hidden_block_count_z
      - .offset:         68
        .size:           2
        .value_kind:     hidden_group_size_x
      - .offset:         70
        .size:           2
        .value_kind:     hidden_group_size_y
      - .offset:         72
        .size:           2
        .value_kind:     hidden_group_size_z
      - .offset:         74
        .size:           2
        .value_kind:     hidden_remainder_x
      - .offset:         76
        .size:           2
        .value_kind:     hidden_remainder_y
      - .offset:         78
        .size:           2
        .value_kind:     hidden_remainder_z
      - .offset:         96
        .size:           8
        .value_kind:     hidden_global_offset_x
      - .offset:         104
        .size:           8
        .value_kind:     hidden_global_offset_y
      - .offset:         112
        .size:           8
        .value_kind:     hidden_global_offset_z
      - .offset:         120
        .size:           2
        .value_kind:     hidden_grid_dims
    .group_segment_fixed_size: 0
    .kernarg_segment_align: 8
    .kernarg_segment_size: 312
    .language:       OpenCL C
    .language_version:
      - 2
      - 0
    .max_flat_workgroup_size: 1024
    .name:           _ZN2at6native12_GLOBAL__N_126LayerNormForwardCUDAKernelIN3c108BFloat16EfLb0EEEvlPKT_PKT0_SA_S7_S7_PS5_
    .private_segment_fixed_size: 0
    .sgpr_count:     23
    .sgpr_spill_count: 0
    .symbol:         _ZN2at6native12_GLOBAL__N_126LayerNormForwardCUDAKernelIN3c108BFloat16EfLb0EEEvlPKT_PKT0_SA_S7_S7_PS5_.kd
    .uniform_work_group_size: 1
    .uses_dynamic_stack: false
    .vgpr_count:     8
    .vgpr_spill_count: 0
    .wavefront_size: 32
  - .args:
      - .offset:         0
        .size:           4
        .value_kind:     by_value
      - .offset:         8
        .size:           8
        .value_kind:     by_value
      - .actual_access:  read_only
        .address_space:  global
        .offset:         16
        .size:           8
        .value_kind:     global_buffer
      - .address_space:  global
        .offset:         24
        .size:           8
        .value_kind:     global_buffer
      - .address_space:  global
        .offset:         32
        .size:           8
        .value_kind:     global_buffer
      - .address_space:  global
        .offset:         40
        .size:           8
        .value_kind:     global_buffer
      - .address_space:  global
        .offset:         48
        .size:           8
        .value_kind:     global_buffer
      - .address_space:  global
        .offset:         56
        .size:           8
        .value_kind:     global_buffer
    .group_segment_fixed_size: 0
    .kernarg_segment_align: 8
    .kernarg_segment_size: 64
    .language:       OpenCL C
    .language_version:
      - 2
      - 0
    .max_flat_workgroup_size: 1024
    .name:           _ZN2at6native12_GLOBAL__N_128vectorized_layer_norm_kernelIddLb1EEEviT0_PKT_S6_S6_PS3_S7_PS4_
    .private_segment_fixed_size: 0
    .sgpr_count:     0
    .sgpr_spill_count: 0
    .symbol:         _ZN2at6native12_GLOBAL__N_128vectorized_layer_norm_kernelIddLb1EEEviT0_PKT_S6_S6_PS3_S7_PS4_.kd
    .uniform_work_group_size: 1
    .uses_dynamic_stack: false
    .vgpr_count:     0
    .vgpr_spill_count: 0
    .wavefront_size: 32
  - .args:
      - .offset:         0
        .size:           8
        .value_kind:     by_value
      - .offset:         8
        .size:           8
        .value_kind:     by_value
      - .address_space:  global
        .offset:         16
        .size:           8
        .value_kind:     global_buffer
      - .address_space:  global
        .offset:         24
        .size:           8
        .value_kind:     global_buffer
      - .address_space:  global
        .offset:         32
        .size:           8
        .value_kind:     global_buffer
      - .offset:         40
        .size:           4
        .value_kind:     hidden_block_count_x
      - .offset:         44
        .size:           4
        .value_kind:     hidden_block_count_y
      - .offset:         48
        .size:           4
        .value_kind:     hidden_block_count_z
      - .offset:         52
        .size:           2
        .value_kind:     hidden_group_size_x
      - .offset:         54
        .size:           2
        .value_kind:     hidden_group_size_y
      - .offset:         56
        .size:           2
        .value_kind:     hidden_group_size_z
      - .offset:         58
        .size:           2
        .value_kind:     hidden_remainder_x
      - .offset:         60
        .size:           2
        .value_kind:     hidden_remainder_y
      - .offset:         62
        .size:           2
        .value_kind:     hidden_remainder_z
      - .offset:         80
        .size:           8
        .value_kind:     hidden_global_offset_x
      - .offset:         88
        .size:           8
        .value_kind:     hidden_global_offset_y
      - .offset:         96
        .size:           8
        .value_kind:     hidden_global_offset_z
      - .offset:         104
        .size:           2
        .value_kind:     hidden_grid_dims
    .group_segment_fixed_size: 1024
    .kernarg_segment_align: 8
    .kernarg_segment_size: 296
    .language:       OpenCL C
    .language_version:
      - 2
      - 0
    .max_flat_workgroup_size: 1024
    .name:           _ZN2at6native12_GLOBAL__N_124RowwiseMomentsCUDAKernelIddLb1EEEvlT0_PKT_PS3_S7_
    .private_segment_fixed_size: 0
    .sgpr_count:     20
    .sgpr_spill_count: 0
    .symbol:         _ZN2at6native12_GLOBAL__N_124RowwiseMomentsCUDAKernelIddLb1EEEvlT0_PKT_PS3_S7_.kd
    .uniform_work_group_size: 1
    .uses_dynamic_stack: false
    .vgpr_count:     30
    .vgpr_spill_count: 0
    .wavefront_size: 32
  - .args:
      - .offset:         0
        .size:           8
        .value_kind:     by_value
      - .address_space:  global
        .offset:         8
        .size:           8
        .value_kind:     global_buffer
      - .address_space:  global
        .offset:         16
        .size:           8
        .value_kind:     global_buffer
      - .address_space:  global
        .offset:         24
        .size:           8
        .value_kind:     global_buffer
      - .address_space:  global
        .offset:         32
        .size:           8
        .value_kind:     global_buffer
      - .address_space:  global
        .offset:         40
        .size:           8
        .value_kind:     global_buffer
      - .address_space:  global
        .offset:         48
        .size:           8
        .value_kind:     global_buffer
      - .offset:         56
        .size:           4
        .value_kind:     hidden_block_count_x
      - .offset:         60
        .size:           4
        .value_kind:     hidden_block_count_y
      - .offset:         64
        .size:           4
        .value_kind:     hidden_block_count_z
      - .offset:         68
        .size:           2
        .value_kind:     hidden_group_size_x
      - .offset:         70
        .size:           2
        .value_kind:     hidden_group_size_y
      - .offset:         72
        .size:           2
        .value_kind:     hidden_group_size_z
      - .offset:         74
        .size:           2
        .value_kind:     hidden_remainder_x
      - .offset:         76
        .size:           2
        .value_kind:     hidden_remainder_y
      - .offset:         78
        .size:           2
        .value_kind:     hidden_remainder_z
      - .offset:         96
        .size:           8
        .value_kind:     hidden_global_offset_x
      - .offset:         104
        .size:           8
        .value_kind:     hidden_global_offset_y
      - .offset:         112
        .size:           8
        .value_kind:     hidden_global_offset_z
      - .offset:         120
        .size:           2
        .value_kind:     hidden_grid_dims
    .group_segment_fixed_size: 0
    .kernarg_segment_align: 8
    .kernarg_segment_size: 312
    .language:       OpenCL C
    .language_version:
      - 2
      - 0
    .max_flat_workgroup_size: 1024
    .name:           _ZN2at6native12_GLOBAL__N_126LayerNormForwardCUDAKernelIddLb1EEEvlPKT_PKT0_S8_S5_S5_PS3_
    .private_segment_fixed_size: 0
    .sgpr_count:     22
    .sgpr_spill_count: 0
    .symbol:         _ZN2at6native12_GLOBAL__N_126LayerNormForwardCUDAKernelIddLb1EEEvlPKT_PKT0_S8_S5_S5_PS3_.kd
    .uniform_work_group_size: 1
    .uses_dynamic_stack: false
    .vgpr_count:     14
    .vgpr_spill_count: 0
    .wavefront_size: 32
  - .args:
      - .offset:         0
        .size:           4
        .value_kind:     by_value
      - .offset:         4
        .size:           4
        .value_kind:     by_value
      - .actual_access:  read_only
        .address_space:  global
        .offset:         8
        .size:           8
        .value_kind:     global_buffer
      - .address_space:  global
        .offset:         16
        .size:           8
        .value_kind:     global_buffer
      - .address_space:  global
        .offset:         24
        .size:           8
        .value_kind:     global_buffer
      - .address_space:  global
        .offset:         32
        .size:           8
        .value_kind:     global_buffer
      - .address_space:  global
        .offset:         40
        .size:           8
        .value_kind:     global_buffer
      - .address_space:  global
        .offset:         48
        .size:           8
        .value_kind:     global_buffer
      - .offset:         56
        .size:           4
        .value_kind:     hidden_block_count_x
      - .offset:         60
        .size:           4
        .value_kind:     hidden_block_count_y
      - .offset:         64
        .size:           4
        .value_kind:     hidden_block_count_z
      - .offset:         68
        .size:           2
        .value_kind:     hidden_group_size_x
      - .offset:         70
        .size:           2
        .value_kind:     hidden_group_size_y
      - .offset:         72
        .size:           2
        .value_kind:     hidden_group_size_z
      - .offset:         74
        .size:           2
        .value_kind:     hidden_remainder_x
      - .offset:         76
        .size:           2
        .value_kind:     hidden_remainder_y
      - .offset:         78
        .size:           2
        .value_kind:     hidden_remainder_z
      - .offset:         96
        .size:           8
        .value_kind:     hidden_global_offset_x
      - .offset:         104
        .size:           8
        .value_kind:     hidden_global_offset_y
      - .offset:         112
        .size:           8
        .value_kind:     hidden_global_offset_z
      - .offset:         120
        .size:           2
        .value_kind:     hidden_grid_dims
      - .offset:         176
        .size:           4
        .value_kind:     hidden_dynamic_lds_size
    .group_segment_fixed_size: 0
    .kernarg_segment_align: 8
    .kernarg_segment_size: 312
    .language:       OpenCL C
    .language_version:
      - 2
      - 0
    .max_flat_workgroup_size: 1024
    .name:           _ZN2at6native12_GLOBAL__N_128vectorized_layer_norm_kernelIffLb1EEEviT0_PKT_S6_S6_PS3_S7_PS4_
    .private_segment_fixed_size: 0
    .sgpr_count:     24
    .sgpr_spill_count: 0
    .symbol:         _ZN2at6native12_GLOBAL__N_128vectorized_layer_norm_kernelIffLb1EEEviT0_PKT_S6_S6_PS3_S7_PS4_.kd
    .uniform_work_group_size: 1
    .uses_dynamic_stack: false
    .vgpr_count:     22
    .vgpr_spill_count: 0
    .wavefront_size: 32
  - .args:
      - .offset:         0
        .size:           8
        .value_kind:     by_value
      - .offset:         8
        .size:           4
        .value_kind:     by_value
      - .address_space:  global
        .offset:         16
        .size:           8
        .value_kind:     global_buffer
      - .address_space:  global
        .offset:         24
        .size:           8
        .value_kind:     global_buffer
      - .address_space:  global
        .offset:         32
        .size:           8
        .value_kind:     global_buffer
      - .offset:         40
        .size:           4
        .value_kind:     hidden_block_count_x
      - .offset:         44
        .size:           4
        .value_kind:     hidden_block_count_y
      - .offset:         48
        .size:           4
        .value_kind:     hidden_block_count_z
      - .offset:         52
        .size:           2
        .value_kind:     hidden_group_size_x
      - .offset:         54
        .size:           2
        .value_kind:     hidden_group_size_y
      - .offset:         56
        .size:           2
        .value_kind:     hidden_group_size_z
      - .offset:         58
        .size:           2
        .value_kind:     hidden_remainder_x
      - .offset:         60
        .size:           2
        .value_kind:     hidden_remainder_y
      - .offset:         62
        .size:           2
        .value_kind:     hidden_remainder_z
      - .offset:         80
        .size:           8
        .value_kind:     hidden_global_offset_x
      - .offset:         88
        .size:           8
        .value_kind:     hidden_global_offset_y
      - .offset:         96
        .size:           8
        .value_kind:     hidden_global_offset_z
      - .offset:         104
        .size:           2
        .value_kind:     hidden_grid_dims
    .group_segment_fixed_size: 768
    .kernarg_segment_align: 8
    .kernarg_segment_size: 296
    .language:       OpenCL C
    .language_version:
      - 2
      - 0
    .max_flat_workgroup_size: 1024
    .name:           _ZN2at6native12_GLOBAL__N_124RowwiseMomentsCUDAKernelIffLb1EEEvlT0_PKT_PS3_S7_
    .private_segment_fixed_size: 0
    .sgpr_count:     19
    .sgpr_spill_count: 0
    .symbol:         _ZN2at6native12_GLOBAL__N_124RowwiseMomentsCUDAKernelIffLb1EEEvlT0_PKT_PS3_S7_.kd
    .uniform_work_group_size: 1
    .uses_dynamic_stack: false
    .vgpr_count:     19
    .vgpr_spill_count: 0
    .wavefront_size: 32
  - .args:
      - .offset:         0
        .size:           8
        .value_kind:     by_value
      - .address_space:  global
        .offset:         8
        .size:           8
        .value_kind:     global_buffer
      - .address_space:  global
        .offset:         16
        .size:           8
        .value_kind:     global_buffer
      - .address_space:  global
        .offset:         24
        .size:           8
        .value_kind:     global_buffer
      - .address_space:  global
        .offset:         32
        .size:           8
        .value_kind:     global_buffer
      - .address_space:  global
        .offset:         40
        .size:           8
        .value_kind:     global_buffer
      - .address_space:  global
        .offset:         48
        .size:           8
        .value_kind:     global_buffer
      - .offset:         56
        .size:           4
        .value_kind:     hidden_block_count_x
      - .offset:         60
        .size:           4
        .value_kind:     hidden_block_count_y
      - .offset:         64
        .size:           4
        .value_kind:     hidden_block_count_z
      - .offset:         68
        .size:           2
        .value_kind:     hidden_group_size_x
      - .offset:         70
        .size:           2
        .value_kind:     hidden_group_size_y
      - .offset:         72
        .size:           2
        .value_kind:     hidden_group_size_z
      - .offset:         74
        .size:           2
        .value_kind:     hidden_remainder_x
      - .offset:         76
        .size:           2
        .value_kind:     hidden_remainder_y
      - .offset:         78
        .size:           2
        .value_kind:     hidden_remainder_z
      - .offset:         96
        .size:           8
        .value_kind:     hidden_global_offset_x
      - .offset:         104
        .size:           8
        .value_kind:     hidden_global_offset_y
      - .offset:         112
        .size:           8
        .value_kind:     hidden_global_offset_z
      - .offset:         120
        .size:           2
        .value_kind:     hidden_grid_dims
    .group_segment_fixed_size: 0
    .kernarg_segment_align: 8
    .kernarg_segment_size: 312
    .language:       OpenCL C
    .language_version:
      - 2
      - 0
    .max_flat_workgroup_size: 1024
    .name:           _ZN2at6native12_GLOBAL__N_126LayerNormForwardCUDAKernelIffLb1EEEvlPKT_PKT0_S8_S5_S5_PS3_
    .private_segment_fixed_size: 0
    .sgpr_count:     22
    .sgpr_spill_count: 0
    .symbol:         _ZN2at6native12_GLOBAL__N_126LayerNormForwardCUDAKernelIffLb1EEEvlPKT_PKT0_S8_S5_S5_PS3_.kd
    .uniform_work_group_size: 1
    .uses_dynamic_stack: false
    .vgpr_count:     10
    .vgpr_spill_count: 0
    .wavefront_size: 32
  - .args:
      - .offset:         0
        .size:           4
        .value_kind:     by_value
      - .offset:         4
        .size:           4
        .value_kind:     by_value
      - .actual_access:  read_only
        .address_space:  global
        .offset:         8
        .size:           8
        .value_kind:     global_buffer
      - .address_space:  global
        .offset:         16
        .size:           8
        .value_kind:     global_buffer
      - .address_space:  global
        .offset:         24
        .size:           8
        .value_kind:     global_buffer
      - .address_space:  global
        .offset:         32
        .size:           8
        .value_kind:     global_buffer
      - .address_space:  global
        .offset:         40
        .size:           8
        .value_kind:     global_buffer
      - .address_space:  global
        .offset:         48
        .size:           8
        .value_kind:     global_buffer
      - .offset:         56
        .size:           4
        .value_kind:     hidden_block_count_x
      - .offset:         60
        .size:           4
        .value_kind:     hidden_block_count_y
      - .offset:         64
        .size:           4
        .value_kind:     hidden_block_count_z
      - .offset:         68
        .size:           2
        .value_kind:     hidden_group_size_x
      - .offset:         70
        .size:           2
        .value_kind:     hidden_group_size_y
      - .offset:         72
        .size:           2
        .value_kind:     hidden_group_size_z
      - .offset:         74
        .size:           2
        .value_kind:     hidden_remainder_x
      - .offset:         76
        .size:           2
        .value_kind:     hidden_remainder_y
      - .offset:         78
        .size:           2
        .value_kind:     hidden_remainder_z
      - .offset:         96
        .size:           8
        .value_kind:     hidden_global_offset_x
      - .offset:         104
        .size:           8
        .value_kind:     hidden_global_offset_y
      - .offset:         112
        .size:           8
        .value_kind:     hidden_global_offset_z
      - .offset:         120
        .size:           2
        .value_kind:     hidden_grid_dims
      - .offset:         176
        .size:           4
        .value_kind:     hidden_dynamic_lds_size
    .group_segment_fixed_size: 0
    .kernarg_segment_align: 8
    .kernarg_segment_size: 312
    .language:       OpenCL C
    .language_version:
      - 2
      - 0
    .max_flat_workgroup_size: 1024
    .name:           _ZN2at6native12_GLOBAL__N_128vectorized_layer_norm_kernelIN3c104HalfEfLb1EEEviT0_PKT_S8_S8_PS5_S9_PS6_
    .private_segment_fixed_size: 0
    .sgpr_count:     24
    .sgpr_spill_count: 0
    .symbol:         _ZN2at6native12_GLOBAL__N_128vectorized_layer_norm_kernelIN3c104HalfEfLb1EEEviT0_PKT_S8_S8_PS5_S9_PS6_.kd
    .uniform_work_group_size: 1
    .uses_dynamic_stack: false
    .vgpr_count:     25
    .vgpr_spill_count: 0
    .wavefront_size: 32
  - .args:
      - .offset:         0
        .size:           8
        .value_kind:     by_value
      - .offset:         8
        .size:           4
        .value_kind:     by_value
      - .address_space:  global
        .offset:         16
        .size:           8
        .value_kind:     global_buffer
      - .address_space:  global
        .offset:         24
        .size:           8
        .value_kind:     global_buffer
      - .address_space:  global
        .offset:         32
        .size:           8
        .value_kind:     global_buffer
      - .offset:         40
        .size:           4
        .value_kind:     hidden_block_count_x
      - .offset:         44
        .size:           4
        .value_kind:     hidden_block_count_y
      - .offset:         48
        .size:           4
        .value_kind:     hidden_block_count_z
      - .offset:         52
        .size:           2
        .value_kind:     hidden_group_size_x
      - .offset:         54
        .size:           2
        .value_kind:     hidden_group_size_y
      - .offset:         56
        .size:           2
        .value_kind:     hidden_group_size_z
      - .offset:         58
        .size:           2
        .value_kind:     hidden_remainder_x
      - .offset:         60
        .size:           2
        .value_kind:     hidden_remainder_y
      - .offset:         62
        .size:           2
        .value_kind:     hidden_remainder_z
      - .offset:         80
        .size:           8
        .value_kind:     hidden_global_offset_x
      - .offset:         88
        .size:           8
        .value_kind:     hidden_global_offset_y
      - .offset:         96
        .size:           8
        .value_kind:     hidden_global_offset_z
      - .offset:         104
        .size:           2
        .value_kind:     hidden_grid_dims
    .group_segment_fixed_size: 768
    .kernarg_segment_align: 8
    .kernarg_segment_size: 296
    .language:       OpenCL C
    .language_version:
      - 2
      - 0
    .max_flat_workgroup_size: 1024
    .name:           _ZN2at6native12_GLOBAL__N_124RowwiseMomentsCUDAKernelIN3c104HalfEfLb1EEEvlT0_PKT_PS5_S9_
    .private_segment_fixed_size: 0
    .sgpr_count:     19
    .sgpr_spill_count: 0
    .symbol:         _ZN2at6native12_GLOBAL__N_124RowwiseMomentsCUDAKernelIN3c104HalfEfLb1EEEvlT0_PKT_PS5_S9_.kd
    .uniform_work_group_size: 1
    .uses_dynamic_stack: false
    .vgpr_count:     19
    .vgpr_spill_count: 0
    .wavefront_size: 32
  - .args:
      - .offset:         0
        .size:           8
        .value_kind:     by_value
      - .address_space:  global
        .offset:         8
        .size:           8
        .value_kind:     global_buffer
      - .address_space:  global
        .offset:         16
        .size:           8
        .value_kind:     global_buffer
      - .address_space:  global
        .offset:         24
        .size:           8
        .value_kind:     global_buffer
      - .address_space:  global
        .offset:         32
        .size:           8
        .value_kind:     global_buffer
      - .address_space:  global
        .offset:         40
        .size:           8
        .value_kind:     global_buffer
      - .address_space:  global
        .offset:         48
        .size:           8
        .value_kind:     global_buffer
      - .offset:         56
        .size:           4
        .value_kind:     hidden_block_count_x
      - .offset:         60
        .size:           4
        .value_kind:     hidden_block_count_y
      - .offset:         64
        .size:           4
        .value_kind:     hidden_block_count_z
      - .offset:         68
        .size:           2
        .value_kind:     hidden_group_size_x
      - .offset:         70
        .size:           2
        .value_kind:     hidden_group_size_y
      - .offset:         72
        .size:           2
        .value_kind:     hidden_group_size_z
      - .offset:         74
        .size:           2
        .value_kind:     hidden_remainder_x
      - .offset:         76
        .size:           2
        .value_kind:     hidden_remainder_y
      - .offset:         78
        .size:           2
        .value_kind:     hidden_remainder_z
      - .offset:         96
        .size:           8
        .value_kind:     hidden_global_offset_x
      - .offset:         104
        .size:           8
        .value_kind:     hidden_global_offset_y
      - .offset:         112
        .size:           8
        .value_kind:     hidden_global_offset_z
      - .offset:         120
        .size:           2
        .value_kind:     hidden_grid_dims
    .group_segment_fixed_size: 0
    .kernarg_segment_align: 8
    .kernarg_segment_size: 312
    .language:       OpenCL C
    .language_version:
      - 2
      - 0
    .max_flat_workgroup_size: 1024
    .name:           _ZN2at6native12_GLOBAL__N_126LayerNormForwardCUDAKernelIN3c104HalfEfLb1EEEvlPKT_PKT0_SA_S7_S7_PS5_
    .private_segment_fixed_size: 0
    .sgpr_count:     18
    .sgpr_spill_count: 0
    .symbol:         _ZN2at6native12_GLOBAL__N_126LayerNormForwardCUDAKernelIN3c104HalfEfLb1EEEvlPKT_PKT0_SA_S7_S7_PS5_.kd
    .uniform_work_group_size: 1
    .uses_dynamic_stack: false
    .vgpr_count:     8
    .vgpr_spill_count: 0
    .wavefront_size: 32
  - .args:
      - .offset:         0
        .size:           4
        .value_kind:     by_value
      - .offset:         4
        .size:           4
        .value_kind:     by_value
      - .actual_access:  read_only
        .address_space:  global
        .offset:         8
        .size:           8
        .value_kind:     global_buffer
      - .address_space:  global
        .offset:         16
        .size:           8
        .value_kind:     global_buffer
      - .address_space:  global
        .offset:         24
        .size:           8
        .value_kind:     global_buffer
      - .address_space:  global
        .offset:         32
        .size:           8
        .value_kind:     global_buffer
      - .address_space:  global
        .offset:         40
        .size:           8
        .value_kind:     global_buffer
      - .address_space:  global
        .offset:         48
        .size:           8
        .value_kind:     global_buffer
      - .offset:         56
        .size:           4
        .value_kind:     hidden_block_count_x
      - .offset:         60
        .size:           4
        .value_kind:     hidden_block_count_y
      - .offset:         64
        .size:           4
        .value_kind:     hidden_block_count_z
      - .offset:         68
        .size:           2
        .value_kind:     hidden_group_size_x
      - .offset:         70
        .size:           2
        .value_kind:     hidden_group_size_y
      - .offset:         72
        .size:           2
        .value_kind:     hidden_group_size_z
      - .offset:         74
        .size:           2
        .value_kind:     hidden_remainder_x
      - .offset:         76
        .size:           2
        .value_kind:     hidden_remainder_y
      - .offset:         78
        .size:           2
        .value_kind:     hidden_remainder_z
      - .offset:         96
        .size:           8
        .value_kind:     hidden_global_offset_x
      - .offset:         104
        .size:           8
        .value_kind:     hidden_global_offset_y
      - .offset:         112
        .size:           8
        .value_kind:     hidden_global_offset_z
      - .offset:         120
        .size:           2
        .value_kind:     hidden_grid_dims
      - .offset:         176
        .size:           4
        .value_kind:     hidden_dynamic_lds_size
    .group_segment_fixed_size: 0
    .kernarg_segment_align: 8
    .kernarg_segment_size: 312
    .language:       OpenCL C
    .language_version:
      - 2
      - 0
    .max_flat_workgroup_size: 1024
    .name:           _ZN2at6native12_GLOBAL__N_128vectorized_layer_norm_kernelIN3c108BFloat16EfLb1EEEviT0_PKT_S8_S8_PS5_S9_PS6_
    .private_segment_fixed_size: 0
    .sgpr_count:     24
    .sgpr_spill_count: 0
    .symbol:         _ZN2at6native12_GLOBAL__N_128vectorized_layer_norm_kernelIN3c108BFloat16EfLb1EEEviT0_PKT_S8_S8_PS5_S9_PS6_.kd
    .uniform_work_group_size: 1
    .uses_dynamic_stack: false
    .vgpr_count:     22
    .vgpr_spill_count: 0
    .wavefront_size: 32
  - .args:
      - .offset:         0
        .size:           8
        .value_kind:     by_value
      - .offset:         8
        .size:           4
        .value_kind:     by_value
      - .address_space:  global
        .offset:         16
        .size:           8
        .value_kind:     global_buffer
      - .address_space:  global
        .offset:         24
        .size:           8
        .value_kind:     global_buffer
      - .address_space:  global
        .offset:         32
        .size:           8
        .value_kind:     global_buffer
      - .offset:         40
        .size:           4
        .value_kind:     hidden_block_count_x
      - .offset:         44
        .size:           4
        .value_kind:     hidden_block_count_y
      - .offset:         48
        .size:           4
        .value_kind:     hidden_block_count_z
      - .offset:         52
        .size:           2
        .value_kind:     hidden_group_size_x
      - .offset:         54
        .size:           2
        .value_kind:     hidden_group_size_y
      - .offset:         56
        .size:           2
        .value_kind:     hidden_group_size_z
      - .offset:         58
        .size:           2
        .value_kind:     hidden_remainder_x
      - .offset:         60
        .size:           2
        .value_kind:     hidden_remainder_y
      - .offset:         62
        .size:           2
        .value_kind:     hidden_remainder_z
      - .offset:         80
        .size:           8
        .value_kind:     hidden_global_offset_x
      - .offset:         88
        .size:           8
        .value_kind:     hidden_global_offset_y
      - .offset:         96
        .size:           8
        .value_kind:     hidden_global_offset_z
      - .offset:         104
        .size:           2
        .value_kind:     hidden_grid_dims
    .group_segment_fixed_size: 768
    .kernarg_segment_align: 8
    .kernarg_segment_size: 296
    .language:       OpenCL C
    .language_version:
      - 2
      - 0
    .max_flat_workgroup_size: 1024
    .name:           _ZN2at6native12_GLOBAL__N_124RowwiseMomentsCUDAKernelIN3c108BFloat16EfLb1EEEvlT0_PKT_PS5_S9_
    .private_segment_fixed_size: 0
    .sgpr_count:     19
    .sgpr_spill_count: 0
    .symbol:         _ZN2at6native12_GLOBAL__N_124RowwiseMomentsCUDAKernelIN3c108BFloat16EfLb1EEEvlT0_PKT_PS5_S9_.kd
    .uniform_work_group_size: 1
    .uses_dynamic_stack: false
    .vgpr_count:     19
    .vgpr_spill_count: 0
    .wavefront_size: 32
  - .args:
      - .offset:         0
        .size:           8
        .value_kind:     by_value
      - .address_space:  global
        .offset:         8
        .size:           8
        .value_kind:     global_buffer
      - .address_space:  global
        .offset:         16
        .size:           8
        .value_kind:     global_buffer
      - .address_space:  global
        .offset:         24
        .size:           8
        .value_kind:     global_buffer
      - .address_space:  global
        .offset:         32
        .size:           8
        .value_kind:     global_buffer
      - .address_space:  global
        .offset:         40
        .size:           8
        .value_kind:     global_buffer
      - .address_space:  global
        .offset:         48
        .size:           8
        .value_kind:     global_buffer
      - .offset:         56
        .size:           4
        .value_kind:     hidden_block_count_x
      - .offset:         60
        .size:           4
        .value_kind:     hidden_block_count_y
      - .offset:         64
        .size:           4
        .value_kind:     hidden_block_count_z
      - .offset:         68
        .size:           2
        .value_kind:     hidden_group_size_x
      - .offset:         70
        .size:           2
        .value_kind:     hidden_group_size_y
      - .offset:         72
        .size:           2
        .value_kind:     hidden_group_size_z
      - .offset:         74
        .size:           2
        .value_kind:     hidden_remainder_x
      - .offset:         76
        .size:           2
        .value_kind:     hidden_remainder_y
      - .offset:         78
        .size:           2
        .value_kind:     hidden_remainder_z
      - .offset:         96
        .size:           8
        .value_kind:     hidden_global_offset_x
      - .offset:         104
        .size:           8
        .value_kind:     hidden_global_offset_y
      - .offset:         112
        .size:           8
        .value_kind:     hidden_global_offset_z
      - .offset:         120
        .size:           2
        .value_kind:     hidden_grid_dims
    .group_segment_fixed_size: 0
    .kernarg_segment_align: 8
    .kernarg_segment_size: 312
    .language:       OpenCL C
    .language_version:
      - 2
      - 0
    .max_flat_workgroup_size: 1024
    .name:           _ZN2at6native12_GLOBAL__N_126LayerNormForwardCUDAKernelIN3c108BFloat16EfLb1EEEvlPKT_PKT0_SA_S7_S7_PS5_
    .private_segment_fixed_size: 0
    .sgpr_count:     20
    .sgpr_spill_count: 0
    .symbol:         _ZN2at6native12_GLOBAL__N_126LayerNormForwardCUDAKernelIN3c108BFloat16EfLb1EEEvlPKT_PKT0_SA_S7_S7_PS5_.kd
    .uniform_work_group_size: 1
    .uses_dynamic_stack: false
    .vgpr_count:     8
    .vgpr_spill_count: 0
    .wavefront_size: 32
  - .args:
      - .actual_access:  read_only
        .address_space:  global
        .offset:         0
        .size:           8
        .value_kind:     global_buffer
      - .actual_access:  read_only
        .address_space:  global
        .offset:         8
        .size:           8
        .value_kind:     global_buffer
      - .offset:         16
        .size:           8
        .value_kind:     by_value
      - .offset:         24
        .size:           8
        .value_kind:     by_value
      - .actual_access:  read_only
        .address_space:  global
        .offset:         32
        .size:           8
        .value_kind:     global_buffer
      - .actual_access:  read_only
        .address_space:  global
        .offset:         40
        .size:           8
        .value_kind:     global_buffer
      - .address_space:  global
        .offset:         48
        .size:           8
        .value_kind:     global_buffer
      - .address_space:  global
        .offset:         56
        .size:           8
        .value_kind:     global_buffer
      - .offset:         64
        .size:           4
        .value_kind:     hidden_block_count_x
      - .offset:         68
        .size:           4
        .value_kind:     hidden_block_count_y
      - .offset:         72
        .size:           4
        .value_kind:     hidden_block_count_z
      - .offset:         76
        .size:           2
        .value_kind:     hidden_group_size_x
      - .offset:         78
        .size:           2
        .value_kind:     hidden_group_size_y
      - .offset:         80
        .size:           2
        .value_kind:     hidden_group_size_z
      - .offset:         82
        .size:           2
        .value_kind:     hidden_remainder_x
      - .offset:         84
        .size:           2
        .value_kind:     hidden_remainder_y
      - .offset:         86
        .size:           2
        .value_kind:     hidden_remainder_z
      - .offset:         104
        .size:           8
        .value_kind:     hidden_global_offset_x
      - .offset:         112
        .size:           8
        .value_kind:     hidden_global_offset_y
      - .offset:         120
        .size:           8
        .value_kind:     hidden_global_offset_z
      - .offset:         128
        .size:           2
        .value_kind:     hidden_grid_dims
      - .offset:         184
        .size:           4
        .value_kind:     hidden_dynamic_lds_size
    .group_segment_fixed_size: 0
    .kernarg_segment_align: 8
    .kernarg_segment_size: 320
    .language:       OpenCL C
    .language_version:
      - 2
      - 0
    .max_flat_workgroup_size: 1024
    .name:           _ZN2at6native12_GLOBAL__N_118cuComputeGradInputIddLb0EEEvPKT_S5_llPKT0_S8_S5_PS3_
    .private_segment_fixed_size: 0
    .sgpr_count:     46
    .sgpr_spill_count: 0
    .symbol:         _ZN2at6native12_GLOBAL__N_118cuComputeGradInputIddLb0EEEvPKT_S5_llPKT0_S8_S5_PS3_.kd
    .uniform_work_group_size: 1
    .uses_dynamic_stack: false
    .vgpr_count:     32
    .vgpr_spill_count: 0
    .wavefront_size: 32
  - .args:
      - .actual_access:  read_only
        .address_space:  global
        .offset:         0
        .size:           8
        .value_kind:     global_buffer
      - .actual_access:  read_only
        .address_space:  global
        .offset:         8
        .size:           8
        .value_kind:     global_buffer
      - .actual_access:  read_only
        .address_space:  global
        .offset:         16
        .size:           8
        .value_kind:     global_buffer
      - .actual_access:  read_only
        .address_space:  global
        .offset:         24
        .size:           8
        .value_kind:     global_buffer
      - .actual_access:  read_only
        .address_space:  global
        .offset:         32
        .size:           8
        .value_kind:     global_buffer
      - .address_space:  global
        .offset:         40
        .size:           8
        .value_kind:     global_buffer
      - .offset:         48
        .size:           4
        .value_kind:     by_value
      - .offset:         56
        .size:           4
        .value_kind:     hidden_block_count_x
      - .offset:         60
        .size:           4
        .value_kind:     hidden_block_count_y
      - .offset:         64
        .size:           4
        .value_kind:     hidden_block_count_z
      - .offset:         68
        .size:           2
        .value_kind:     hidden_group_size_x
      - .offset:         70
        .size:           2
        .value_kind:     hidden_group_size_y
      - .offset:         72
        .size:           2
        .value_kind:     hidden_group_size_z
      - .offset:         74
        .size:           2
        .value_kind:     hidden_remainder_x
      - .offset:         76
        .size:           2
        .value_kind:     hidden_remainder_y
      - .offset:         78
        .size:           2
        .value_kind:     hidden_remainder_z
      - .offset:         96
        .size:           8
        .value_kind:     hidden_global_offset_x
      - .offset:         104
        .size:           8
        .value_kind:     hidden_global_offset_y
      - .offset:         112
        .size:           8
        .value_kind:     hidden_global_offset_z
      - .offset:         120
        .size:           2
        .value_kind:     hidden_grid_dims
      - .offset:         176
        .size:           4
        .value_kind:     hidden_dynamic_lds_size
    .group_segment_fixed_size: 0
    .kernarg_segment_align: 8
    .kernarg_segment_size: 312
    .language:       OpenCL C
    .language_version:
      - 2
      - 0
    .max_flat_workgroup_size: 1024
    .name:           _ZN2at6native12_GLOBAL__N_128layer_norm_grad_input_kernelIddLb0EEEvPKT_S5_PKT0_S8_S5_PS3_i
    .private_segment_fixed_size: 0
    .sgpr_count:     27
    .sgpr_spill_count: 0
    .symbol:         _ZN2at6native12_GLOBAL__N_128layer_norm_grad_input_kernelIddLb0EEEvPKT_S5_PKT0_S8_S5_PS3_i.kd
    .uniform_work_group_size: 1
    .uses_dynamic_stack: false
    .vgpr_count:     36
    .vgpr_spill_count: 0
    .wavefront_size: 32
  - .args:
      - .offset:         0
        .size:           8
        .value_kind:     by_value
      - .offset:         8
        .size:           8
        .value_kind:     by_value
      - .address_space:  global
        .offset:         16
        .size:           8
        .value_kind:     global_buffer
      - .address_space:  global
        .offset:         24
        .size:           8
        .value_kind:     global_buffer
      - .address_space:  global
        .offset:         32
        .size:           8
        .value_kind:     global_buffer
      - .address_space:  global
        .offset:         40
        .size:           8
        .value_kind:     global_buffer
      - .address_space:  global
        .offset:         48
        .size:           8
        .value_kind:     global_buffer
      - .address_space:  global
        .offset:         56
        .size:           8
        .value_kind:     global_buffer
      - .offset:         64
        .size:           4
        .value_kind:     hidden_block_count_x
      - .offset:         68
        .size:           4
        .value_kind:     hidden_block_count_y
      - .offset:         72
        .size:           4
        .value_kind:     hidden_block_count_z
      - .offset:         76
        .size:           2
        .value_kind:     hidden_group_size_x
      - .offset:         78
        .size:           2
        .value_kind:     hidden_group_size_y
      - .offset:         80
        .size:           2
        .value_kind:     hidden_group_size_z
      - .offset:         82
        .size:           2
        .value_kind:     hidden_remainder_x
      - .offset:         84
        .size:           2
        .value_kind:     hidden_remainder_y
      - .offset:         86
        .size:           2
        .value_kind:     hidden_remainder_z
      - .offset:         104
        .size:           8
        .value_kind:     hidden_global_offset_x
      - .offset:         112
        .size:           8
        .value_kind:     hidden_global_offset_y
      - .offset:         120
        .size:           8
        .value_kind:     hidden_global_offset_z
      - .offset:         128
        .size:           2
        .value_kind:     hidden_grid_dims
    .group_segment_fixed_size: 0
    .kernarg_segment_align: 8
    .kernarg_segment_size: 320
    .language:       OpenCL C
    .language_version:
      - 2
      - 0
    .max_flat_workgroup_size: 1024
    .name:           _ZN2at6native12_GLOBAL__N_133GammaBetaBackwardSimpleCUDAKernelIddLb0EEEvllPKT_S5_PKT0_S8_PS3_S9_
    .private_segment_fixed_size: 0
    .sgpr_count:     23
    .sgpr_spill_count: 0
    .symbol:         _ZN2at6native12_GLOBAL__N_133GammaBetaBackwardSimpleCUDAKernelIddLb0EEEvllPKT_S5_PKT0_S8_PS3_S9_.kd
    .uniform_work_group_size: 1
    .uses_dynamic_stack: false
    .vgpr_count:     16
    .vgpr_spill_count: 0
    .wavefront_size: 32
  - .args:
      - .offset:         0
        .size:           8
        .value_kind:     by_value
      - .offset:         8
        .size:           8
        .value_kind:     by_value
      - .actual_access:  read_only
        .address_space:  global
        .offset:         16
        .size:           8
        .value_kind:     global_buffer
      - .actual_access:  read_only
        .address_space:  global
        .offset:         24
        .size:           8
        .value_kind:     global_buffer
      - .actual_access:  read_only
        .address_space:  global
        .offset:         32
        .size:           8
        .value_kind:     global_buffer
      - .actual_access:  read_only
        .address_space:  global
        .offset:         40
        .size:           8
        .value_kind:     global_buffer
      - .actual_access:  write_only
        .address_space:  global
        .offset:         48
        .size:           8
        .value_kind:     global_buffer
      - .actual_access:  write_only
        .address_space:  global
        .offset:         56
        .size:           8
        .value_kind:     global_buffer
      - .offset:         64
        .size:           4
        .value_kind:     hidden_block_count_x
      - .offset:         68
        .size:           4
        .value_kind:     hidden_block_count_y
      - .offset:         72
        .size:           4
        .value_kind:     hidden_block_count_z
      - .offset:         76
        .size:           2
        .value_kind:     hidden_group_size_x
      - .offset:         78
        .size:           2
        .value_kind:     hidden_group_size_y
      - .offset:         80
        .size:           2
        .value_kind:     hidden_group_size_z
      - .offset:         82
        .size:           2
        .value_kind:     hidden_remainder_x
      - .offset:         84
        .size:           2
        .value_kind:     hidden_remainder_y
      - .offset:         86
        .size:           2
        .value_kind:     hidden_remainder_z
      - .offset:         104
        .size:           8
        .value_kind:     hidden_global_offset_x
      - .offset:         112
        .size:           8
        .value_kind:     hidden_global_offset_y
      - .offset:         120
        .size:           8
        .value_kind:     hidden_global_offset_z
      - .offset:         128
        .size:           2
        .value_kind:     hidden_grid_dims
    .group_segment_fixed_size: 0
    .kernarg_segment_align: 8
    .kernarg_segment_size: 320
    .language:       OpenCL C
    .language_version:
      - 2
      - 0
    .max_flat_workgroup_size: 64
    .name:           _ZN2at6native12_GLOBAL__N_135GammaBetaBackwardCUDAKernelTemplateIddLj64ELj1ELj32ELb1ELb1ELb0EEEvllPKT_S5_PKT0_S8_PS3_S9_
    .private_segment_fixed_size: 0
    .sgpr_count:     31
    .sgpr_spill_count: 0
    .symbol:         _ZN2at6native12_GLOBAL__N_135GammaBetaBackwardCUDAKernelTemplateIddLj64ELj1ELj32ELb1ELb1ELb0EEEvllPKT_S5_PKT0_S8_PS3_S9_.kd
    .uniform_work_group_size: 1
    .uses_dynamic_stack: false
    .vgpr_count:     106
    .vgpr_spill_count: 0
    .wavefront_size: 32
  - .args:
      - .offset:         0
        .size:           8
        .value_kind:     by_value
      - .offset:         8
        .size:           8
        .value_kind:     by_value
      - .actual_access:  read_only
        .address_space:  global
        .offset:         16
        .size:           8
        .value_kind:     global_buffer
      - .actual_access:  read_only
        .address_space:  global
        .offset:         24
        .size:           8
        .value_kind:     global_buffer
      - .actual_access:  read_only
        .address_space:  global
        .offset:         32
        .size:           8
        .value_kind:     global_buffer
      - .actual_access:  read_only
        .address_space:  global
        .offset:         40
        .size:           8
        .value_kind:     global_buffer
      - .actual_access:  write_only
        .address_space:  global
        .offset:         48
        .size:           8
        .value_kind:     global_buffer
      - .actual_access:  write_only
        .address_space:  global
        .offset:         56
        .size:           8
        .value_kind:     global_buffer
      - .offset:         64
        .size:           4
        .value_kind:     hidden_block_count_x
      - .offset:         68
        .size:           4
        .value_kind:     hidden_block_count_y
      - .offset:         72
        .size:           4
        .value_kind:     hidden_block_count_z
      - .offset:         76
        .size:           2
        .value_kind:     hidden_group_size_x
      - .offset:         78
        .size:           2
        .value_kind:     hidden_group_size_y
      - .offset:         80
        .size:           2
        .value_kind:     hidden_group_size_z
      - .offset:         82
        .size:           2
        .value_kind:     hidden_remainder_x
      - .offset:         84
        .size:           2
        .value_kind:     hidden_remainder_y
      - .offset:         86
        .size:           2
        .value_kind:     hidden_remainder_z
      - .offset:         104
        .size:           8
        .value_kind:     hidden_global_offset_x
      - .offset:         112
        .size:           8
        .value_kind:     hidden_global_offset_y
      - .offset:         120
        .size:           8
        .value_kind:     hidden_global_offset_z
      - .offset:         128
        .size:           2
        .value_kind:     hidden_grid_dims
    .group_segment_fixed_size: 0
    .kernarg_segment_align: 8
    .kernarg_segment_size: 320
    .language:       OpenCL C
    .language_version:
      - 2
      - 0
    .max_flat_workgroup_size: 64
    .name:           _ZN2at6native12_GLOBAL__N_135GammaBetaBackwardCUDAKernelTemplateIddLj64ELj1ELj32ELb1ELb0ELb0EEEvllPKT_S5_PKT0_S8_PS3_S9_
    .private_segment_fixed_size: 0
    .sgpr_count:     38
    .sgpr_spill_count: 0
    .symbol:         _ZN2at6native12_GLOBAL__N_135GammaBetaBackwardCUDAKernelTemplateIddLj64ELj1ELj32ELb1ELb0ELb0EEEvllPKT_S5_PKT0_S8_PS3_S9_.kd
    .uniform_work_group_size: 1
    .uses_dynamic_stack: false
    .vgpr_count:     404
    .vgpr_spill_count: 0
    .wavefront_size: 32
  - .args:
      - .offset:         0
        .size:           8
        .value_kind:     by_value
      - .offset:         8
        .size:           8
        .value_kind:     by_value
      - .actual_access:  read_only
        .address_space:  global
        .offset:         16
        .size:           8
        .value_kind:     global_buffer
      - .actual_access:  read_only
        .address_space:  global
        .offset:         24
        .size:           8
        .value_kind:     global_buffer
      - .actual_access:  read_only
        .address_space:  global
        .offset:         32
        .size:           8
        .value_kind:     global_buffer
      - .actual_access:  read_only
        .address_space:  global
        .offset:         40
        .size:           8
        .value_kind:     global_buffer
      - .actual_access:  write_only
        .address_space:  global
        .offset:         48
        .size:           8
        .value_kind:     global_buffer
      - .actual_access:  write_only
        .address_space:  global
        .offset:         56
        .size:           8
        .value_kind:     global_buffer
      - .offset:         64
        .size:           4
        .value_kind:     hidden_block_count_x
      - .offset:         68
        .size:           4
        .value_kind:     hidden_block_count_y
      - .offset:         72
        .size:           4
        .value_kind:     hidden_block_count_z
      - .offset:         76
        .size:           2
        .value_kind:     hidden_group_size_x
      - .offset:         78
        .size:           2
        .value_kind:     hidden_group_size_y
      - .offset:         80
        .size:           2
        .value_kind:     hidden_group_size_z
      - .offset:         82
        .size:           2
        .value_kind:     hidden_remainder_x
      - .offset:         84
        .size:           2
        .value_kind:     hidden_remainder_y
      - .offset:         86
        .size:           2
        .value_kind:     hidden_remainder_z
      - .offset:         104
        .size:           8
        .value_kind:     hidden_global_offset_x
      - .offset:         112
        .size:           8
        .value_kind:     hidden_global_offset_y
      - .offset:         120
        .size:           8
        .value_kind:     hidden_global_offset_z
      - .offset:         128
        .size:           2
        .value_kind:     hidden_grid_dims
    .group_segment_fixed_size: 0
    .kernarg_segment_align: 8
    .kernarg_segment_size: 320
    .language:       OpenCL C
    .language_version:
      - 2
      - 0
    .max_flat_workgroup_size: 64
    .name:           _ZN2at6native12_GLOBAL__N_135GammaBetaBackwardCUDAKernelTemplateIddLj64ELj1ELj8ELb1ELb1ELb0EEEvllPKT_S5_PKT0_S8_PS3_S9_
    .private_segment_fixed_size: 0
    .sgpr_count:     33
    .sgpr_spill_count: 0
    .symbol:         _ZN2at6native12_GLOBAL__N_135GammaBetaBackwardCUDAKernelTemplateIddLj64ELj1ELj8ELb1ELb1ELb0EEEvllPKT_S5_PKT0_S8_PS3_S9_.kd
    .uniform_work_group_size: 1
    .uses_dynamic_stack: false
    .vgpr_count:     60
    .vgpr_spill_count: 0
    .wavefront_size: 32
  - .args:
      - .offset:         0
        .size:           8
        .value_kind:     by_value
      - .offset:         8
        .size:           8
        .value_kind:     by_value
      - .actual_access:  read_only
        .address_space:  global
        .offset:         16
        .size:           8
        .value_kind:     global_buffer
      - .actual_access:  read_only
        .address_space:  global
        .offset:         24
        .size:           8
        .value_kind:     global_buffer
      - .actual_access:  read_only
        .address_space:  global
        .offset:         32
        .size:           8
        .value_kind:     global_buffer
      - .actual_access:  read_only
        .address_space:  global
        .offset:         40
        .size:           8
        .value_kind:     global_buffer
      - .actual_access:  write_only
        .address_space:  global
        .offset:         48
        .size:           8
        .value_kind:     global_buffer
      - .actual_access:  write_only
        .address_space:  global
        .offset:         56
        .size:           8
        .value_kind:     global_buffer
      - .offset:         64
        .size:           4
        .value_kind:     hidden_block_count_x
      - .offset:         68
        .size:           4
        .value_kind:     hidden_block_count_y
      - .offset:         72
        .size:           4
        .value_kind:     hidden_block_count_z
      - .offset:         76
        .size:           2
        .value_kind:     hidden_group_size_x
      - .offset:         78
        .size:           2
        .value_kind:     hidden_group_size_y
      - .offset:         80
        .size:           2
        .value_kind:     hidden_group_size_z
      - .offset:         82
        .size:           2
        .value_kind:     hidden_remainder_x
      - .offset:         84
        .size:           2
        .value_kind:     hidden_remainder_y
      - .offset:         86
        .size:           2
        .value_kind:     hidden_remainder_z
      - .offset:         104
        .size:           8
        .value_kind:     hidden_global_offset_x
      - .offset:         112
        .size:           8
        .value_kind:     hidden_global_offset_y
      - .offset:         120
        .size:           8
        .value_kind:     hidden_global_offset_z
      - .offset:         128
        .size:           2
        .value_kind:     hidden_grid_dims
    .group_segment_fixed_size: 0
    .kernarg_segment_align: 8
    .kernarg_segment_size: 320
    .language:       OpenCL C
    .language_version:
      - 2
      - 0
    .max_flat_workgroup_size: 64
    .name:           _ZN2at6native12_GLOBAL__N_135GammaBetaBackwardCUDAKernelTemplateIddLj64ELj1ELj8ELb1ELb0ELb0EEEvllPKT_S5_PKT0_S8_PS3_S9_
    .private_segment_fixed_size: 0
    .sgpr_count:     38
    .sgpr_spill_count: 0
    .symbol:         _ZN2at6native12_GLOBAL__N_135GammaBetaBackwardCUDAKernelTemplateIddLj64ELj1ELj8ELb1ELb0ELb0EEEvllPKT_S5_PKT0_S8_PS3_S9_.kd
    .uniform_work_group_size: 1
    .uses_dynamic_stack: false
    .vgpr_count:     118
    .vgpr_spill_count: 0
    .wavefront_size: 32
  - .args:
      - .offset:         0
        .size:           8
        .value_kind:     by_value
      - .offset:         8
        .size:           8
        .value_kind:     by_value
      - .actual_access:  read_only
        .address_space:  global
        .offset:         16
        .size:           8
        .value_kind:     global_buffer
      - .actual_access:  read_only
        .address_space:  global
        .offset:         24
        .size:           8
        .value_kind:     global_buffer
      - .actual_access:  read_only
        .address_space:  global
        .offset:         32
        .size:           8
        .value_kind:     global_buffer
      - .actual_access:  read_only
        .address_space:  global
        .offset:         40
        .size:           8
        .value_kind:     global_buffer
      - .actual_access:  write_only
        .address_space:  global
        .offset:         48
        .size:           8
        .value_kind:     global_buffer
      - .actual_access:  write_only
        .address_space:  global
        .offset:         56
        .size:           8
        .value_kind:     global_buffer
      - .offset:         64
        .size:           4
        .value_kind:     hidden_block_count_x
      - .offset:         68
        .size:           4
        .value_kind:     hidden_block_count_y
      - .offset:         72
        .size:           4
        .value_kind:     hidden_block_count_z
      - .offset:         76
        .size:           2
        .value_kind:     hidden_group_size_x
      - .offset:         78
        .size:           2
        .value_kind:     hidden_group_size_y
      - .offset:         80
        .size:           2
        .value_kind:     hidden_group_size_z
      - .offset:         82
        .size:           2
        .value_kind:     hidden_remainder_x
      - .offset:         84
        .size:           2
        .value_kind:     hidden_remainder_y
      - .offset:         86
        .size:           2
        .value_kind:     hidden_remainder_z
      - .offset:         104
        .size:           8
        .value_kind:     hidden_global_offset_x
      - .offset:         112
        .size:           8
        .value_kind:     hidden_global_offset_y
      - .offset:         120
        .size:           8
        .value_kind:     hidden_global_offset_z
      - .offset:         128
        .size:           2
        .value_kind:     hidden_grid_dims
      - .offset:         184
        .size:           4
        .value_kind:     hidden_dynamic_lds_size
    .group_segment_fixed_size: 0
    .kernarg_segment_align: 8
    .kernarg_segment_size: 320
    .language:       OpenCL C
    .language_version:
      - 2
      - 0
    .max_flat_workgroup_size: 512
    .name:           _ZN2at6native12_GLOBAL__N_135GammaBetaBackwardCUDAKernelTemplateIddLj64ELj8ELj64ELb0ELb1ELb0EEEvllPKT_S5_PKT0_S8_PS3_S9_
    .private_segment_fixed_size: 0
    .sgpr_count:     28
    .sgpr_spill_count: 0
    .symbol:         _ZN2at6native12_GLOBAL__N_135GammaBetaBackwardCUDAKernelTemplateIddLj64ELj8ELj64ELb0ELb1ELb0EEEvllPKT_S5_PKT0_S8_PS3_S9_.kd
    .uniform_work_group_size: 1
    .uses_dynamic_stack: false
    .vgpr_count:     60
    .vgpr_spill_count: 0
    .wavefront_size: 32
  - .args:
      - .offset:         0
        .size:           8
        .value_kind:     by_value
      - .offset:         8
        .size:           8
        .value_kind:     by_value
      - .actual_access:  read_only
        .address_space:  global
        .offset:         16
        .size:           8
        .value_kind:     global_buffer
      - .actual_access:  read_only
        .address_space:  global
        .offset:         24
        .size:           8
        .value_kind:     global_buffer
      - .actual_access:  read_only
        .address_space:  global
        .offset:         32
        .size:           8
        .value_kind:     global_buffer
      - .actual_access:  read_only
        .address_space:  global
        .offset:         40
        .size:           8
        .value_kind:     global_buffer
      - .actual_access:  write_only
        .address_space:  global
        .offset:         48
        .size:           8
        .value_kind:     global_buffer
      - .actual_access:  write_only
        .address_space:  global
        .offset:         56
        .size:           8
        .value_kind:     global_buffer
      - .offset:         64
        .size:           4
        .value_kind:     hidden_block_count_x
      - .offset:         68
        .size:           4
        .value_kind:     hidden_block_count_y
      - .offset:         72
        .size:           4
        .value_kind:     hidden_block_count_z
      - .offset:         76
        .size:           2
        .value_kind:     hidden_group_size_x
      - .offset:         78
        .size:           2
        .value_kind:     hidden_group_size_y
      - .offset:         80
        .size:           2
        .value_kind:     hidden_group_size_z
      - .offset:         82
        .size:           2
        .value_kind:     hidden_remainder_x
      - .offset:         84
        .size:           2
        .value_kind:     hidden_remainder_y
      - .offset:         86
        .size:           2
        .value_kind:     hidden_remainder_z
      - .offset:         104
        .size:           8
        .value_kind:     hidden_global_offset_x
      - .offset:         112
        .size:           8
        .value_kind:     hidden_global_offset_y
      - .offset:         120
        .size:           8
        .value_kind:     hidden_global_offset_z
      - .offset:         128
        .size:           2
        .value_kind:     hidden_grid_dims
      - .offset:         184
        .size:           4
        .value_kind:     hidden_dynamic_lds_size
    .group_segment_fixed_size: 0
    .kernarg_segment_align: 8
    .kernarg_segment_size: 320
    .language:       OpenCL C
    .language_version:
      - 2
      - 0
    .max_flat_workgroup_size: 512
    .name:           _ZN2at6native12_GLOBAL__N_135GammaBetaBackwardCUDAKernelTemplateIddLj64ELj8ELj64ELb0ELb0ELb0EEEvllPKT_S5_PKT0_S8_PS3_S9_
    .private_segment_fixed_size: 0
    .sgpr_count:     54
    .sgpr_spill_count: 0
    .symbol:         _ZN2at6native12_GLOBAL__N_135GammaBetaBackwardCUDAKernelTemplateIddLj64ELj8ELj64ELb0ELb0ELb0EEEvllPKT_S5_PKT0_S8_PS3_S9_.kd
    .uniform_work_group_size: 1
    .uses_dynamic_stack: false
    .vgpr_count:     118
    .vgpr_spill_count: 0
    .wavefront_size: 32
  - .args:
      - .offset:         0
        .size:           8
        .value_kind:     by_value
      - .offset:         8
        .size:           8
        .value_kind:     by_value
      - .actual_access:  read_only
        .address_space:  global
        .offset:         16
        .size:           8
        .value_kind:     global_buffer
      - .actual_access:  read_only
        .address_space:  global
        .offset:         24
        .size:           8
        .value_kind:     global_buffer
      - .actual_access:  read_only
        .address_space:  global
        .offset:         32
        .size:           8
        .value_kind:     global_buffer
      - .actual_access:  read_only
        .address_space:  global
        .offset:         40
        .size:           8
        .value_kind:     global_buffer
      - .actual_access:  write_only
        .address_space:  global
        .offset:         48
        .size:           8
        .value_kind:     global_buffer
      - .actual_access:  write_only
        .address_space:  global
        .offset:         56
        .size:           8
        .value_kind:     global_buffer
      - .offset:         64
        .size:           4
        .value_kind:     hidden_block_count_x
      - .offset:         68
        .size:           4
        .value_kind:     hidden_block_count_y
      - .offset:         72
        .size:           4
        .value_kind:     hidden_block_count_z
      - .offset:         76
        .size:           2
        .value_kind:     hidden_group_size_x
      - .offset:         78
        .size:           2
        .value_kind:     hidden_group_size_y
      - .offset:         80
        .size:           2
        .value_kind:     hidden_group_size_z
      - .offset:         82
        .size:           2
        .value_kind:     hidden_remainder_x
      - .offset:         84
        .size:           2
        .value_kind:     hidden_remainder_y
      - .offset:         86
        .size:           2
        .value_kind:     hidden_remainder_z
      - .offset:         104
        .size:           8
        .value_kind:     hidden_global_offset_x
      - .offset:         112
        .size:           8
        .value_kind:     hidden_global_offset_y
      - .offset:         120
        .size:           8
        .value_kind:     hidden_global_offset_z
      - .offset:         128
        .size:           2
        .value_kind:     hidden_grid_dims
      - .offset:         184
        .size:           4
        .value_kind:     hidden_dynamic_lds_size
    .group_segment_fixed_size: 0
    .kernarg_segment_align: 8
    .kernarg_segment_size: 320
    .language:       OpenCL C
    .language_version:
      - 2
      - 0
    .max_flat_workgroup_size: 1024
    .name:           _ZN2at6native12_GLOBAL__N_135GammaBetaBackwardCUDAKernelTemplateIddLj64ELj16ELj128ELb0ELb1ELb0EEEvllPKT_S5_PKT0_S8_PS3_S9_
    .private_segment_fixed_size: 0
    .sgpr_count:     28
    .sgpr_spill_count: 0
    .symbol:         _ZN2at6native12_GLOBAL__N_135GammaBetaBackwardCUDAKernelTemplateIddLj64ELj16ELj128ELb0ELb1ELb0EEEvllPKT_S5_PKT0_S8_PS3_S9_.kd
    .uniform_work_group_size: 1
    .uses_dynamic_stack: false
    .vgpr_count:     60
    .vgpr_spill_count: 0
    .wavefront_size: 32
  - .args:
      - .offset:         0
        .size:           8
        .value_kind:     by_value
      - .offset:         8
        .size:           8
        .value_kind:     by_value
      - .actual_access:  read_only
        .address_space:  global
        .offset:         16
        .size:           8
        .value_kind:     global_buffer
      - .actual_access:  read_only
        .address_space:  global
        .offset:         24
        .size:           8
        .value_kind:     global_buffer
      - .actual_access:  read_only
        .address_space:  global
        .offset:         32
        .size:           8
        .value_kind:     global_buffer
      - .actual_access:  read_only
        .address_space:  global
        .offset:         40
        .size:           8
        .value_kind:     global_buffer
      - .actual_access:  write_only
        .address_space:  global
        .offset:         48
        .size:           8
        .value_kind:     global_buffer
      - .actual_access:  write_only
        .address_space:  global
        .offset:         56
        .size:           8
        .value_kind:     global_buffer
      - .offset:         64
        .size:           4
        .value_kind:     hidden_block_count_x
      - .offset:         68
        .size:           4
        .value_kind:     hidden_block_count_y
      - .offset:         72
        .size:           4
        .value_kind:     hidden_block_count_z
      - .offset:         76
        .size:           2
        .value_kind:     hidden_group_size_x
      - .offset:         78
        .size:           2
        .value_kind:     hidden_group_size_y
      - .offset:         80
        .size:           2
        .value_kind:     hidden_group_size_z
      - .offset:         82
        .size:           2
        .value_kind:     hidden_remainder_x
      - .offset:         84
        .size:           2
        .value_kind:     hidden_remainder_y
      - .offset:         86
        .size:           2
        .value_kind:     hidden_remainder_z
      - .offset:         104
        .size:           8
        .value_kind:     hidden_global_offset_x
      - .offset:         112
        .size:           8
        .value_kind:     hidden_global_offset_y
      - .offset:         120
        .size:           8
        .value_kind:     hidden_global_offset_z
      - .offset:         128
        .size:           2
        .value_kind:     hidden_grid_dims
      - .offset:         184
        .size:           4
        .value_kind:     hidden_dynamic_lds_size
    .group_segment_fixed_size: 0
    .kernarg_segment_align: 8
    .kernarg_segment_size: 320
    .language:       OpenCL C
    .language_version:
      - 2
      - 0
    .max_flat_workgroup_size: 1024
    .name:           _ZN2at6native12_GLOBAL__N_135GammaBetaBackwardCUDAKernelTemplateIddLj64ELj16ELj128ELb0ELb0ELb0EEEvllPKT_S5_PKT0_S8_PS3_S9_
    .private_segment_fixed_size: 0
    .sgpr_count:     54
    .sgpr_spill_count: 0
    .symbol:         _ZN2at6native12_GLOBAL__N_135GammaBetaBackwardCUDAKernelTemplateIddLj64ELj16ELj128ELb0ELb0ELb0EEEvllPKT_S5_PKT0_S8_PS3_S9_.kd
    .uniform_work_group_size: 1
    .uses_dynamic_stack: false
    .vgpr_count:     118
    .vgpr_spill_count: 0
    .wavefront_size: 32
  - .args:
      - .offset:         0
        .size:           8
        .value_kind:     by_value
      - .offset:         8
        .size:           8
        .value_kind:     by_value
      - .actual_access:  read_only
        .address_space:  global
        .offset:         16
        .size:           8
        .value_kind:     global_buffer
      - .actual_access:  read_only
        .address_space:  global
        .offset:         24
        .size:           8
        .value_kind:     global_buffer
      - .actual_access:  read_only
        .address_space:  global
        .offset:         32
        .size:           8
        .value_kind:     global_buffer
      - .actual_access:  read_only
        .address_space:  global
        .offset:         40
        .size:           8
        .value_kind:     global_buffer
      - .actual_access:  write_only
        .address_space:  global
        .offset:         48
        .size:           8
        .value_kind:     global_buffer
      - .actual_access:  write_only
        .address_space:  global
        .offset:         56
        .size:           8
        .value_kind:     global_buffer
      - .offset:         64
        .size:           4
        .value_kind:     hidden_block_count_x
      - .offset:         68
        .size:           4
        .value_kind:     hidden_block_count_y
      - .offset:         72
        .size:           4
        .value_kind:     hidden_block_count_z
      - .offset:         76
        .size:           2
        .value_kind:     hidden_group_size_x
      - .offset:         78
        .size:           2
        .value_kind:     hidden_group_size_y
      - .offset:         80
        .size:           2
        .value_kind:     hidden_group_size_z
      - .offset:         82
        .size:           2
        .value_kind:     hidden_remainder_x
      - .offset:         84
        .size:           2
        .value_kind:     hidden_remainder_y
      - .offset:         86
        .size:           2
        .value_kind:     hidden_remainder_z
      - .offset:         104
        .size:           8
        .value_kind:     hidden_global_offset_x
      - .offset:         112
        .size:           8
        .value_kind:     hidden_global_offset_y
      - .offset:         120
        .size:           8
        .value_kind:     hidden_global_offset_z
      - .offset:         128
        .size:           2
        .value_kind:     hidden_grid_dims
      - .offset:         184
        .size:           4
        .value_kind:     hidden_dynamic_lds_size
    .group_segment_fixed_size: 0
    .kernarg_segment_align: 8
    .kernarg_segment_size: 320
    .language:       OpenCL C
    .language_version:
      - 2
      - 0
    .max_flat_workgroup_size: 1024
    .name:           _ZN2at6native12_GLOBAL__N_135GammaBetaBackwardCUDAKernelTemplateIddLj64ELj16ELj256ELb0ELb1ELb0EEEvllPKT_S5_PKT0_S8_PS3_S9_
    .private_segment_fixed_size: 0
    .sgpr_count:     28
    .sgpr_spill_count: 0
    .symbol:         _ZN2at6native12_GLOBAL__N_135GammaBetaBackwardCUDAKernelTemplateIddLj64ELj16ELj256ELb0ELb1ELb0EEEvllPKT_S5_PKT0_S8_PS3_S9_.kd
    .uniform_work_group_size: 1
    .uses_dynamic_stack: false
    .vgpr_count:     60
    .vgpr_spill_count: 0
    .wavefront_size: 32
  - .args:
      - .offset:         0
        .size:           8
        .value_kind:     by_value
      - .offset:         8
        .size:           8
        .value_kind:     by_value
      - .actual_access:  read_only
        .address_space:  global
        .offset:         16
        .size:           8
        .value_kind:     global_buffer
      - .actual_access:  read_only
        .address_space:  global
        .offset:         24
        .size:           8
        .value_kind:     global_buffer
      - .actual_access:  read_only
        .address_space:  global
        .offset:         32
        .size:           8
        .value_kind:     global_buffer
      - .actual_access:  read_only
        .address_space:  global
        .offset:         40
        .size:           8
        .value_kind:     global_buffer
      - .actual_access:  write_only
        .address_space:  global
        .offset:         48
        .size:           8
        .value_kind:     global_buffer
      - .actual_access:  write_only
        .address_space:  global
        .offset:         56
        .size:           8
        .value_kind:     global_buffer
      - .offset:         64
        .size:           4
        .value_kind:     hidden_block_count_x
      - .offset:         68
        .size:           4
        .value_kind:     hidden_block_count_y
      - .offset:         72
        .size:           4
        .value_kind:     hidden_block_count_z
      - .offset:         76
        .size:           2
        .value_kind:     hidden_group_size_x
      - .offset:         78
        .size:           2
        .value_kind:     hidden_group_size_y
      - .offset:         80
        .size:           2
        .value_kind:     hidden_group_size_z
      - .offset:         82
        .size:           2
        .value_kind:     hidden_remainder_x
      - .offset:         84
        .size:           2
        .value_kind:     hidden_remainder_y
      - .offset:         86
        .size:           2
        .value_kind:     hidden_remainder_z
      - .offset:         104
        .size:           8
        .value_kind:     hidden_global_offset_x
      - .offset:         112
        .size:           8
        .value_kind:     hidden_global_offset_y
      - .offset:         120
        .size:           8
        .value_kind:     hidden_global_offset_z
      - .offset:         128
        .size:           2
        .value_kind:     hidden_grid_dims
      - .offset:         184
        .size:           4
        .value_kind:     hidden_dynamic_lds_size
    .group_segment_fixed_size: 0
    .kernarg_segment_align: 8
    .kernarg_segment_size: 320
    .language:       OpenCL C
    .language_version:
      - 2
      - 0
    .max_flat_workgroup_size: 1024
    .name:           _ZN2at6native12_GLOBAL__N_135GammaBetaBackwardCUDAKernelTemplateIddLj64ELj16ELj256ELb0ELb0ELb0EEEvllPKT_S5_PKT0_S8_PS3_S9_
    .private_segment_fixed_size: 352
    .sgpr_count:     70
    .sgpr_spill_count: 0
    .symbol:         _ZN2at6native12_GLOBAL__N_135GammaBetaBackwardCUDAKernelTemplateIddLj64ELj16ELj256ELb0ELb0ELb0EEEvllPKT_S5_PKT0_S8_PS3_S9_.kd
    .uniform_work_group_size: 1
    .uses_dynamic_stack: false
    .vgpr_count:     128
    .vgpr_spill_count: 220
    .wavefront_size: 32
  - .args:
      - .offset:         0
        .size:           8
        .value_kind:     by_value
      - .offset:         8
        .size:           8
        .value_kind:     by_value
      - .actual_access:  read_only
        .address_space:  global
        .offset:         16
        .size:           8
        .value_kind:     global_buffer
      - .actual_access:  read_only
        .address_space:  global
        .offset:         24
        .size:           8
        .value_kind:     global_buffer
      - .actual_access:  read_only
        .address_space:  global
        .offset:         32
        .size:           8
        .value_kind:     global_buffer
      - .actual_access:  read_only
        .address_space:  global
        .offset:         40
        .size:           8
        .value_kind:     global_buffer
      - .actual_access:  write_only
        .address_space:  global
        .offset:         48
        .size:           8
        .value_kind:     global_buffer
      - .actual_access:  write_only
        .address_space:  global
        .offset:         56
        .size:           8
        .value_kind:     global_buffer
      - .offset:         64
        .size:           4
        .value_kind:     hidden_block_count_x
      - .offset:         68
        .size:           4
        .value_kind:     hidden_block_count_y
      - .offset:         72
        .size:           4
        .value_kind:     hidden_block_count_z
      - .offset:         76
        .size:           2
        .value_kind:     hidden_group_size_x
      - .offset:         78
        .size:           2
        .value_kind:     hidden_group_size_y
      - .offset:         80
        .size:           2
        .value_kind:     hidden_group_size_z
      - .offset:         82
        .size:           2
        .value_kind:     hidden_remainder_x
      - .offset:         84
        .size:           2
        .value_kind:     hidden_remainder_y
      - .offset:         86
        .size:           2
        .value_kind:     hidden_remainder_z
      - .offset:         104
        .size:           8
        .value_kind:     hidden_global_offset_x
      - .offset:         112
        .size:           8
        .value_kind:     hidden_global_offset_y
      - .offset:         120
        .size:           8
        .value_kind:     hidden_global_offset_z
      - .offset:         128
        .size:           2
        .value_kind:     hidden_grid_dims
    .group_segment_fixed_size: 0
    .kernarg_segment_align: 8
    .kernarg_segment_size: 320
    .language:       OpenCL C
    .language_version:
      - 2
      - 0
    .max_flat_workgroup_size: 32
    .name:           _ZN2at6native12_GLOBAL__N_135GammaBetaBackwardCUDAKernelTemplateIddLj32ELj1ELj32ELb1ELb1ELb0EEEvllPKT_S5_PKT0_S8_PS3_S9_
    .private_segment_fixed_size: 0
    .sgpr_count:     31
    .sgpr_spill_count: 0
    .symbol:         _ZN2at6native12_GLOBAL__N_135GammaBetaBackwardCUDAKernelTemplateIddLj32ELj1ELj32ELb1ELb1ELb0EEEvllPKT_S5_PKT0_S8_PS3_S9_.kd
    .uniform_work_group_size: 1
    .uses_dynamic_stack: false
    .vgpr_count:     106
    .vgpr_spill_count: 0
    .wavefront_size: 32
  - .args:
      - .offset:         0
        .size:           8
        .value_kind:     by_value
      - .offset:         8
        .size:           8
        .value_kind:     by_value
      - .actual_access:  read_only
        .address_space:  global
        .offset:         16
        .size:           8
        .value_kind:     global_buffer
      - .actual_access:  read_only
        .address_space:  global
        .offset:         24
        .size:           8
        .value_kind:     global_buffer
      - .actual_access:  read_only
        .address_space:  global
        .offset:         32
        .size:           8
        .value_kind:     global_buffer
      - .actual_access:  read_only
        .address_space:  global
        .offset:         40
        .size:           8
        .value_kind:     global_buffer
      - .actual_access:  write_only
        .address_space:  global
        .offset:         48
        .size:           8
        .value_kind:     global_buffer
      - .actual_access:  write_only
        .address_space:  global
        .offset:         56
        .size:           8
        .value_kind:     global_buffer
      - .offset:         64
        .size:           4
        .value_kind:     hidden_block_count_x
      - .offset:         68
        .size:           4
        .value_kind:     hidden_block_count_y
      - .offset:         72
        .size:           4
        .value_kind:     hidden_block_count_z
      - .offset:         76
        .size:           2
        .value_kind:     hidden_group_size_x
      - .offset:         78
        .size:           2
        .value_kind:     hidden_group_size_y
      - .offset:         80
        .size:           2
        .value_kind:     hidden_group_size_z
      - .offset:         82
        .size:           2
        .value_kind:     hidden_remainder_x
      - .offset:         84
        .size:           2
        .value_kind:     hidden_remainder_y
      - .offset:         86
        .size:           2
        .value_kind:     hidden_remainder_z
      - .offset:         104
        .size:           8
        .value_kind:     hidden_global_offset_x
      - .offset:         112
        .size:           8
        .value_kind:     hidden_global_offset_y
      - .offset:         120
        .size:           8
        .value_kind:     hidden_global_offset_z
      - .offset:         128
        .size:           2
        .value_kind:     hidden_grid_dims
    .group_segment_fixed_size: 0
    .kernarg_segment_align: 8
    .kernarg_segment_size: 320
    .language:       OpenCL C
    .language_version:
      - 2
      - 0
    .max_flat_workgroup_size: 32
    .name:           _ZN2at6native12_GLOBAL__N_135GammaBetaBackwardCUDAKernelTemplateIddLj32ELj1ELj32ELb1ELb0ELb0EEEvllPKT_S5_PKT0_S8_PS3_S9_
    .private_segment_fixed_size: 0
    .sgpr_count:     38
    .sgpr_spill_count: 0
    .symbol:         _ZN2at6native12_GLOBAL__N_135GammaBetaBackwardCUDAKernelTemplateIddLj32ELj1ELj32ELb1ELb0ELb0EEEvllPKT_S5_PKT0_S8_PS3_S9_.kd
    .uniform_work_group_size: 1
    .uses_dynamic_stack: false
    .vgpr_count:     404
    .vgpr_spill_count: 0
    .wavefront_size: 32
  - .args:
      - .offset:         0
        .size:           8
        .value_kind:     by_value
      - .offset:         8
        .size:           8
        .value_kind:     by_value
      - .actual_access:  read_only
        .address_space:  global
        .offset:         16
        .size:           8
        .value_kind:     global_buffer
      - .actual_access:  read_only
        .address_space:  global
        .offset:         24
        .size:           8
        .value_kind:     global_buffer
      - .actual_access:  read_only
        .address_space:  global
        .offset:         32
        .size:           8
        .value_kind:     global_buffer
      - .actual_access:  read_only
        .address_space:  global
        .offset:         40
        .size:           8
        .value_kind:     global_buffer
      - .actual_access:  write_only
        .address_space:  global
        .offset:         48
        .size:           8
        .value_kind:     global_buffer
      - .actual_access:  write_only
        .address_space:  global
        .offset:         56
        .size:           8
        .value_kind:     global_buffer
      - .offset:         64
        .size:           4
        .value_kind:     hidden_block_count_x
      - .offset:         68
        .size:           4
        .value_kind:     hidden_block_count_y
      - .offset:         72
        .size:           4
        .value_kind:     hidden_block_count_z
      - .offset:         76
        .size:           2
        .value_kind:     hidden_group_size_x
      - .offset:         78
        .size:           2
        .value_kind:     hidden_group_size_y
      - .offset:         80
        .size:           2
        .value_kind:     hidden_group_size_z
      - .offset:         82
        .size:           2
        .value_kind:     hidden_remainder_x
      - .offset:         84
        .size:           2
        .value_kind:     hidden_remainder_y
      - .offset:         86
        .size:           2
        .value_kind:     hidden_remainder_z
      - .offset:         104
        .size:           8
        .value_kind:     hidden_global_offset_x
      - .offset:         112
        .size:           8
        .value_kind:     hidden_global_offset_y
      - .offset:         120
        .size:           8
        .value_kind:     hidden_global_offset_z
      - .offset:         128
        .size:           2
        .value_kind:     hidden_grid_dims
    .group_segment_fixed_size: 0
    .kernarg_segment_align: 8
    .kernarg_segment_size: 320
    .language:       OpenCL C
    .language_version:
      - 2
      - 0
    .max_flat_workgroup_size: 32
    .name:           _ZN2at6native12_GLOBAL__N_135GammaBetaBackwardCUDAKernelTemplateIddLj32ELj1ELj8ELb1ELb1ELb0EEEvllPKT_S5_PKT0_S8_PS3_S9_
    .private_segment_fixed_size: 0
    .sgpr_count:     33
    .sgpr_spill_count: 0
    .symbol:         _ZN2at6native12_GLOBAL__N_135GammaBetaBackwardCUDAKernelTemplateIddLj32ELj1ELj8ELb1ELb1ELb0EEEvllPKT_S5_PKT0_S8_PS3_S9_.kd
    .uniform_work_group_size: 1
    .uses_dynamic_stack: false
    .vgpr_count:     60
    .vgpr_spill_count: 0
    .wavefront_size: 32
  - .args:
      - .offset:         0
        .size:           8
        .value_kind:     by_value
      - .offset:         8
        .size:           8
        .value_kind:     by_value
      - .actual_access:  read_only
        .address_space:  global
        .offset:         16
        .size:           8
        .value_kind:     global_buffer
      - .actual_access:  read_only
        .address_space:  global
        .offset:         24
        .size:           8
        .value_kind:     global_buffer
      - .actual_access:  read_only
        .address_space:  global
        .offset:         32
        .size:           8
        .value_kind:     global_buffer
      - .actual_access:  read_only
        .address_space:  global
        .offset:         40
        .size:           8
        .value_kind:     global_buffer
      - .actual_access:  write_only
        .address_space:  global
        .offset:         48
        .size:           8
        .value_kind:     global_buffer
      - .actual_access:  write_only
        .address_space:  global
        .offset:         56
        .size:           8
        .value_kind:     global_buffer
      - .offset:         64
        .size:           4
        .value_kind:     hidden_block_count_x
      - .offset:         68
        .size:           4
        .value_kind:     hidden_block_count_y
      - .offset:         72
        .size:           4
        .value_kind:     hidden_block_count_z
      - .offset:         76
        .size:           2
        .value_kind:     hidden_group_size_x
      - .offset:         78
        .size:           2
        .value_kind:     hidden_group_size_y
      - .offset:         80
        .size:           2
        .value_kind:     hidden_group_size_z
      - .offset:         82
        .size:           2
        .value_kind:     hidden_remainder_x
      - .offset:         84
        .size:           2
        .value_kind:     hidden_remainder_y
      - .offset:         86
        .size:           2
        .value_kind:     hidden_remainder_z
      - .offset:         104
        .size:           8
        .value_kind:     hidden_global_offset_x
      - .offset:         112
        .size:           8
        .value_kind:     hidden_global_offset_y
      - .offset:         120
        .size:           8
        .value_kind:     hidden_global_offset_z
      - .offset:         128
        .size:           2
        .value_kind:     hidden_grid_dims
    .group_segment_fixed_size: 0
    .kernarg_segment_align: 8
    .kernarg_segment_size: 320
    .language:       OpenCL C
    .language_version:
      - 2
      - 0
    .max_flat_workgroup_size: 32
    .name:           _ZN2at6native12_GLOBAL__N_135GammaBetaBackwardCUDAKernelTemplateIddLj32ELj1ELj8ELb1ELb0ELb0EEEvllPKT_S5_PKT0_S8_PS3_S9_
    .private_segment_fixed_size: 0
    .sgpr_count:     38
    .sgpr_spill_count: 0
    .symbol:         _ZN2at6native12_GLOBAL__N_135GammaBetaBackwardCUDAKernelTemplateIddLj32ELj1ELj8ELb1ELb0ELb0EEEvllPKT_S5_PKT0_S8_PS3_S9_.kd
    .uniform_work_group_size: 1
    .uses_dynamic_stack: false
    .vgpr_count:     118
    .vgpr_spill_count: 0
    .wavefront_size: 32
  - .args:
      - .offset:         0
        .size:           8
        .value_kind:     by_value
      - .offset:         8
        .size:           8
        .value_kind:     by_value
      - .actual_access:  read_only
        .address_space:  global
        .offset:         16
        .size:           8
        .value_kind:     global_buffer
      - .actual_access:  read_only
        .address_space:  global
        .offset:         24
        .size:           8
        .value_kind:     global_buffer
      - .actual_access:  read_only
        .address_space:  global
        .offset:         32
        .size:           8
        .value_kind:     global_buffer
      - .actual_access:  read_only
        .address_space:  global
        .offset:         40
        .size:           8
        .value_kind:     global_buffer
      - .actual_access:  write_only
        .address_space:  global
        .offset:         48
        .size:           8
        .value_kind:     global_buffer
      - .actual_access:  write_only
        .address_space:  global
        .offset:         56
        .size:           8
        .value_kind:     global_buffer
      - .offset:         64
        .size:           4
        .value_kind:     hidden_block_count_x
      - .offset:         68
        .size:           4
        .value_kind:     hidden_block_count_y
      - .offset:         72
        .size:           4
        .value_kind:     hidden_block_count_z
      - .offset:         76
        .size:           2
        .value_kind:     hidden_group_size_x
      - .offset:         78
        .size:           2
        .value_kind:     hidden_group_size_y
      - .offset:         80
        .size:           2
        .value_kind:     hidden_group_size_z
      - .offset:         82
        .size:           2
        .value_kind:     hidden_remainder_x
      - .offset:         84
        .size:           2
        .value_kind:     hidden_remainder_y
      - .offset:         86
        .size:           2
        .value_kind:     hidden_remainder_z
      - .offset:         104
        .size:           8
        .value_kind:     hidden_global_offset_x
      - .offset:         112
        .size:           8
        .value_kind:     hidden_global_offset_y
      - .offset:         120
        .size:           8
        .value_kind:     hidden_global_offset_z
      - .offset:         128
        .size:           2
        .value_kind:     hidden_grid_dims
      - .offset:         184
        .size:           4
        .value_kind:     hidden_dynamic_lds_size
    .group_segment_fixed_size: 0
    .kernarg_segment_align: 8
    .kernarg_segment_size: 320
    .language:       OpenCL C
    .language_version:
      - 2
      - 0
    .max_flat_workgroup_size: 256
    .name:           _ZN2at6native12_GLOBAL__N_135GammaBetaBackwardCUDAKernelTemplateIddLj32ELj8ELj64ELb0ELb1ELb0EEEvllPKT_S5_PKT0_S8_PS3_S9_
    .private_segment_fixed_size: 0
    .sgpr_count:     28
    .sgpr_spill_count: 0
    .symbol:         _ZN2at6native12_GLOBAL__N_135GammaBetaBackwardCUDAKernelTemplateIddLj32ELj8ELj64ELb0ELb1ELb0EEEvllPKT_S5_PKT0_S8_PS3_S9_.kd
    .uniform_work_group_size: 1
    .uses_dynamic_stack: false
    .vgpr_count:     60
    .vgpr_spill_count: 0
    .wavefront_size: 32
  - .args:
      - .offset:         0
        .size:           8
        .value_kind:     by_value
      - .offset:         8
        .size:           8
        .value_kind:     by_value
      - .actual_access:  read_only
        .address_space:  global
        .offset:         16
        .size:           8
        .value_kind:     global_buffer
      - .actual_access:  read_only
        .address_space:  global
        .offset:         24
        .size:           8
        .value_kind:     global_buffer
      - .actual_access:  read_only
        .address_space:  global
        .offset:         32
        .size:           8
        .value_kind:     global_buffer
      - .actual_access:  read_only
        .address_space:  global
        .offset:         40
        .size:           8
        .value_kind:     global_buffer
      - .actual_access:  write_only
        .address_space:  global
        .offset:         48
        .size:           8
        .value_kind:     global_buffer
      - .actual_access:  write_only
        .address_space:  global
        .offset:         56
        .size:           8
        .value_kind:     global_buffer
      - .offset:         64
        .size:           4
        .value_kind:     hidden_block_count_x
      - .offset:         68
        .size:           4
        .value_kind:     hidden_block_count_y
      - .offset:         72
        .size:           4
        .value_kind:     hidden_block_count_z
      - .offset:         76
        .size:           2
        .value_kind:     hidden_group_size_x
      - .offset:         78
        .size:           2
        .value_kind:     hidden_group_size_y
      - .offset:         80
        .size:           2
        .value_kind:     hidden_group_size_z
      - .offset:         82
        .size:           2
        .value_kind:     hidden_remainder_x
      - .offset:         84
        .size:           2
        .value_kind:     hidden_remainder_y
      - .offset:         86
        .size:           2
        .value_kind:     hidden_remainder_z
      - .offset:         104
        .size:           8
        .value_kind:     hidden_global_offset_x
      - .offset:         112
        .size:           8
        .value_kind:     hidden_global_offset_y
      - .offset:         120
        .size:           8
        .value_kind:     hidden_global_offset_z
      - .offset:         128
        .size:           2
        .value_kind:     hidden_grid_dims
      - .offset:         184
        .size:           4
        .value_kind:     hidden_dynamic_lds_size
    .group_segment_fixed_size: 0
    .kernarg_segment_align: 8
    .kernarg_segment_size: 320
    .language:       OpenCL C
    .language_version:
      - 2
      - 0
    .max_flat_workgroup_size: 256
    .name:           _ZN2at6native12_GLOBAL__N_135GammaBetaBackwardCUDAKernelTemplateIddLj32ELj8ELj64ELb0ELb0ELb0EEEvllPKT_S5_PKT0_S8_PS3_S9_
    .private_segment_fixed_size: 0
    .sgpr_count:     54
    .sgpr_spill_count: 0
    .symbol:         _ZN2at6native12_GLOBAL__N_135GammaBetaBackwardCUDAKernelTemplateIddLj32ELj8ELj64ELb0ELb0ELb0EEEvllPKT_S5_PKT0_S8_PS3_S9_.kd
    .uniform_work_group_size: 1
    .uses_dynamic_stack: false
    .vgpr_count:     118
    .vgpr_spill_count: 0
    .wavefront_size: 32
  - .args:
      - .offset:         0
        .size:           8
        .value_kind:     by_value
      - .offset:         8
        .size:           8
        .value_kind:     by_value
      - .actual_access:  read_only
        .address_space:  global
        .offset:         16
        .size:           8
        .value_kind:     global_buffer
      - .actual_access:  read_only
        .address_space:  global
        .offset:         24
        .size:           8
        .value_kind:     global_buffer
      - .actual_access:  read_only
        .address_space:  global
        .offset:         32
        .size:           8
        .value_kind:     global_buffer
      - .actual_access:  read_only
        .address_space:  global
        .offset:         40
        .size:           8
        .value_kind:     global_buffer
      - .actual_access:  write_only
        .address_space:  global
        .offset:         48
        .size:           8
        .value_kind:     global_buffer
      - .actual_access:  write_only
        .address_space:  global
        .offset:         56
        .size:           8
        .value_kind:     global_buffer
      - .offset:         64
        .size:           4
        .value_kind:     hidden_block_count_x
      - .offset:         68
        .size:           4
        .value_kind:     hidden_block_count_y
      - .offset:         72
        .size:           4
        .value_kind:     hidden_block_count_z
      - .offset:         76
        .size:           2
        .value_kind:     hidden_group_size_x
      - .offset:         78
        .size:           2
        .value_kind:     hidden_group_size_y
      - .offset:         80
        .size:           2
        .value_kind:     hidden_group_size_z
      - .offset:         82
        .size:           2
        .value_kind:     hidden_remainder_x
      - .offset:         84
        .size:           2
        .value_kind:     hidden_remainder_y
      - .offset:         86
        .size:           2
        .value_kind:     hidden_remainder_z
      - .offset:         104
        .size:           8
        .value_kind:     hidden_global_offset_x
      - .offset:         112
        .size:           8
        .value_kind:     hidden_global_offset_y
      - .offset:         120
        .size:           8
        .value_kind:     hidden_global_offset_z
      - .offset:         128
        .size:           2
        .value_kind:     hidden_grid_dims
      - .offset:         184
        .size:           4
        .value_kind:     hidden_dynamic_lds_size
    .group_segment_fixed_size: 0
    .kernarg_segment_align: 8
    .kernarg_segment_size: 320
    .language:       OpenCL C
    .language_version:
      - 2
      - 0
    .max_flat_workgroup_size: 512
    .name:           _ZN2at6native12_GLOBAL__N_135GammaBetaBackwardCUDAKernelTemplateIddLj32ELj16ELj128ELb0ELb1ELb0EEEvllPKT_S5_PKT0_S8_PS3_S9_
    .private_segment_fixed_size: 0
    .sgpr_count:     28
    .sgpr_spill_count: 0
    .symbol:         _ZN2at6native12_GLOBAL__N_135GammaBetaBackwardCUDAKernelTemplateIddLj32ELj16ELj128ELb0ELb1ELb0EEEvllPKT_S5_PKT0_S8_PS3_S9_.kd
    .uniform_work_group_size: 1
    .uses_dynamic_stack: false
    .vgpr_count:     60
    .vgpr_spill_count: 0
    .wavefront_size: 32
  - .args:
      - .offset:         0
        .size:           8
        .value_kind:     by_value
      - .offset:         8
        .size:           8
        .value_kind:     by_value
      - .actual_access:  read_only
        .address_space:  global
        .offset:         16
        .size:           8
        .value_kind:     global_buffer
      - .actual_access:  read_only
        .address_space:  global
        .offset:         24
        .size:           8
        .value_kind:     global_buffer
      - .actual_access:  read_only
        .address_space:  global
        .offset:         32
        .size:           8
        .value_kind:     global_buffer
      - .actual_access:  read_only
        .address_space:  global
        .offset:         40
        .size:           8
        .value_kind:     global_buffer
      - .actual_access:  write_only
        .address_space:  global
        .offset:         48
        .size:           8
        .value_kind:     global_buffer
      - .actual_access:  write_only
        .address_space:  global
        .offset:         56
        .size:           8
        .value_kind:     global_buffer
      - .offset:         64
        .size:           4
        .value_kind:     hidden_block_count_x
      - .offset:         68
        .size:           4
        .value_kind:     hidden_block_count_y
      - .offset:         72
        .size:           4
        .value_kind:     hidden_block_count_z
      - .offset:         76
        .size:           2
        .value_kind:     hidden_group_size_x
      - .offset:         78
        .size:           2
        .value_kind:     hidden_group_size_y
      - .offset:         80
        .size:           2
        .value_kind:     hidden_group_size_z
      - .offset:         82
        .size:           2
        .value_kind:     hidden_remainder_x
      - .offset:         84
        .size:           2
        .value_kind:     hidden_remainder_y
      - .offset:         86
        .size:           2
        .value_kind:     hidden_remainder_z
      - .offset:         104
        .size:           8
        .value_kind:     hidden_global_offset_x
      - .offset:         112
        .size:           8
        .value_kind:     hidden_global_offset_y
      - .offset:         120
        .size:           8
        .value_kind:     hidden_global_offset_z
      - .offset:         128
        .size:           2
        .value_kind:     hidden_grid_dims
      - .offset:         184
        .size:           4
        .value_kind:     hidden_dynamic_lds_size
    .group_segment_fixed_size: 0
    .kernarg_segment_align: 8
    .kernarg_segment_size: 320
    .language:       OpenCL C
    .language_version:
      - 2
      - 0
    .max_flat_workgroup_size: 512
    .name:           _ZN2at6native12_GLOBAL__N_135GammaBetaBackwardCUDAKernelTemplateIddLj32ELj16ELj128ELb0ELb0ELb0EEEvllPKT_S5_PKT0_S8_PS3_S9_
    .private_segment_fixed_size: 0
    .sgpr_count:     54
    .sgpr_spill_count: 0
    .symbol:         _ZN2at6native12_GLOBAL__N_135GammaBetaBackwardCUDAKernelTemplateIddLj32ELj16ELj128ELb0ELb0ELb0EEEvllPKT_S5_PKT0_S8_PS3_S9_.kd
    .uniform_work_group_size: 1
    .uses_dynamic_stack: false
    .vgpr_count:     118
    .vgpr_spill_count: 0
    .wavefront_size: 32
  - .args:
      - .offset:         0
        .size:           8
        .value_kind:     by_value
      - .offset:         8
        .size:           8
        .value_kind:     by_value
      - .actual_access:  read_only
        .address_space:  global
        .offset:         16
        .size:           8
        .value_kind:     global_buffer
      - .actual_access:  read_only
        .address_space:  global
        .offset:         24
        .size:           8
        .value_kind:     global_buffer
      - .actual_access:  read_only
        .address_space:  global
        .offset:         32
        .size:           8
        .value_kind:     global_buffer
      - .actual_access:  read_only
        .address_space:  global
        .offset:         40
        .size:           8
        .value_kind:     global_buffer
      - .actual_access:  write_only
        .address_space:  global
        .offset:         48
        .size:           8
        .value_kind:     global_buffer
      - .actual_access:  write_only
        .address_space:  global
        .offset:         56
        .size:           8
        .value_kind:     global_buffer
      - .offset:         64
        .size:           4
        .value_kind:     hidden_block_count_x
      - .offset:         68
        .size:           4
        .value_kind:     hidden_block_count_y
      - .offset:         72
        .size:           4
        .value_kind:     hidden_block_count_z
      - .offset:         76
        .size:           2
        .value_kind:     hidden_group_size_x
      - .offset:         78
        .size:           2
        .value_kind:     hidden_group_size_y
      - .offset:         80
        .size:           2
        .value_kind:     hidden_group_size_z
      - .offset:         82
        .size:           2
        .value_kind:     hidden_remainder_x
      - .offset:         84
        .size:           2
        .value_kind:     hidden_remainder_y
      - .offset:         86
        .size:           2
        .value_kind:     hidden_remainder_z
      - .offset:         104
        .size:           8
        .value_kind:     hidden_global_offset_x
      - .offset:         112
        .size:           8
        .value_kind:     hidden_global_offset_y
      - .offset:         120
        .size:           8
        .value_kind:     hidden_global_offset_z
      - .offset:         128
        .size:           2
        .value_kind:     hidden_grid_dims
      - .offset:         184
        .size:           4
        .value_kind:     hidden_dynamic_lds_size
    .group_segment_fixed_size: 0
    .kernarg_segment_align: 8
    .kernarg_segment_size: 320
    .language:       OpenCL C
    .language_version:
      - 2
      - 0
    .max_flat_workgroup_size: 1024
    .name:           _ZN2at6native12_GLOBAL__N_135GammaBetaBackwardCUDAKernelTemplateIddLj32ELj32ELj256ELb0ELb1ELb0EEEvllPKT_S5_PKT0_S8_PS3_S9_
    .private_segment_fixed_size: 0
    .sgpr_count:     28
    .sgpr_spill_count: 0
    .symbol:         _ZN2at6native12_GLOBAL__N_135GammaBetaBackwardCUDAKernelTemplateIddLj32ELj32ELj256ELb0ELb1ELb0EEEvllPKT_S5_PKT0_S8_PS3_S9_.kd
    .uniform_work_group_size: 1
    .uses_dynamic_stack: false
    .vgpr_count:     60
    .vgpr_spill_count: 0
    .wavefront_size: 32
  - .args:
      - .offset:         0
        .size:           8
        .value_kind:     by_value
      - .offset:         8
        .size:           8
        .value_kind:     by_value
      - .actual_access:  read_only
        .address_space:  global
        .offset:         16
        .size:           8
        .value_kind:     global_buffer
      - .actual_access:  read_only
        .address_space:  global
        .offset:         24
        .size:           8
        .value_kind:     global_buffer
      - .actual_access:  read_only
        .address_space:  global
        .offset:         32
        .size:           8
        .value_kind:     global_buffer
      - .actual_access:  read_only
        .address_space:  global
        .offset:         40
        .size:           8
        .value_kind:     global_buffer
      - .actual_access:  write_only
        .address_space:  global
        .offset:         48
        .size:           8
        .value_kind:     global_buffer
      - .actual_access:  write_only
        .address_space:  global
        .offset:         56
        .size:           8
        .value_kind:     global_buffer
      - .offset:         64
        .size:           4
        .value_kind:     hidden_block_count_x
      - .offset:         68
        .size:           4
        .value_kind:     hidden_block_count_y
      - .offset:         72
        .size:           4
        .value_kind:     hidden_block_count_z
      - .offset:         76
        .size:           2
        .value_kind:     hidden_group_size_x
      - .offset:         78
        .size:           2
        .value_kind:     hidden_group_size_y
      - .offset:         80
        .size:           2
        .value_kind:     hidden_group_size_z
      - .offset:         82
        .size:           2
        .value_kind:     hidden_remainder_x
      - .offset:         84
        .size:           2
        .value_kind:     hidden_remainder_y
      - .offset:         86
        .size:           2
        .value_kind:     hidden_remainder_z
      - .offset:         104
        .size:           8
        .value_kind:     hidden_global_offset_x
      - .offset:         112
        .size:           8
        .value_kind:     hidden_global_offset_y
      - .offset:         120
        .size:           8
        .value_kind:     hidden_global_offset_z
      - .offset:         128
        .size:           2
        .value_kind:     hidden_grid_dims
      - .offset:         184
        .size:           4
        .value_kind:     hidden_dynamic_lds_size
    .group_segment_fixed_size: 0
    .kernarg_segment_align: 8
    .kernarg_segment_size: 320
    .language:       OpenCL C
    .language_version:
      - 2
      - 0
    .max_flat_workgroup_size: 1024
    .name:           _ZN2at6native12_GLOBAL__N_135GammaBetaBackwardCUDAKernelTemplateIddLj32ELj32ELj256ELb0ELb0ELb0EEEvllPKT_S5_PKT0_S8_PS3_S9_
    .private_segment_fixed_size: 0
    .sgpr_count:     54
    .sgpr_spill_count: 0
    .symbol:         _ZN2at6native12_GLOBAL__N_135GammaBetaBackwardCUDAKernelTemplateIddLj32ELj32ELj256ELb0ELb0ELb0EEEvllPKT_S5_PKT0_S8_PS3_S9_.kd
    .uniform_work_group_size: 1
    .uses_dynamic_stack: false
    .vgpr_count:     118
    .vgpr_spill_count: 0
    .wavefront_size: 32
  - .args:
      - .actual_access:  read_only
        .address_space:  global
        .offset:         0
        .size:           8
        .value_kind:     global_buffer
      - .actual_access:  read_only
        .address_space:  global
        .offset:         8
        .size:           8
        .value_kind:     global_buffer
      - .offset:         16
        .size:           8
        .value_kind:     by_value
      - .offset:         24
        .size:           8
        .value_kind:     by_value
      - .actual_access:  read_only
        .address_space:  global
        .offset:         32
        .size:           8
        .value_kind:     global_buffer
      - .actual_access:  read_only
        .address_space:  global
        .offset:         40
        .size:           8
        .value_kind:     global_buffer
      - .address_space:  global
        .offset:         48
        .size:           8
        .value_kind:     global_buffer
      - .address_space:  global
        .offset:         56
        .size:           8
        .value_kind:     global_buffer
      - .offset:         64
        .size:           4
        .value_kind:     hidden_block_count_x
      - .offset:         68
        .size:           4
        .value_kind:     hidden_block_count_y
      - .offset:         72
        .size:           4
        .value_kind:     hidden_block_count_z
      - .offset:         76
        .size:           2
        .value_kind:     hidden_group_size_x
      - .offset:         78
        .size:           2
        .value_kind:     hidden_group_size_y
      - .offset:         80
        .size:           2
        .value_kind:     hidden_group_size_z
      - .offset:         82
        .size:           2
        .value_kind:     hidden_remainder_x
      - .offset:         84
        .size:           2
        .value_kind:     hidden_remainder_y
      - .offset:         86
        .size:           2
        .value_kind:     hidden_remainder_z
      - .offset:         104
        .size:           8
        .value_kind:     hidden_global_offset_x
      - .offset:         112
        .size:           8
        .value_kind:     hidden_global_offset_y
      - .offset:         120
        .size:           8
        .value_kind:     hidden_global_offset_z
      - .offset:         128
        .size:           2
        .value_kind:     hidden_grid_dims
      - .offset:         184
        .size:           4
        .value_kind:     hidden_dynamic_lds_size
    .group_segment_fixed_size: 0
    .kernarg_segment_align: 8
    .kernarg_segment_size: 320
    .language:       OpenCL C
    .language_version:
      - 2
      - 0
    .max_flat_workgroup_size: 1024
    .name:           _ZN2at6native12_GLOBAL__N_118cuComputeGradInputIffLb0EEEvPKT_S5_llPKT0_S8_S5_PS3_
    .private_segment_fixed_size: 0
    .sgpr_count:     44
    .sgpr_spill_count: 0
    .symbol:         _ZN2at6native12_GLOBAL__N_118cuComputeGradInputIffLb0EEEvPKT_S5_llPKT0_S8_S5_PS3_.kd
    .uniform_work_group_size: 1
    .uses_dynamic_stack: false
    .vgpr_count:     28
    .vgpr_spill_count: 0
    .wavefront_size: 32
  - .args:
      - .actual_access:  read_only
        .address_space:  global
        .offset:         0
        .size:           8
        .value_kind:     global_buffer
      - .actual_access:  read_only
        .address_space:  global
        .offset:         8
        .size:           8
        .value_kind:     global_buffer
      - .actual_access:  read_only
        .address_space:  global
        .offset:         16
        .size:           8
        .value_kind:     global_buffer
      - .actual_access:  read_only
        .address_space:  global
        .offset:         24
        .size:           8
        .value_kind:     global_buffer
      - .actual_access:  read_only
        .address_space:  global
        .offset:         32
        .size:           8
        .value_kind:     global_buffer
      - .address_space:  global
        .offset:         40
        .size:           8
        .value_kind:     global_buffer
      - .offset:         48
        .size:           4
        .value_kind:     by_value
      - .offset:         56
        .size:           4
        .value_kind:     hidden_block_count_x
      - .offset:         60
        .size:           4
        .value_kind:     hidden_block_count_y
      - .offset:         64
        .size:           4
        .value_kind:     hidden_block_count_z
      - .offset:         68
        .size:           2
        .value_kind:     hidden_group_size_x
      - .offset:         70
        .size:           2
        .value_kind:     hidden_group_size_y
      - .offset:         72
        .size:           2
        .value_kind:     hidden_group_size_z
      - .offset:         74
        .size:           2
        .value_kind:     hidden_remainder_x
      - .offset:         76
        .size:           2
        .value_kind:     hidden_remainder_y
      - .offset:         78
        .size:           2
        .value_kind:     hidden_remainder_z
      - .offset:         96
        .size:           8
        .value_kind:     hidden_global_offset_x
      - .offset:         104
        .size:           8
        .value_kind:     hidden_global_offset_y
      - .offset:         112
        .size:           8
        .value_kind:     hidden_global_offset_z
      - .offset:         120
        .size:           2
        .value_kind:     hidden_grid_dims
      - .offset:         176
        .size:           4
        .value_kind:     hidden_dynamic_lds_size
    .group_segment_fixed_size: 0
    .kernarg_segment_align: 8
    .kernarg_segment_size: 312
    .language:       OpenCL C
    .language_version:
      - 2
      - 0
    .max_flat_workgroup_size: 1024
    .name:           _ZN2at6native12_GLOBAL__N_128layer_norm_grad_input_kernelIffLb0EEEvPKT_S5_PKT0_S8_S5_PS3_i
    .private_segment_fixed_size: 0
    .sgpr_count:     25
    .sgpr_spill_count: 0
    .symbol:         _ZN2at6native12_GLOBAL__N_128layer_norm_grad_input_kernelIffLb0EEEvPKT_S5_PKT0_S8_S5_PS3_i.kd
    .uniform_work_group_size: 1
    .uses_dynamic_stack: false
    .vgpr_count:     22
    .vgpr_spill_count: 0
    .wavefront_size: 32
  - .args:
      - .offset:         0
        .size:           8
        .value_kind:     by_value
      - .offset:         8
        .size:           8
        .value_kind:     by_value
      - .address_space:  global
        .offset:         16
        .size:           8
        .value_kind:     global_buffer
      - .address_space:  global
        .offset:         24
        .size:           8
        .value_kind:     global_buffer
      - .address_space:  global
        .offset:         32
        .size:           8
        .value_kind:     global_buffer
      - .address_space:  global
        .offset:         40
        .size:           8
        .value_kind:     global_buffer
      - .address_space:  global
        .offset:         48
        .size:           8
        .value_kind:     global_buffer
      - .address_space:  global
        .offset:         56
        .size:           8
        .value_kind:     global_buffer
      - .offset:         64
        .size:           4
        .value_kind:     hidden_block_count_x
      - .offset:         68
        .size:           4
        .value_kind:     hidden_block_count_y
      - .offset:         72
        .size:           4
        .value_kind:     hidden_block_count_z
      - .offset:         76
        .size:           2
        .value_kind:     hidden_group_size_x
      - .offset:         78
        .size:           2
        .value_kind:     hidden_group_size_y
      - .offset:         80
        .size:           2
        .value_kind:     hidden_group_size_z
      - .offset:         82
        .size:           2
        .value_kind:     hidden_remainder_x
      - .offset:         84
        .size:           2
        .value_kind:     hidden_remainder_y
      - .offset:         86
        .size:           2
        .value_kind:     hidden_remainder_z
      - .offset:         104
        .size:           8
        .value_kind:     hidden_global_offset_x
      - .offset:         112
        .size:           8
        .value_kind:     hidden_global_offset_y
      - .offset:         120
        .size:           8
        .value_kind:     hidden_global_offset_z
      - .offset:         128
        .size:           2
        .value_kind:     hidden_grid_dims
    .group_segment_fixed_size: 0
    .kernarg_segment_align: 8
    .kernarg_segment_size: 320
    .language:       OpenCL C
    .language_version:
      - 2
      - 0
    .max_flat_workgroup_size: 1024
    .name:           _ZN2at6native12_GLOBAL__N_133GammaBetaBackwardSimpleCUDAKernelIffLb0EEEvllPKT_S5_PKT0_S8_PS3_S9_
    .private_segment_fixed_size: 0
    .sgpr_count:     23
    .sgpr_spill_count: 0
    .symbol:         _ZN2at6native12_GLOBAL__N_133GammaBetaBackwardSimpleCUDAKernelIffLb0EEEvllPKT_S5_PKT0_S8_PS3_S9_.kd
    .uniform_work_group_size: 1
    .uses_dynamic_stack: false
    .vgpr_count:     12
    .vgpr_spill_count: 0
    .wavefront_size: 32
  - .args:
      - .offset:         0
        .size:           8
        .value_kind:     by_value
      - .offset:         8
        .size:           8
        .value_kind:     by_value
      - .actual_access:  read_only
        .address_space:  global
        .offset:         16
        .size:           8
        .value_kind:     global_buffer
      - .actual_access:  read_only
        .address_space:  global
        .offset:         24
        .size:           8
        .value_kind:     global_buffer
      - .actual_access:  read_only
        .address_space:  global
        .offset:         32
        .size:           8
        .value_kind:     global_buffer
      - .actual_access:  read_only
        .address_space:  global
        .offset:         40
        .size:           8
        .value_kind:     global_buffer
      - .actual_access:  write_only
        .address_space:  global
        .offset:         48
        .size:           8
        .value_kind:     global_buffer
      - .actual_access:  write_only
        .address_space:  global
        .offset:         56
        .size:           8
        .value_kind:     global_buffer
      - .offset:         64
        .size:           4
        .value_kind:     hidden_block_count_x
      - .offset:         68
        .size:           4
        .value_kind:     hidden_block_count_y
      - .offset:         72
        .size:           4
        .value_kind:     hidden_block_count_z
      - .offset:         76
        .size:           2
        .value_kind:     hidden_group_size_x
      - .offset:         78
        .size:           2
        .value_kind:     hidden_group_size_y
      - .offset:         80
        .size:           2
        .value_kind:     hidden_group_size_z
      - .offset:         82
        .size:           2
        .value_kind:     hidden_remainder_x
      - .offset:         84
        .size:           2
        .value_kind:     hidden_remainder_y
      - .offset:         86
        .size:           2
        .value_kind:     hidden_remainder_z
      - .offset:         104
        .size:           8
        .value_kind:     hidden_global_offset_x
      - .offset:         112
        .size:           8
        .value_kind:     hidden_global_offset_y
      - .offset:         120
        .size:           8
        .value_kind:     hidden_global_offset_z
      - .offset:         128
        .size:           2
        .value_kind:     hidden_grid_dims
    .group_segment_fixed_size: 0
    .kernarg_segment_align: 8
    .kernarg_segment_size: 320
    .language:       OpenCL C
    .language_version:
      - 2
      - 0
    .max_flat_workgroup_size: 64
    .name:           _ZN2at6native12_GLOBAL__N_135GammaBetaBackwardCUDAKernelTemplateIffLj64ELj1ELj32ELb1ELb1ELb0EEEvllPKT_S5_PKT0_S8_PS3_S9_
    .private_segment_fixed_size: 0
    .sgpr_count:     31
    .sgpr_spill_count: 0
    .symbol:         _ZN2at6native12_GLOBAL__N_135GammaBetaBackwardCUDAKernelTemplateIffLj64ELj1ELj32ELb1ELb1ELb0EEEvllPKT_S5_PKT0_S8_PS3_S9_.kd
    .uniform_work_group_size: 1
    .uses_dynamic_stack: false
    .vgpr_count:     63
    .vgpr_spill_count: 0
    .wavefront_size: 32
  - .args:
      - .offset:         0
        .size:           8
        .value_kind:     by_value
      - .offset:         8
        .size:           8
        .value_kind:     by_value
      - .actual_access:  read_only
        .address_space:  global
        .offset:         16
        .size:           8
        .value_kind:     global_buffer
      - .actual_access:  read_only
        .address_space:  global
        .offset:         24
        .size:           8
        .value_kind:     global_buffer
      - .actual_access:  read_only
        .address_space:  global
        .offset:         32
        .size:           8
        .value_kind:     global_buffer
      - .actual_access:  read_only
        .address_space:  global
        .offset:         40
        .size:           8
        .value_kind:     global_buffer
      - .actual_access:  write_only
        .address_space:  global
        .offset:         48
        .size:           8
        .value_kind:     global_buffer
      - .actual_access:  write_only
        .address_space:  global
        .offset:         56
        .size:           8
        .value_kind:     global_buffer
      - .offset:         64
        .size:           4
        .value_kind:     hidden_block_count_x
      - .offset:         68
        .size:           4
        .value_kind:     hidden_block_count_y
      - .offset:         72
        .size:           4
        .value_kind:     hidden_block_count_z
      - .offset:         76
        .size:           2
        .value_kind:     hidden_group_size_x
      - .offset:         78
        .size:           2
        .value_kind:     hidden_group_size_y
      - .offset:         80
        .size:           2
        .value_kind:     hidden_group_size_z
      - .offset:         82
        .size:           2
        .value_kind:     hidden_remainder_x
      - .offset:         84
        .size:           2
        .value_kind:     hidden_remainder_y
      - .offset:         86
        .size:           2
        .value_kind:     hidden_remainder_z
      - .offset:         104
        .size:           8
        .value_kind:     hidden_global_offset_x
      - .offset:         112
        .size:           8
        .value_kind:     hidden_global_offset_y
      - .offset:         120
        .size:           8
        .value_kind:     hidden_global_offset_z
      - .offset:         128
        .size:           2
        .value_kind:     hidden_grid_dims
    .group_segment_fixed_size: 0
    .kernarg_segment_align: 8
    .kernarg_segment_size: 320
    .language:       OpenCL C
    .language_version:
      - 2
      - 0
    .max_flat_workgroup_size: 64
    .name:           _ZN2at6native12_GLOBAL__N_135GammaBetaBackwardCUDAKernelTemplateIffLj64ELj1ELj32ELb1ELb0ELb0EEEvllPKT_S5_PKT0_S8_PS3_S9_
    .private_segment_fixed_size: 0
    .sgpr_count:     38
    .sgpr_spill_count: 0
    .symbol:         _ZN2at6native12_GLOBAL__N_135GammaBetaBackwardCUDAKernelTemplateIffLj64ELj1ELj32ELb1ELb0ELb0EEEvllPKT_S5_PKT0_S8_PS3_S9_.kd
    .uniform_work_group_size: 1
    .uses_dynamic_stack: false
    .vgpr_count:     348
    .vgpr_spill_count: 0
    .wavefront_size: 32
  - .args:
      - .offset:         0
        .size:           8
        .value_kind:     by_value
      - .offset:         8
        .size:           8
        .value_kind:     by_value
      - .actual_access:  read_only
        .address_space:  global
        .offset:         16
        .size:           8
        .value_kind:     global_buffer
      - .actual_access:  read_only
        .address_space:  global
        .offset:         24
        .size:           8
        .value_kind:     global_buffer
      - .actual_access:  read_only
        .address_space:  global
        .offset:         32
        .size:           8
        .value_kind:     global_buffer
      - .actual_access:  read_only
        .address_space:  global
        .offset:         40
        .size:           8
        .value_kind:     global_buffer
      - .actual_access:  write_only
        .address_space:  global
        .offset:         48
        .size:           8
        .value_kind:     global_buffer
      - .actual_access:  write_only
        .address_space:  global
        .offset:         56
        .size:           8
        .value_kind:     global_buffer
      - .offset:         64
        .size:           4
        .value_kind:     hidden_block_count_x
      - .offset:         68
        .size:           4
        .value_kind:     hidden_block_count_y
      - .offset:         72
        .size:           4
        .value_kind:     hidden_block_count_z
      - .offset:         76
        .size:           2
        .value_kind:     hidden_group_size_x
      - .offset:         78
        .size:           2
        .value_kind:     hidden_group_size_y
      - .offset:         80
        .size:           2
        .value_kind:     hidden_group_size_z
      - .offset:         82
        .size:           2
        .value_kind:     hidden_remainder_x
      - .offset:         84
        .size:           2
        .value_kind:     hidden_remainder_y
      - .offset:         86
        .size:           2
        .value_kind:     hidden_remainder_z
      - .offset:         104
        .size:           8
        .value_kind:     hidden_global_offset_x
      - .offset:         112
        .size:           8
        .value_kind:     hidden_global_offset_y
      - .offset:         120
        .size:           8
        .value_kind:     hidden_global_offset_z
      - .offset:         128
        .size:           2
        .value_kind:     hidden_grid_dims
    .group_segment_fixed_size: 0
    .kernarg_segment_align: 8
    .kernarg_segment_size: 320
    .language:       OpenCL C
    .language_version:
      - 2
      - 0
    .max_flat_workgroup_size: 64
    .name:           _ZN2at6native12_GLOBAL__N_135GammaBetaBackwardCUDAKernelTemplateIffLj64ELj1ELj8ELb1ELb1ELb0EEEvllPKT_S5_PKT0_S8_PS3_S9_
    .private_segment_fixed_size: 0
    .sgpr_count:     33
    .sgpr_spill_count: 0
    .symbol:         _ZN2at6native12_GLOBAL__N_135GammaBetaBackwardCUDAKernelTemplateIffLj64ELj1ELj8ELb1ELb1ELb0EEEvllPKT_S5_PKT0_S8_PS3_S9_.kd
    .uniform_work_group_size: 1
    .uses_dynamic_stack: false
    .vgpr_count:     46
    .vgpr_spill_count: 0
    .wavefront_size: 32
  - .args:
      - .offset:         0
        .size:           8
        .value_kind:     by_value
      - .offset:         8
        .size:           8
        .value_kind:     by_value
      - .actual_access:  read_only
        .address_space:  global
        .offset:         16
        .size:           8
        .value_kind:     global_buffer
      - .actual_access:  read_only
        .address_space:  global
        .offset:         24
        .size:           8
        .value_kind:     global_buffer
      - .actual_access:  read_only
        .address_space:  global
        .offset:         32
        .size:           8
        .value_kind:     global_buffer
      - .actual_access:  read_only
        .address_space:  global
        .offset:         40
        .size:           8
        .value_kind:     global_buffer
      - .actual_access:  write_only
        .address_space:  global
        .offset:         48
        .size:           8
        .value_kind:     global_buffer
      - .actual_access:  write_only
        .address_space:  global
        .offset:         56
        .size:           8
        .value_kind:     global_buffer
      - .offset:         64
        .size:           4
        .value_kind:     hidden_block_count_x
      - .offset:         68
        .size:           4
        .value_kind:     hidden_block_count_y
      - .offset:         72
        .size:           4
        .value_kind:     hidden_block_count_z
      - .offset:         76
        .size:           2
        .value_kind:     hidden_group_size_x
      - .offset:         78
        .size:           2
        .value_kind:     hidden_group_size_y
      - .offset:         80
        .size:           2
        .value_kind:     hidden_group_size_z
      - .offset:         82
        .size:           2
        .value_kind:     hidden_remainder_x
      - .offset:         84
        .size:           2
        .value_kind:     hidden_remainder_y
      - .offset:         86
        .size:           2
        .value_kind:     hidden_remainder_z
      - .offset:         104
        .size:           8
        .value_kind:     hidden_global_offset_x
      - .offset:         112
        .size:           8
        .value_kind:     hidden_global_offset_y
      - .offset:         120
        .size:           8
        .value_kind:     hidden_global_offset_z
      - .offset:         128
        .size:           2
        .value_kind:     hidden_grid_dims
    .group_segment_fixed_size: 0
    .kernarg_segment_align: 8
    .kernarg_segment_size: 320
    .language:       OpenCL C
    .language_version:
      - 2
      - 0
    .max_flat_workgroup_size: 64
    .name:           _ZN2at6native12_GLOBAL__N_135GammaBetaBackwardCUDAKernelTemplateIffLj64ELj1ELj8ELb1ELb0ELb0EEEvllPKT_S5_PKT0_S8_PS3_S9_
    .private_segment_fixed_size: 0
    .sgpr_count:     38
    .sgpr_spill_count: 0
    .symbol:         _ZN2at6native12_GLOBAL__N_135GammaBetaBackwardCUDAKernelTemplateIffLj64ELj1ELj8ELb1ELb0ELb0EEEvllPKT_S5_PKT0_S8_PS3_S9_.kd
    .uniform_work_group_size: 1
    .uses_dynamic_stack: false
    .vgpr_count:     104
    .vgpr_spill_count: 0
    .wavefront_size: 32
  - .args:
      - .offset:         0
        .size:           8
        .value_kind:     by_value
      - .offset:         8
        .size:           8
        .value_kind:     by_value
      - .actual_access:  read_only
        .address_space:  global
        .offset:         16
        .size:           8
        .value_kind:     global_buffer
      - .actual_access:  read_only
        .address_space:  global
        .offset:         24
        .size:           8
        .value_kind:     global_buffer
      - .actual_access:  read_only
        .address_space:  global
        .offset:         32
        .size:           8
        .value_kind:     global_buffer
      - .actual_access:  read_only
        .address_space:  global
        .offset:         40
        .size:           8
        .value_kind:     global_buffer
      - .actual_access:  write_only
        .address_space:  global
        .offset:         48
        .size:           8
        .value_kind:     global_buffer
      - .actual_access:  write_only
        .address_space:  global
        .offset:         56
        .size:           8
        .value_kind:     global_buffer
      - .offset:         64
        .size:           4
        .value_kind:     hidden_block_count_x
      - .offset:         68
        .size:           4
        .value_kind:     hidden_block_count_y
      - .offset:         72
        .size:           4
        .value_kind:     hidden_block_count_z
      - .offset:         76
        .size:           2
        .value_kind:     hidden_group_size_x
      - .offset:         78
        .size:           2
        .value_kind:     hidden_group_size_y
      - .offset:         80
        .size:           2
        .value_kind:     hidden_group_size_z
      - .offset:         82
        .size:           2
        .value_kind:     hidden_remainder_x
      - .offset:         84
        .size:           2
        .value_kind:     hidden_remainder_y
      - .offset:         86
        .size:           2
        .value_kind:     hidden_remainder_z
      - .offset:         104
        .size:           8
        .value_kind:     hidden_global_offset_x
      - .offset:         112
        .size:           8
        .value_kind:     hidden_global_offset_y
      - .offset:         120
        .size:           8
        .value_kind:     hidden_global_offset_z
      - .offset:         128
        .size:           2
        .value_kind:     hidden_grid_dims
      - .offset:         184
        .size:           4
        .value_kind:     hidden_dynamic_lds_size
    .group_segment_fixed_size: 0
    .kernarg_segment_align: 8
    .kernarg_segment_size: 320
    .language:       OpenCL C
    .language_version:
      - 2
      - 0
    .max_flat_workgroup_size: 512
    .name:           _ZN2at6native12_GLOBAL__N_135GammaBetaBackwardCUDAKernelTemplateIffLj64ELj8ELj64ELb0ELb1ELb0EEEvllPKT_S5_PKT0_S8_PS3_S9_
    .private_segment_fixed_size: 0
    .sgpr_count:     28
    .sgpr_spill_count: 0
    .symbol:         _ZN2at6native12_GLOBAL__N_135GammaBetaBackwardCUDAKernelTemplateIffLj64ELj8ELj64ELb0ELb1ELb0EEEvllPKT_S5_PKT0_S8_PS3_S9_.kd
    .uniform_work_group_size: 1
    .uses_dynamic_stack: false
    .vgpr_count:     46
    .vgpr_spill_count: 0
    .wavefront_size: 32
  - .args:
      - .offset:         0
        .size:           8
        .value_kind:     by_value
      - .offset:         8
        .size:           8
        .value_kind:     by_value
      - .actual_access:  read_only
        .address_space:  global
        .offset:         16
        .size:           8
        .value_kind:     global_buffer
      - .actual_access:  read_only
        .address_space:  global
        .offset:         24
        .size:           8
        .value_kind:     global_buffer
      - .actual_access:  read_only
        .address_space:  global
        .offset:         32
        .size:           8
        .value_kind:     global_buffer
      - .actual_access:  read_only
        .address_space:  global
        .offset:         40
        .size:           8
        .value_kind:     global_buffer
      - .actual_access:  write_only
        .address_space:  global
        .offset:         48
        .size:           8
        .value_kind:     global_buffer
      - .actual_access:  write_only
        .address_space:  global
        .offset:         56
        .size:           8
        .value_kind:     global_buffer
      - .offset:         64
        .size:           4
        .value_kind:     hidden_block_count_x
      - .offset:         68
        .size:           4
        .value_kind:     hidden_block_count_y
      - .offset:         72
        .size:           4
        .value_kind:     hidden_block_count_z
      - .offset:         76
        .size:           2
        .value_kind:     hidden_group_size_x
      - .offset:         78
        .size:           2
        .value_kind:     hidden_group_size_y
      - .offset:         80
        .size:           2
        .value_kind:     hidden_group_size_z
      - .offset:         82
        .size:           2
        .value_kind:     hidden_remainder_x
      - .offset:         84
        .size:           2
        .value_kind:     hidden_remainder_y
      - .offset:         86
        .size:           2
        .value_kind:     hidden_remainder_z
      - .offset:         104
        .size:           8
        .value_kind:     hidden_global_offset_x
      - .offset:         112
        .size:           8
        .value_kind:     hidden_global_offset_y
      - .offset:         120
        .size:           8
        .value_kind:     hidden_global_offset_z
      - .offset:         128
        .size:           2
        .value_kind:     hidden_grid_dims
      - .offset:         184
        .size:           4
        .value_kind:     hidden_dynamic_lds_size
    .group_segment_fixed_size: 0
    .kernarg_segment_align: 8
    .kernarg_segment_size: 320
    .language:       OpenCL C
    .language_version:
      - 2
      - 0
    .max_flat_workgroup_size: 512
    .name:           _ZN2at6native12_GLOBAL__N_135GammaBetaBackwardCUDAKernelTemplateIffLj64ELj8ELj64ELb0ELb0ELb0EEEvllPKT_S5_PKT0_S8_PS3_S9_
    .private_segment_fixed_size: 0
    .sgpr_count:     54
    .sgpr_spill_count: 0
    .symbol:         _ZN2at6native12_GLOBAL__N_135GammaBetaBackwardCUDAKernelTemplateIffLj64ELj8ELj64ELb0ELb0ELb0EEEvllPKT_S5_PKT0_S8_PS3_S9_.kd
    .uniform_work_group_size: 1
    .uses_dynamic_stack: false
    .vgpr_count:     106
    .vgpr_spill_count: 0
    .wavefront_size: 32
  - .args:
      - .offset:         0
        .size:           8
        .value_kind:     by_value
      - .offset:         8
        .size:           8
        .value_kind:     by_value
      - .actual_access:  read_only
        .address_space:  global
        .offset:         16
        .size:           8
        .value_kind:     global_buffer
      - .actual_access:  read_only
        .address_space:  global
        .offset:         24
        .size:           8
        .value_kind:     global_buffer
      - .actual_access:  read_only
        .address_space:  global
        .offset:         32
        .size:           8
        .value_kind:     global_buffer
      - .actual_access:  read_only
        .address_space:  global
        .offset:         40
        .size:           8
        .value_kind:     global_buffer
      - .actual_access:  write_only
        .address_space:  global
        .offset:         48
        .size:           8
        .value_kind:     global_buffer
      - .actual_access:  write_only
        .address_space:  global
        .offset:         56
        .size:           8
        .value_kind:     global_buffer
      - .offset:         64
        .size:           4
        .value_kind:     hidden_block_count_x
      - .offset:         68
        .size:           4
        .value_kind:     hidden_block_count_y
      - .offset:         72
        .size:           4
        .value_kind:     hidden_block_count_z
      - .offset:         76
        .size:           2
        .value_kind:     hidden_group_size_x
      - .offset:         78
        .size:           2
        .value_kind:     hidden_group_size_y
      - .offset:         80
        .size:           2
        .value_kind:     hidden_group_size_z
      - .offset:         82
        .size:           2
        .value_kind:     hidden_remainder_x
      - .offset:         84
        .size:           2
        .value_kind:     hidden_remainder_y
      - .offset:         86
        .size:           2
        .value_kind:     hidden_remainder_z
      - .offset:         104
        .size:           8
        .value_kind:     hidden_global_offset_x
      - .offset:         112
        .size:           8
        .value_kind:     hidden_global_offset_y
      - .offset:         120
        .size:           8
        .value_kind:     hidden_global_offset_z
      - .offset:         128
        .size:           2
        .value_kind:     hidden_grid_dims
      - .offset:         184
        .size:           4
        .value_kind:     hidden_dynamic_lds_size
    .group_segment_fixed_size: 0
    .kernarg_segment_align: 8
    .kernarg_segment_size: 320
    .language:       OpenCL C
    .language_version:
      - 2
      - 0
    .max_flat_workgroup_size: 1024
    .name:           _ZN2at6native12_GLOBAL__N_135GammaBetaBackwardCUDAKernelTemplateIffLj64ELj16ELj128ELb0ELb1ELb0EEEvllPKT_S5_PKT0_S8_PS3_S9_
    .private_segment_fixed_size: 0
    .sgpr_count:     28
    .sgpr_spill_count: 0
    .symbol:         _ZN2at6native12_GLOBAL__N_135GammaBetaBackwardCUDAKernelTemplateIffLj64ELj16ELj128ELb0ELb1ELb0EEEvllPKT_S5_PKT0_S8_PS3_S9_.kd
    .uniform_work_group_size: 1
    .uses_dynamic_stack: false
    .vgpr_count:     46
    .vgpr_spill_count: 0
    .wavefront_size: 32
  - .args:
      - .offset:         0
        .size:           8
        .value_kind:     by_value
      - .offset:         8
        .size:           8
        .value_kind:     by_value
      - .actual_access:  read_only
        .address_space:  global
        .offset:         16
        .size:           8
        .value_kind:     global_buffer
      - .actual_access:  read_only
        .address_space:  global
        .offset:         24
        .size:           8
        .value_kind:     global_buffer
      - .actual_access:  read_only
        .address_space:  global
        .offset:         32
        .size:           8
        .value_kind:     global_buffer
      - .actual_access:  read_only
        .address_space:  global
        .offset:         40
        .size:           8
        .value_kind:     global_buffer
      - .actual_access:  write_only
        .address_space:  global
        .offset:         48
        .size:           8
        .value_kind:     global_buffer
      - .actual_access:  write_only
        .address_space:  global
        .offset:         56
        .size:           8
        .value_kind:     global_buffer
      - .offset:         64
        .size:           4
        .value_kind:     hidden_block_count_x
      - .offset:         68
        .size:           4
        .value_kind:     hidden_block_count_y
      - .offset:         72
        .size:           4
        .value_kind:     hidden_block_count_z
      - .offset:         76
        .size:           2
        .value_kind:     hidden_group_size_x
      - .offset:         78
        .size:           2
        .value_kind:     hidden_group_size_y
      - .offset:         80
        .size:           2
        .value_kind:     hidden_group_size_z
      - .offset:         82
        .size:           2
        .value_kind:     hidden_remainder_x
      - .offset:         84
        .size:           2
        .value_kind:     hidden_remainder_y
      - .offset:         86
        .size:           2
        .value_kind:     hidden_remainder_z
      - .offset:         104
        .size:           8
        .value_kind:     hidden_global_offset_x
      - .offset:         112
        .size:           8
        .value_kind:     hidden_global_offset_y
      - .offset:         120
        .size:           8
        .value_kind:     hidden_global_offset_z
      - .offset:         128
        .size:           2
        .value_kind:     hidden_grid_dims
      - .offset:         184
        .size:           4
        .value_kind:     hidden_dynamic_lds_size
    .group_segment_fixed_size: 0
    .kernarg_segment_align: 8
    .kernarg_segment_size: 320
    .language:       OpenCL C
    .language_version:
      - 2
      - 0
    .max_flat_workgroup_size: 1024
    .name:           _ZN2at6native12_GLOBAL__N_135GammaBetaBackwardCUDAKernelTemplateIffLj64ELj16ELj128ELb0ELb0ELb0EEEvllPKT_S5_PKT0_S8_PS3_S9_
    .private_segment_fixed_size: 0
    .sgpr_count:     54
    .sgpr_spill_count: 0
    .symbol:         _ZN2at6native12_GLOBAL__N_135GammaBetaBackwardCUDAKernelTemplateIffLj64ELj16ELj128ELb0ELb0ELb0EEEvllPKT_S5_PKT0_S8_PS3_S9_.kd
    .uniform_work_group_size: 1
    .uses_dynamic_stack: false
    .vgpr_count:     106
    .vgpr_spill_count: 0
    .wavefront_size: 32
  - .args:
      - .offset:         0
        .size:           8
        .value_kind:     by_value
      - .offset:         8
        .size:           8
        .value_kind:     by_value
      - .actual_access:  read_only
        .address_space:  global
        .offset:         16
        .size:           8
        .value_kind:     global_buffer
      - .actual_access:  read_only
        .address_space:  global
        .offset:         24
        .size:           8
        .value_kind:     global_buffer
      - .actual_access:  read_only
        .address_space:  global
        .offset:         32
        .size:           8
        .value_kind:     global_buffer
      - .actual_access:  read_only
        .address_space:  global
        .offset:         40
        .size:           8
        .value_kind:     global_buffer
      - .actual_access:  write_only
        .address_space:  global
        .offset:         48
        .size:           8
        .value_kind:     global_buffer
      - .actual_access:  write_only
        .address_space:  global
        .offset:         56
        .size:           8
        .value_kind:     global_buffer
      - .offset:         64
        .size:           4
        .value_kind:     hidden_block_count_x
      - .offset:         68
        .size:           4
        .value_kind:     hidden_block_count_y
      - .offset:         72
        .size:           4
        .value_kind:     hidden_block_count_z
      - .offset:         76
        .size:           2
        .value_kind:     hidden_group_size_x
      - .offset:         78
        .size:           2
        .value_kind:     hidden_group_size_y
      - .offset:         80
        .size:           2
        .value_kind:     hidden_group_size_z
      - .offset:         82
        .size:           2
        .value_kind:     hidden_remainder_x
      - .offset:         84
        .size:           2
        .value_kind:     hidden_remainder_y
      - .offset:         86
        .size:           2
        .value_kind:     hidden_remainder_z
      - .offset:         104
        .size:           8
        .value_kind:     hidden_global_offset_x
      - .offset:         112
        .size:           8
        .value_kind:     hidden_global_offset_y
      - .offset:         120
        .size:           8
        .value_kind:     hidden_global_offset_z
      - .offset:         128
        .size:           2
        .value_kind:     hidden_grid_dims
      - .offset:         184
        .size:           4
        .value_kind:     hidden_dynamic_lds_size
    .group_segment_fixed_size: 0
    .kernarg_segment_align: 8
    .kernarg_segment_size: 320
    .language:       OpenCL C
    .language_version:
      - 2
      - 0
    .max_flat_workgroup_size: 1024
    .name:           _ZN2at6native12_GLOBAL__N_135GammaBetaBackwardCUDAKernelTemplateIffLj64ELj16ELj256ELb0ELb1ELb0EEEvllPKT_S5_PKT0_S8_PS3_S9_
    .private_segment_fixed_size: 0
    .sgpr_count:     28
    .sgpr_spill_count: 0
    .symbol:         _ZN2at6native12_GLOBAL__N_135GammaBetaBackwardCUDAKernelTemplateIffLj64ELj16ELj256ELb0ELb1ELb0EEEvllPKT_S5_PKT0_S8_PS3_S9_.kd
    .uniform_work_group_size: 1
    .uses_dynamic_stack: false
    .vgpr_count:     62
    .vgpr_spill_count: 0
    .wavefront_size: 32
  - .args:
      - .offset:         0
        .size:           8
        .value_kind:     by_value
      - .offset:         8
        .size:           8
        .value_kind:     by_value
      - .actual_access:  read_only
        .address_space:  global
        .offset:         16
        .size:           8
        .value_kind:     global_buffer
      - .actual_access:  read_only
        .address_space:  global
        .offset:         24
        .size:           8
        .value_kind:     global_buffer
      - .actual_access:  read_only
        .address_space:  global
        .offset:         32
        .size:           8
        .value_kind:     global_buffer
      - .actual_access:  read_only
        .address_space:  global
        .offset:         40
        .size:           8
        .value_kind:     global_buffer
      - .actual_access:  write_only
        .address_space:  global
        .offset:         48
        .size:           8
        .value_kind:     global_buffer
      - .actual_access:  write_only
        .address_space:  global
        .offset:         56
        .size:           8
        .value_kind:     global_buffer
      - .offset:         64
        .size:           4
        .value_kind:     hidden_block_count_x
      - .offset:         68
        .size:           4
        .value_kind:     hidden_block_count_y
      - .offset:         72
        .size:           4
        .value_kind:     hidden_block_count_z
      - .offset:         76
        .size:           2
        .value_kind:     hidden_group_size_x
      - .offset:         78
        .size:           2
        .value_kind:     hidden_group_size_y
      - .offset:         80
        .size:           2
        .value_kind:     hidden_group_size_z
      - .offset:         82
        .size:           2
        .value_kind:     hidden_remainder_x
      - .offset:         84
        .size:           2
        .value_kind:     hidden_remainder_y
      - .offset:         86
        .size:           2
        .value_kind:     hidden_remainder_z
      - .offset:         104
        .size:           8
        .value_kind:     hidden_global_offset_x
      - .offset:         112
        .size:           8
        .value_kind:     hidden_global_offset_y
      - .offset:         120
        .size:           8
        .value_kind:     hidden_global_offset_z
      - .offset:         128
        .size:           2
        .value_kind:     hidden_grid_dims
      - .offset:         184
        .size:           4
        .value_kind:     hidden_dynamic_lds_size
    .group_segment_fixed_size: 0
    .kernarg_segment_align: 8
    .kernarg_segment_size: 320
    .language:       OpenCL C
    .language_version:
      - 2
      - 0
    .max_flat_workgroup_size: 1024
    .name:           _ZN2at6native12_GLOBAL__N_135GammaBetaBackwardCUDAKernelTemplateIffLj64ELj16ELj256ELb0ELb0ELb0EEEvllPKT_S5_PKT0_S8_PS3_S9_
    .private_segment_fixed_size: 208
    .sgpr_count:     70
    .sgpr_spill_count: 0
    .symbol:         _ZN2at6native12_GLOBAL__N_135GammaBetaBackwardCUDAKernelTemplateIffLj64ELj16ELj256ELb0ELb0ELb0EEEvllPKT_S5_PKT0_S8_PS3_S9_.kd
    .uniform_work_group_size: 1
    .uses_dynamic_stack: false
    .vgpr_count:     128
    .vgpr_spill_count: 97
    .wavefront_size: 32
  - .args:
      - .offset:         0
        .size:           8
        .value_kind:     by_value
      - .offset:         8
        .size:           8
        .value_kind:     by_value
      - .actual_access:  read_only
        .address_space:  global
        .offset:         16
        .size:           8
        .value_kind:     global_buffer
      - .actual_access:  read_only
        .address_space:  global
        .offset:         24
        .size:           8
        .value_kind:     global_buffer
      - .actual_access:  read_only
        .address_space:  global
        .offset:         32
        .size:           8
        .value_kind:     global_buffer
      - .actual_access:  read_only
        .address_space:  global
        .offset:         40
        .size:           8
        .value_kind:     global_buffer
      - .actual_access:  write_only
        .address_space:  global
        .offset:         48
        .size:           8
        .value_kind:     global_buffer
      - .actual_access:  write_only
        .address_space:  global
        .offset:         56
        .size:           8
        .value_kind:     global_buffer
      - .offset:         64
        .size:           4
        .value_kind:     hidden_block_count_x
      - .offset:         68
        .size:           4
        .value_kind:     hidden_block_count_y
      - .offset:         72
        .size:           4
        .value_kind:     hidden_block_count_z
      - .offset:         76
        .size:           2
        .value_kind:     hidden_group_size_x
      - .offset:         78
        .size:           2
        .value_kind:     hidden_group_size_y
      - .offset:         80
        .size:           2
        .value_kind:     hidden_group_size_z
      - .offset:         82
        .size:           2
        .value_kind:     hidden_remainder_x
      - .offset:         84
        .size:           2
        .value_kind:     hidden_remainder_y
      - .offset:         86
        .size:           2
        .value_kind:     hidden_remainder_z
      - .offset:         104
        .size:           8
        .value_kind:     hidden_global_offset_x
      - .offset:         112
        .size:           8
        .value_kind:     hidden_global_offset_y
      - .offset:         120
        .size:           8
        .value_kind:     hidden_global_offset_z
      - .offset:         128
        .size:           2
        .value_kind:     hidden_grid_dims
    .group_segment_fixed_size: 0
    .kernarg_segment_align: 8
    .kernarg_segment_size: 320
    .language:       OpenCL C
    .language_version:
      - 2
      - 0
    .max_flat_workgroup_size: 32
    .name:           _ZN2at6native12_GLOBAL__N_135GammaBetaBackwardCUDAKernelTemplateIffLj32ELj1ELj32ELb1ELb1ELb0EEEvllPKT_S5_PKT0_S8_PS3_S9_
    .private_segment_fixed_size: 0
    .sgpr_count:     31
    .sgpr_spill_count: 0
    .symbol:         _ZN2at6native12_GLOBAL__N_135GammaBetaBackwardCUDAKernelTemplateIffLj32ELj1ELj32ELb1ELb1ELb0EEEvllPKT_S5_PKT0_S8_PS3_S9_.kd
    .uniform_work_group_size: 1
    .uses_dynamic_stack: false
    .vgpr_count:     63
    .vgpr_spill_count: 0
    .wavefront_size: 32
  - .args:
      - .offset:         0
        .size:           8
        .value_kind:     by_value
      - .offset:         8
        .size:           8
        .value_kind:     by_value
      - .actual_access:  read_only
        .address_space:  global
        .offset:         16
        .size:           8
        .value_kind:     global_buffer
      - .actual_access:  read_only
        .address_space:  global
        .offset:         24
        .size:           8
        .value_kind:     global_buffer
      - .actual_access:  read_only
        .address_space:  global
        .offset:         32
        .size:           8
        .value_kind:     global_buffer
      - .actual_access:  read_only
        .address_space:  global
        .offset:         40
        .size:           8
        .value_kind:     global_buffer
      - .actual_access:  write_only
        .address_space:  global
        .offset:         48
        .size:           8
        .value_kind:     global_buffer
      - .actual_access:  write_only
        .address_space:  global
        .offset:         56
        .size:           8
        .value_kind:     global_buffer
      - .offset:         64
        .size:           4
        .value_kind:     hidden_block_count_x
      - .offset:         68
        .size:           4
        .value_kind:     hidden_block_count_y
      - .offset:         72
        .size:           4
        .value_kind:     hidden_block_count_z
      - .offset:         76
        .size:           2
        .value_kind:     hidden_group_size_x
      - .offset:         78
        .size:           2
        .value_kind:     hidden_group_size_y
      - .offset:         80
        .size:           2
        .value_kind:     hidden_group_size_z
      - .offset:         82
        .size:           2
        .value_kind:     hidden_remainder_x
      - .offset:         84
        .size:           2
        .value_kind:     hidden_remainder_y
      - .offset:         86
        .size:           2
        .value_kind:     hidden_remainder_z
      - .offset:         104
        .size:           8
        .value_kind:     hidden_global_offset_x
      - .offset:         112
        .size:           8
        .value_kind:     hidden_global_offset_y
      - .offset:         120
        .size:           8
        .value_kind:     hidden_global_offset_z
      - .offset:         128
        .size:           2
        .value_kind:     hidden_grid_dims
    .group_segment_fixed_size: 0
    .kernarg_segment_align: 8
    .kernarg_segment_size: 320
    .language:       OpenCL C
    .language_version:
      - 2
      - 0
    .max_flat_workgroup_size: 32
    .name:           _ZN2at6native12_GLOBAL__N_135GammaBetaBackwardCUDAKernelTemplateIffLj32ELj1ELj32ELb1ELb0ELb0EEEvllPKT_S5_PKT0_S8_PS3_S9_
    .private_segment_fixed_size: 0
    .sgpr_count:     38
    .sgpr_spill_count: 0
    .symbol:         _ZN2at6native12_GLOBAL__N_135GammaBetaBackwardCUDAKernelTemplateIffLj32ELj1ELj32ELb1ELb0ELb0EEEvllPKT_S5_PKT0_S8_PS3_S9_.kd
    .uniform_work_group_size: 1
    .uses_dynamic_stack: false
    .vgpr_count:     348
    .vgpr_spill_count: 0
    .wavefront_size: 32
  - .args:
      - .offset:         0
        .size:           8
        .value_kind:     by_value
      - .offset:         8
        .size:           8
        .value_kind:     by_value
      - .actual_access:  read_only
        .address_space:  global
        .offset:         16
        .size:           8
        .value_kind:     global_buffer
      - .actual_access:  read_only
        .address_space:  global
        .offset:         24
        .size:           8
        .value_kind:     global_buffer
      - .actual_access:  read_only
        .address_space:  global
        .offset:         32
        .size:           8
        .value_kind:     global_buffer
      - .actual_access:  read_only
        .address_space:  global
        .offset:         40
        .size:           8
        .value_kind:     global_buffer
      - .actual_access:  write_only
        .address_space:  global
        .offset:         48
        .size:           8
        .value_kind:     global_buffer
      - .actual_access:  write_only
        .address_space:  global
        .offset:         56
        .size:           8
        .value_kind:     global_buffer
      - .offset:         64
        .size:           4
        .value_kind:     hidden_block_count_x
      - .offset:         68
        .size:           4
        .value_kind:     hidden_block_count_y
      - .offset:         72
        .size:           4
        .value_kind:     hidden_block_count_z
      - .offset:         76
        .size:           2
        .value_kind:     hidden_group_size_x
      - .offset:         78
        .size:           2
        .value_kind:     hidden_group_size_y
      - .offset:         80
        .size:           2
        .value_kind:     hidden_group_size_z
      - .offset:         82
        .size:           2
        .value_kind:     hidden_remainder_x
      - .offset:         84
        .size:           2
        .value_kind:     hidden_remainder_y
      - .offset:         86
        .size:           2
        .value_kind:     hidden_remainder_z
      - .offset:         104
        .size:           8
        .value_kind:     hidden_global_offset_x
      - .offset:         112
        .size:           8
        .value_kind:     hidden_global_offset_y
      - .offset:         120
        .size:           8
        .value_kind:     hidden_global_offset_z
      - .offset:         128
        .size:           2
        .value_kind:     hidden_grid_dims
    .group_segment_fixed_size: 0
    .kernarg_segment_align: 8
    .kernarg_segment_size: 320
    .language:       OpenCL C
    .language_version:
      - 2
      - 0
    .max_flat_workgroup_size: 32
    .name:           _ZN2at6native12_GLOBAL__N_135GammaBetaBackwardCUDAKernelTemplateIffLj32ELj1ELj8ELb1ELb1ELb0EEEvllPKT_S5_PKT0_S8_PS3_S9_
    .private_segment_fixed_size: 0
    .sgpr_count:     33
    .sgpr_spill_count: 0
    .symbol:         _ZN2at6native12_GLOBAL__N_135GammaBetaBackwardCUDAKernelTemplateIffLj32ELj1ELj8ELb1ELb1ELb0EEEvllPKT_S5_PKT0_S8_PS3_S9_.kd
    .uniform_work_group_size: 1
    .uses_dynamic_stack: false
    .vgpr_count:     46
    .vgpr_spill_count: 0
    .wavefront_size: 32
  - .args:
      - .offset:         0
        .size:           8
        .value_kind:     by_value
      - .offset:         8
        .size:           8
        .value_kind:     by_value
      - .actual_access:  read_only
        .address_space:  global
        .offset:         16
        .size:           8
        .value_kind:     global_buffer
      - .actual_access:  read_only
        .address_space:  global
        .offset:         24
        .size:           8
        .value_kind:     global_buffer
      - .actual_access:  read_only
        .address_space:  global
        .offset:         32
        .size:           8
        .value_kind:     global_buffer
      - .actual_access:  read_only
        .address_space:  global
        .offset:         40
        .size:           8
        .value_kind:     global_buffer
      - .actual_access:  write_only
        .address_space:  global
        .offset:         48
        .size:           8
        .value_kind:     global_buffer
      - .actual_access:  write_only
        .address_space:  global
        .offset:         56
        .size:           8
        .value_kind:     global_buffer
      - .offset:         64
        .size:           4
        .value_kind:     hidden_block_count_x
      - .offset:         68
        .size:           4
        .value_kind:     hidden_block_count_y
      - .offset:         72
        .size:           4
        .value_kind:     hidden_block_count_z
      - .offset:         76
        .size:           2
        .value_kind:     hidden_group_size_x
      - .offset:         78
        .size:           2
        .value_kind:     hidden_group_size_y
      - .offset:         80
        .size:           2
        .value_kind:     hidden_group_size_z
      - .offset:         82
        .size:           2
        .value_kind:     hidden_remainder_x
      - .offset:         84
        .size:           2
        .value_kind:     hidden_remainder_y
      - .offset:         86
        .size:           2
        .value_kind:     hidden_remainder_z
      - .offset:         104
        .size:           8
        .value_kind:     hidden_global_offset_x
      - .offset:         112
        .size:           8
        .value_kind:     hidden_global_offset_y
      - .offset:         120
        .size:           8
        .value_kind:     hidden_global_offset_z
      - .offset:         128
        .size:           2
        .value_kind:     hidden_grid_dims
    .group_segment_fixed_size: 0
    .kernarg_segment_align: 8
    .kernarg_segment_size: 320
    .language:       OpenCL C
    .language_version:
      - 2
      - 0
    .max_flat_workgroup_size: 32
    .name:           _ZN2at6native12_GLOBAL__N_135GammaBetaBackwardCUDAKernelTemplateIffLj32ELj1ELj8ELb1ELb0ELb0EEEvllPKT_S5_PKT0_S8_PS3_S9_
    .private_segment_fixed_size: 0
    .sgpr_count:     38
    .sgpr_spill_count: 0
    .symbol:         _ZN2at6native12_GLOBAL__N_135GammaBetaBackwardCUDAKernelTemplateIffLj32ELj1ELj8ELb1ELb0ELb0EEEvllPKT_S5_PKT0_S8_PS3_S9_.kd
    .uniform_work_group_size: 1
    .uses_dynamic_stack: false
    .vgpr_count:     104
    .vgpr_spill_count: 0
    .wavefront_size: 32
  - .args:
      - .offset:         0
        .size:           8
        .value_kind:     by_value
      - .offset:         8
        .size:           8
        .value_kind:     by_value
      - .actual_access:  read_only
        .address_space:  global
        .offset:         16
        .size:           8
        .value_kind:     global_buffer
      - .actual_access:  read_only
        .address_space:  global
        .offset:         24
        .size:           8
        .value_kind:     global_buffer
      - .actual_access:  read_only
        .address_space:  global
        .offset:         32
        .size:           8
        .value_kind:     global_buffer
      - .actual_access:  read_only
        .address_space:  global
        .offset:         40
        .size:           8
        .value_kind:     global_buffer
      - .actual_access:  write_only
        .address_space:  global
        .offset:         48
        .size:           8
        .value_kind:     global_buffer
      - .actual_access:  write_only
        .address_space:  global
        .offset:         56
        .size:           8
        .value_kind:     global_buffer
      - .offset:         64
        .size:           4
        .value_kind:     hidden_block_count_x
      - .offset:         68
        .size:           4
        .value_kind:     hidden_block_count_y
      - .offset:         72
        .size:           4
        .value_kind:     hidden_block_count_z
      - .offset:         76
        .size:           2
        .value_kind:     hidden_group_size_x
      - .offset:         78
        .size:           2
        .value_kind:     hidden_group_size_y
      - .offset:         80
        .size:           2
        .value_kind:     hidden_group_size_z
      - .offset:         82
        .size:           2
        .value_kind:     hidden_remainder_x
      - .offset:         84
        .size:           2
        .value_kind:     hidden_remainder_y
      - .offset:         86
        .size:           2
        .value_kind:     hidden_remainder_z
      - .offset:         104
        .size:           8
        .value_kind:     hidden_global_offset_x
      - .offset:         112
        .size:           8
        .value_kind:     hidden_global_offset_y
      - .offset:         120
        .size:           8
        .value_kind:     hidden_global_offset_z
      - .offset:         128
        .size:           2
        .value_kind:     hidden_grid_dims
      - .offset:         184
        .size:           4
        .value_kind:     hidden_dynamic_lds_size
    .group_segment_fixed_size: 0
    .kernarg_segment_align: 8
    .kernarg_segment_size: 320
    .language:       OpenCL C
    .language_version:
      - 2
      - 0
    .max_flat_workgroup_size: 256
    .name:           _ZN2at6native12_GLOBAL__N_135GammaBetaBackwardCUDAKernelTemplateIffLj32ELj8ELj64ELb0ELb1ELb0EEEvllPKT_S5_PKT0_S8_PS3_S9_
    .private_segment_fixed_size: 0
    .sgpr_count:     28
    .sgpr_spill_count: 0
    .symbol:         _ZN2at6native12_GLOBAL__N_135GammaBetaBackwardCUDAKernelTemplateIffLj32ELj8ELj64ELb0ELb1ELb0EEEvllPKT_S5_PKT0_S8_PS3_S9_.kd
    .uniform_work_group_size: 1
    .uses_dynamic_stack: false
    .vgpr_count:     46
    .vgpr_spill_count: 0
    .wavefront_size: 32
  - .args:
      - .offset:         0
        .size:           8
        .value_kind:     by_value
      - .offset:         8
        .size:           8
        .value_kind:     by_value
      - .actual_access:  read_only
        .address_space:  global
        .offset:         16
        .size:           8
        .value_kind:     global_buffer
      - .actual_access:  read_only
        .address_space:  global
        .offset:         24
        .size:           8
        .value_kind:     global_buffer
      - .actual_access:  read_only
        .address_space:  global
        .offset:         32
        .size:           8
        .value_kind:     global_buffer
      - .actual_access:  read_only
        .address_space:  global
        .offset:         40
        .size:           8
        .value_kind:     global_buffer
      - .actual_access:  write_only
        .address_space:  global
        .offset:         48
        .size:           8
        .value_kind:     global_buffer
      - .actual_access:  write_only
        .address_space:  global
        .offset:         56
        .size:           8
        .value_kind:     global_buffer
      - .offset:         64
        .size:           4
        .value_kind:     hidden_block_count_x
      - .offset:         68
        .size:           4
        .value_kind:     hidden_block_count_y
      - .offset:         72
        .size:           4
        .value_kind:     hidden_block_count_z
      - .offset:         76
        .size:           2
        .value_kind:     hidden_group_size_x
      - .offset:         78
        .size:           2
        .value_kind:     hidden_group_size_y
      - .offset:         80
        .size:           2
        .value_kind:     hidden_group_size_z
      - .offset:         82
        .size:           2
        .value_kind:     hidden_remainder_x
      - .offset:         84
        .size:           2
        .value_kind:     hidden_remainder_y
      - .offset:         86
        .size:           2
        .value_kind:     hidden_remainder_z
      - .offset:         104
        .size:           8
        .value_kind:     hidden_global_offset_x
      - .offset:         112
        .size:           8
        .value_kind:     hidden_global_offset_y
      - .offset:         120
        .size:           8
        .value_kind:     hidden_global_offset_z
      - .offset:         128
        .size:           2
        .value_kind:     hidden_grid_dims
      - .offset:         184
        .size:           4
        .value_kind:     hidden_dynamic_lds_size
    .group_segment_fixed_size: 0
    .kernarg_segment_align: 8
    .kernarg_segment_size: 320
    .language:       OpenCL C
    .language_version:
      - 2
      - 0
    .max_flat_workgroup_size: 256
    .name:           _ZN2at6native12_GLOBAL__N_135GammaBetaBackwardCUDAKernelTemplateIffLj32ELj8ELj64ELb0ELb0ELb0EEEvllPKT_S5_PKT0_S8_PS3_S9_
    .private_segment_fixed_size: 0
    .sgpr_count:     54
    .sgpr_spill_count: 0
    .symbol:         _ZN2at6native12_GLOBAL__N_135GammaBetaBackwardCUDAKernelTemplateIffLj32ELj8ELj64ELb0ELb0ELb0EEEvllPKT_S5_PKT0_S8_PS3_S9_.kd
    .uniform_work_group_size: 1
    .uses_dynamic_stack: false
    .vgpr_count:     106
    .vgpr_spill_count: 0
    .wavefront_size: 32
  - .args:
      - .offset:         0
        .size:           8
        .value_kind:     by_value
      - .offset:         8
        .size:           8
        .value_kind:     by_value
      - .actual_access:  read_only
        .address_space:  global
        .offset:         16
        .size:           8
        .value_kind:     global_buffer
      - .actual_access:  read_only
        .address_space:  global
        .offset:         24
        .size:           8
        .value_kind:     global_buffer
      - .actual_access:  read_only
        .address_space:  global
        .offset:         32
        .size:           8
        .value_kind:     global_buffer
      - .actual_access:  read_only
        .address_space:  global
        .offset:         40
        .size:           8
        .value_kind:     global_buffer
      - .actual_access:  write_only
        .address_space:  global
        .offset:         48
        .size:           8
        .value_kind:     global_buffer
      - .actual_access:  write_only
        .address_space:  global
        .offset:         56
        .size:           8
        .value_kind:     global_buffer
      - .offset:         64
        .size:           4
        .value_kind:     hidden_block_count_x
      - .offset:         68
        .size:           4
        .value_kind:     hidden_block_count_y
      - .offset:         72
        .size:           4
        .value_kind:     hidden_block_count_z
      - .offset:         76
        .size:           2
        .value_kind:     hidden_group_size_x
      - .offset:         78
        .size:           2
        .value_kind:     hidden_group_size_y
      - .offset:         80
        .size:           2
        .value_kind:     hidden_group_size_z
      - .offset:         82
        .size:           2
        .value_kind:     hidden_remainder_x
      - .offset:         84
        .size:           2
        .value_kind:     hidden_remainder_y
      - .offset:         86
        .size:           2
        .value_kind:     hidden_remainder_z
      - .offset:         104
        .size:           8
        .value_kind:     hidden_global_offset_x
      - .offset:         112
        .size:           8
        .value_kind:     hidden_global_offset_y
      - .offset:         120
        .size:           8
        .value_kind:     hidden_global_offset_z
      - .offset:         128
        .size:           2
        .value_kind:     hidden_grid_dims
      - .offset:         184
        .size:           4
        .value_kind:     hidden_dynamic_lds_size
    .group_segment_fixed_size: 0
    .kernarg_segment_align: 8
    .kernarg_segment_size: 320
    .language:       OpenCL C
    .language_version:
      - 2
      - 0
    .max_flat_workgroup_size: 512
    .name:           _ZN2at6native12_GLOBAL__N_135GammaBetaBackwardCUDAKernelTemplateIffLj32ELj16ELj128ELb0ELb1ELb0EEEvllPKT_S5_PKT0_S8_PS3_S9_
    .private_segment_fixed_size: 0
    .sgpr_count:     28
    .sgpr_spill_count: 0
    .symbol:         _ZN2at6native12_GLOBAL__N_135GammaBetaBackwardCUDAKernelTemplateIffLj32ELj16ELj128ELb0ELb1ELb0EEEvllPKT_S5_PKT0_S8_PS3_S9_.kd
    .uniform_work_group_size: 1
    .uses_dynamic_stack: false
    .vgpr_count:     46
    .vgpr_spill_count: 0
    .wavefront_size: 32
  - .args:
      - .offset:         0
        .size:           8
        .value_kind:     by_value
      - .offset:         8
        .size:           8
        .value_kind:     by_value
      - .actual_access:  read_only
        .address_space:  global
        .offset:         16
        .size:           8
        .value_kind:     global_buffer
      - .actual_access:  read_only
        .address_space:  global
        .offset:         24
        .size:           8
        .value_kind:     global_buffer
      - .actual_access:  read_only
        .address_space:  global
        .offset:         32
        .size:           8
        .value_kind:     global_buffer
      - .actual_access:  read_only
        .address_space:  global
        .offset:         40
        .size:           8
        .value_kind:     global_buffer
      - .actual_access:  write_only
        .address_space:  global
        .offset:         48
        .size:           8
        .value_kind:     global_buffer
      - .actual_access:  write_only
        .address_space:  global
        .offset:         56
        .size:           8
        .value_kind:     global_buffer
      - .offset:         64
        .size:           4
        .value_kind:     hidden_block_count_x
      - .offset:         68
        .size:           4
        .value_kind:     hidden_block_count_y
      - .offset:         72
        .size:           4
        .value_kind:     hidden_block_count_z
      - .offset:         76
        .size:           2
        .value_kind:     hidden_group_size_x
      - .offset:         78
        .size:           2
        .value_kind:     hidden_group_size_y
      - .offset:         80
        .size:           2
        .value_kind:     hidden_group_size_z
      - .offset:         82
        .size:           2
        .value_kind:     hidden_remainder_x
      - .offset:         84
        .size:           2
        .value_kind:     hidden_remainder_y
      - .offset:         86
        .size:           2
        .value_kind:     hidden_remainder_z
      - .offset:         104
        .size:           8
        .value_kind:     hidden_global_offset_x
      - .offset:         112
        .size:           8
        .value_kind:     hidden_global_offset_y
      - .offset:         120
        .size:           8
        .value_kind:     hidden_global_offset_z
      - .offset:         128
        .size:           2
        .value_kind:     hidden_grid_dims
      - .offset:         184
        .size:           4
        .value_kind:     hidden_dynamic_lds_size
    .group_segment_fixed_size: 0
    .kernarg_segment_align: 8
    .kernarg_segment_size: 320
    .language:       OpenCL C
    .language_version:
      - 2
      - 0
    .max_flat_workgroup_size: 512
    .name:           _ZN2at6native12_GLOBAL__N_135GammaBetaBackwardCUDAKernelTemplateIffLj32ELj16ELj128ELb0ELb0ELb0EEEvllPKT_S5_PKT0_S8_PS3_S9_
    .private_segment_fixed_size: 0
    .sgpr_count:     54
    .sgpr_spill_count: 0
    .symbol:         _ZN2at6native12_GLOBAL__N_135GammaBetaBackwardCUDAKernelTemplateIffLj32ELj16ELj128ELb0ELb0ELb0EEEvllPKT_S5_PKT0_S8_PS3_S9_.kd
    .uniform_work_group_size: 1
    .uses_dynamic_stack: false
    .vgpr_count:     106
    .vgpr_spill_count: 0
    .wavefront_size: 32
  - .args:
      - .offset:         0
        .size:           8
        .value_kind:     by_value
      - .offset:         8
        .size:           8
        .value_kind:     by_value
      - .actual_access:  read_only
        .address_space:  global
        .offset:         16
        .size:           8
        .value_kind:     global_buffer
      - .actual_access:  read_only
        .address_space:  global
        .offset:         24
        .size:           8
        .value_kind:     global_buffer
      - .actual_access:  read_only
        .address_space:  global
        .offset:         32
        .size:           8
        .value_kind:     global_buffer
      - .actual_access:  read_only
        .address_space:  global
        .offset:         40
        .size:           8
        .value_kind:     global_buffer
      - .actual_access:  write_only
        .address_space:  global
        .offset:         48
        .size:           8
        .value_kind:     global_buffer
      - .actual_access:  write_only
        .address_space:  global
        .offset:         56
        .size:           8
        .value_kind:     global_buffer
      - .offset:         64
        .size:           4
        .value_kind:     hidden_block_count_x
      - .offset:         68
        .size:           4
        .value_kind:     hidden_block_count_y
      - .offset:         72
        .size:           4
        .value_kind:     hidden_block_count_z
      - .offset:         76
        .size:           2
        .value_kind:     hidden_group_size_x
      - .offset:         78
        .size:           2
        .value_kind:     hidden_group_size_y
      - .offset:         80
        .size:           2
        .value_kind:     hidden_group_size_z
      - .offset:         82
        .size:           2
        .value_kind:     hidden_remainder_x
      - .offset:         84
        .size:           2
        .value_kind:     hidden_remainder_y
      - .offset:         86
        .size:           2
        .value_kind:     hidden_remainder_z
      - .offset:         104
        .size:           8
        .value_kind:     hidden_global_offset_x
      - .offset:         112
        .size:           8
        .value_kind:     hidden_global_offset_y
      - .offset:         120
        .size:           8
        .value_kind:     hidden_global_offset_z
      - .offset:         128
        .size:           2
        .value_kind:     hidden_grid_dims
      - .offset:         184
        .size:           4
        .value_kind:     hidden_dynamic_lds_size
    .group_segment_fixed_size: 0
    .kernarg_segment_align: 8
    .kernarg_segment_size: 320
    .language:       OpenCL C
    .language_version:
      - 2
      - 0
    .max_flat_workgroup_size: 1024
    .name:           _ZN2at6native12_GLOBAL__N_135GammaBetaBackwardCUDAKernelTemplateIffLj32ELj32ELj256ELb0ELb1ELb0EEEvllPKT_S5_PKT0_S8_PS3_S9_
    .private_segment_fixed_size: 0
    .sgpr_count:     28
    .sgpr_spill_count: 0
    .symbol:         _ZN2at6native12_GLOBAL__N_135GammaBetaBackwardCUDAKernelTemplateIffLj32ELj32ELj256ELb0ELb1ELb0EEEvllPKT_S5_PKT0_S8_PS3_S9_.kd
    .uniform_work_group_size: 1
    .uses_dynamic_stack: false
    .vgpr_count:     46
    .vgpr_spill_count: 0
    .wavefront_size: 32
  - .args:
      - .offset:         0
        .size:           8
        .value_kind:     by_value
      - .offset:         8
        .size:           8
        .value_kind:     by_value
      - .actual_access:  read_only
        .address_space:  global
        .offset:         16
        .size:           8
        .value_kind:     global_buffer
      - .actual_access:  read_only
        .address_space:  global
        .offset:         24
        .size:           8
        .value_kind:     global_buffer
      - .actual_access:  read_only
        .address_space:  global
        .offset:         32
        .size:           8
        .value_kind:     global_buffer
      - .actual_access:  read_only
        .address_space:  global
        .offset:         40
        .size:           8
        .value_kind:     global_buffer
      - .actual_access:  write_only
        .address_space:  global
        .offset:         48
        .size:           8
        .value_kind:     global_buffer
      - .actual_access:  write_only
        .address_space:  global
        .offset:         56
        .size:           8
        .value_kind:     global_buffer
      - .offset:         64
        .size:           4
        .value_kind:     hidden_block_count_x
      - .offset:         68
        .size:           4
        .value_kind:     hidden_block_count_y
      - .offset:         72
        .size:           4
        .value_kind:     hidden_block_count_z
      - .offset:         76
        .size:           2
        .value_kind:     hidden_group_size_x
      - .offset:         78
        .size:           2
        .value_kind:     hidden_group_size_y
      - .offset:         80
        .size:           2
        .value_kind:     hidden_group_size_z
      - .offset:         82
        .size:           2
        .value_kind:     hidden_remainder_x
      - .offset:         84
        .size:           2
        .value_kind:     hidden_remainder_y
      - .offset:         86
        .size:           2
        .value_kind:     hidden_remainder_z
      - .offset:         104
        .size:           8
        .value_kind:     hidden_global_offset_x
      - .offset:         112
        .size:           8
        .value_kind:     hidden_global_offset_y
      - .offset:         120
        .size:           8
        .value_kind:     hidden_global_offset_z
      - .offset:         128
        .size:           2
        .value_kind:     hidden_grid_dims
      - .offset:         184
        .size:           4
        .value_kind:     hidden_dynamic_lds_size
    .group_segment_fixed_size: 0
    .kernarg_segment_align: 8
    .kernarg_segment_size: 320
    .language:       OpenCL C
    .language_version:
      - 2
      - 0
    .max_flat_workgroup_size: 1024
    .name:           _ZN2at6native12_GLOBAL__N_135GammaBetaBackwardCUDAKernelTemplateIffLj32ELj32ELj256ELb0ELb0ELb0EEEvllPKT_S5_PKT0_S8_PS3_S9_
    .private_segment_fixed_size: 0
    .sgpr_count:     54
    .sgpr_spill_count: 0
    .symbol:         _ZN2at6native12_GLOBAL__N_135GammaBetaBackwardCUDAKernelTemplateIffLj32ELj32ELj256ELb0ELb0ELb0EEEvllPKT_S5_PKT0_S8_PS3_S9_.kd
    .uniform_work_group_size: 1
    .uses_dynamic_stack: false
    .vgpr_count:     106
    .vgpr_spill_count: 0
    .wavefront_size: 32
  - .args:
      - .actual_access:  read_only
        .address_space:  global
        .offset:         0
        .size:           8
        .value_kind:     global_buffer
      - .actual_access:  read_only
        .address_space:  global
        .offset:         8
        .size:           8
        .value_kind:     global_buffer
      - .offset:         16
        .size:           8
        .value_kind:     by_value
      - .offset:         24
        .size:           8
        .value_kind:     by_value
      - .actual_access:  read_only
        .address_space:  global
        .offset:         32
        .size:           8
        .value_kind:     global_buffer
      - .actual_access:  read_only
        .address_space:  global
        .offset:         40
        .size:           8
        .value_kind:     global_buffer
      - .address_space:  global
        .offset:         48
        .size:           8
        .value_kind:     global_buffer
      - .address_space:  global
        .offset:         56
        .size:           8
        .value_kind:     global_buffer
      - .offset:         64
        .size:           4
        .value_kind:     hidden_block_count_x
      - .offset:         68
        .size:           4
        .value_kind:     hidden_block_count_y
      - .offset:         72
        .size:           4
        .value_kind:     hidden_block_count_z
      - .offset:         76
        .size:           2
        .value_kind:     hidden_group_size_x
      - .offset:         78
        .size:           2
        .value_kind:     hidden_group_size_y
      - .offset:         80
        .size:           2
        .value_kind:     hidden_group_size_z
      - .offset:         82
        .size:           2
        .value_kind:     hidden_remainder_x
      - .offset:         84
        .size:           2
        .value_kind:     hidden_remainder_y
      - .offset:         86
        .size:           2
        .value_kind:     hidden_remainder_z
      - .offset:         104
        .size:           8
        .value_kind:     hidden_global_offset_x
      - .offset:         112
        .size:           8
        .value_kind:     hidden_global_offset_y
      - .offset:         120
        .size:           8
        .value_kind:     hidden_global_offset_z
      - .offset:         128
        .size:           2
        .value_kind:     hidden_grid_dims
      - .offset:         184
        .size:           4
        .value_kind:     hidden_dynamic_lds_size
    .group_segment_fixed_size: 0
    .kernarg_segment_align: 8
    .kernarg_segment_size: 320
    .language:       OpenCL C
    .language_version:
      - 2
      - 0
    .max_flat_workgroup_size: 1024
    .name:           _ZN2at6native12_GLOBAL__N_118cuComputeGradInputIN3c104HalfEfLb0EEEvPKT_S7_llPKT0_SA_S7_PS5_
    .private_segment_fixed_size: 0
    .sgpr_count:     44
    .sgpr_spill_count: 0
    .symbol:         _ZN2at6native12_GLOBAL__N_118cuComputeGradInputIN3c104HalfEfLb0EEEvPKT_S7_llPKT0_SA_S7_PS5_.kd
    .uniform_work_group_size: 1
    .uses_dynamic_stack: false
    .vgpr_count:     26
    .vgpr_spill_count: 0
    .wavefront_size: 32
  - .args:
      - .actual_access:  read_only
        .address_space:  global
        .offset:         0
        .size:           8
        .value_kind:     global_buffer
      - .actual_access:  read_only
        .address_space:  global
        .offset:         8
        .size:           8
        .value_kind:     global_buffer
      - .actual_access:  read_only
        .address_space:  global
        .offset:         16
        .size:           8
        .value_kind:     global_buffer
      - .actual_access:  read_only
        .address_space:  global
        .offset:         24
        .size:           8
        .value_kind:     global_buffer
      - .actual_access:  read_only
        .address_space:  global
        .offset:         32
        .size:           8
        .value_kind:     global_buffer
      - .address_space:  global
        .offset:         40
        .size:           8
        .value_kind:     global_buffer
      - .offset:         48
        .size:           4
        .value_kind:     by_value
      - .offset:         56
        .size:           4
        .value_kind:     hidden_block_count_x
      - .offset:         60
        .size:           4
        .value_kind:     hidden_block_count_y
      - .offset:         64
        .size:           4
        .value_kind:     hidden_block_count_z
      - .offset:         68
        .size:           2
        .value_kind:     hidden_group_size_x
      - .offset:         70
        .size:           2
        .value_kind:     hidden_group_size_y
      - .offset:         72
        .size:           2
        .value_kind:     hidden_group_size_z
      - .offset:         74
        .size:           2
        .value_kind:     hidden_remainder_x
      - .offset:         76
        .size:           2
        .value_kind:     hidden_remainder_y
      - .offset:         78
        .size:           2
        .value_kind:     hidden_remainder_z
      - .offset:         96
        .size:           8
        .value_kind:     hidden_global_offset_x
      - .offset:         104
        .size:           8
        .value_kind:     hidden_global_offset_y
      - .offset:         112
        .size:           8
        .value_kind:     hidden_global_offset_z
      - .offset:         120
        .size:           2
        .value_kind:     hidden_grid_dims
      - .offset:         176
        .size:           4
        .value_kind:     hidden_dynamic_lds_size
    .group_segment_fixed_size: 0
    .kernarg_segment_align: 8
    .kernarg_segment_size: 312
    .language:       OpenCL C
    .language_version:
      - 2
      - 0
    .max_flat_workgroup_size: 1024
    .name:           _ZN2at6native12_GLOBAL__N_128layer_norm_grad_input_kernelIN3c104HalfEfLb0EEEvPKT_S7_PKT0_SA_S7_PS5_i
    .private_segment_fixed_size: 0
    .sgpr_count:     25
    .sgpr_spill_count: 0
    .symbol:         _ZN2at6native12_GLOBAL__N_128layer_norm_grad_input_kernelIN3c104HalfEfLb0EEEvPKT_S7_PKT0_SA_S7_PS5_i.kd
    .uniform_work_group_size: 1
    .uses_dynamic_stack: false
    .vgpr_count:     22
    .vgpr_spill_count: 0
    .wavefront_size: 32
  - .args:
      - .offset:         0
        .size:           8
        .value_kind:     by_value
      - .offset:         8
        .size:           8
        .value_kind:     by_value
      - .address_space:  global
        .offset:         16
        .size:           8
        .value_kind:     global_buffer
      - .address_space:  global
        .offset:         24
        .size:           8
        .value_kind:     global_buffer
      - .address_space:  global
        .offset:         32
        .size:           8
        .value_kind:     global_buffer
      - .address_space:  global
        .offset:         40
        .size:           8
        .value_kind:     global_buffer
      - .address_space:  global
        .offset:         48
        .size:           8
        .value_kind:     global_buffer
      - .address_space:  global
        .offset:         56
        .size:           8
        .value_kind:     global_buffer
      - .offset:         64
        .size:           4
        .value_kind:     hidden_block_count_x
      - .offset:         68
        .size:           4
        .value_kind:     hidden_block_count_y
      - .offset:         72
        .size:           4
        .value_kind:     hidden_block_count_z
      - .offset:         76
        .size:           2
        .value_kind:     hidden_group_size_x
      - .offset:         78
        .size:           2
        .value_kind:     hidden_group_size_y
      - .offset:         80
        .size:           2
        .value_kind:     hidden_group_size_z
      - .offset:         82
        .size:           2
        .value_kind:     hidden_remainder_x
      - .offset:         84
        .size:           2
        .value_kind:     hidden_remainder_y
      - .offset:         86
        .size:           2
        .value_kind:     hidden_remainder_z
      - .offset:         104
        .size:           8
        .value_kind:     hidden_global_offset_x
      - .offset:         112
        .size:           8
        .value_kind:     hidden_global_offset_y
      - .offset:         120
        .size:           8
        .value_kind:     hidden_global_offset_z
      - .offset:         128
        .size:           2
        .value_kind:     hidden_grid_dims
    .group_segment_fixed_size: 0
    .kernarg_segment_align: 8
    .kernarg_segment_size: 320
    .language:       OpenCL C
    .language_version:
      - 2
      - 0
    .max_flat_workgroup_size: 1024
    .name:           _ZN2at6native12_GLOBAL__N_133GammaBetaBackwardSimpleCUDAKernelIN3c104HalfEfLb0EEEvllPKT_S7_PKT0_SA_PS5_SB_
    .private_segment_fixed_size: 0
    .sgpr_count:     23
    .sgpr_spill_count: 0
    .symbol:         _ZN2at6native12_GLOBAL__N_133GammaBetaBackwardSimpleCUDAKernelIN3c104HalfEfLb0EEEvllPKT_S7_PKT0_SA_PS5_SB_.kd
    .uniform_work_group_size: 1
    .uses_dynamic_stack: false
    .vgpr_count:     12
    .vgpr_spill_count: 0
    .wavefront_size: 32
  - .args:
      - .offset:         0
        .size:           8
        .value_kind:     by_value
      - .offset:         8
        .size:           8
        .value_kind:     by_value
      - .actual_access:  read_only
        .address_space:  global
        .offset:         16
        .size:           8
        .value_kind:     global_buffer
      - .actual_access:  read_only
        .address_space:  global
        .offset:         24
        .size:           8
        .value_kind:     global_buffer
      - .actual_access:  read_only
        .address_space:  global
        .offset:         32
        .size:           8
        .value_kind:     global_buffer
      - .actual_access:  read_only
        .address_space:  global
        .offset:         40
        .size:           8
        .value_kind:     global_buffer
      - .actual_access:  write_only
        .address_space:  global
        .offset:         48
        .size:           8
        .value_kind:     global_buffer
      - .actual_access:  write_only
        .address_space:  global
        .offset:         56
        .size:           8
        .value_kind:     global_buffer
      - .offset:         64
        .size:           4
        .value_kind:     hidden_block_count_x
      - .offset:         68
        .size:           4
        .value_kind:     hidden_block_count_y
      - .offset:         72
        .size:           4
        .value_kind:     hidden_block_count_z
      - .offset:         76
        .size:           2
        .value_kind:     hidden_group_size_x
      - .offset:         78
        .size:           2
        .value_kind:     hidden_group_size_y
      - .offset:         80
        .size:           2
        .value_kind:     hidden_group_size_z
      - .offset:         82
        .size:           2
        .value_kind:     hidden_remainder_x
      - .offset:         84
        .size:           2
        .value_kind:     hidden_remainder_y
      - .offset:         86
        .size:           2
        .value_kind:     hidden_remainder_z
      - .offset:         104
        .size:           8
        .value_kind:     hidden_global_offset_x
      - .offset:         112
        .size:           8
        .value_kind:     hidden_global_offset_y
      - .offset:         120
        .size:           8
        .value_kind:     hidden_global_offset_z
      - .offset:         128
        .size:           2
        .value_kind:     hidden_grid_dims
    .group_segment_fixed_size: 0
    .kernarg_segment_align: 8
    .kernarg_segment_size: 320
    .language:       OpenCL C
    .language_version:
      - 2
      - 0
    .max_flat_workgroup_size: 64
    .name:           _ZN2at6native12_GLOBAL__N_135GammaBetaBackwardCUDAKernelTemplateIN3c104HalfEfLj64ELj1ELj32ELb1ELb1ELb0EEEvllPKT_S7_PKT0_SA_PS5_SB_
    .private_segment_fixed_size: 0
    .sgpr_count:     31
    .sgpr_spill_count: 0
    .symbol:         _ZN2at6native12_GLOBAL__N_135GammaBetaBackwardCUDAKernelTemplateIN3c104HalfEfLj64ELj1ELj32ELb1ELb1ELb0EEEvllPKT_S7_PKT0_SA_PS5_SB_.kd
    .uniform_work_group_size: 1
    .uses_dynamic_stack: false
    .vgpr_count:     65
    .vgpr_spill_count: 0
    .wavefront_size: 32
  - .args:
      - .offset:         0
        .size:           8
        .value_kind:     by_value
      - .offset:         8
        .size:           8
        .value_kind:     by_value
      - .actual_access:  read_only
        .address_space:  global
        .offset:         16
        .size:           8
        .value_kind:     global_buffer
      - .actual_access:  read_only
        .address_space:  global
        .offset:         24
        .size:           8
        .value_kind:     global_buffer
      - .actual_access:  read_only
        .address_space:  global
        .offset:         32
        .size:           8
        .value_kind:     global_buffer
      - .actual_access:  read_only
        .address_space:  global
        .offset:         40
        .size:           8
        .value_kind:     global_buffer
      - .actual_access:  write_only
        .address_space:  global
        .offset:         48
        .size:           8
        .value_kind:     global_buffer
      - .actual_access:  write_only
        .address_space:  global
        .offset:         56
        .size:           8
        .value_kind:     global_buffer
      - .offset:         64
        .size:           4
        .value_kind:     hidden_block_count_x
      - .offset:         68
        .size:           4
        .value_kind:     hidden_block_count_y
      - .offset:         72
        .size:           4
        .value_kind:     hidden_block_count_z
      - .offset:         76
        .size:           2
        .value_kind:     hidden_group_size_x
      - .offset:         78
        .size:           2
        .value_kind:     hidden_group_size_y
      - .offset:         80
        .size:           2
        .value_kind:     hidden_group_size_z
      - .offset:         82
        .size:           2
        .value_kind:     hidden_remainder_x
      - .offset:         84
        .size:           2
        .value_kind:     hidden_remainder_y
      - .offset:         86
        .size:           2
        .value_kind:     hidden_remainder_z
      - .offset:         104
        .size:           8
        .value_kind:     hidden_global_offset_x
      - .offset:         112
        .size:           8
        .value_kind:     hidden_global_offset_y
      - .offset:         120
        .size:           8
        .value_kind:     hidden_global_offset_z
      - .offset:         128
        .size:           2
        .value_kind:     hidden_grid_dims
    .group_segment_fixed_size: 0
    .kernarg_segment_align: 8
    .kernarg_segment_size: 320
    .language:       OpenCL C
    .language_version:
      - 2
      - 0
    .max_flat_workgroup_size: 64
    .name:           _ZN2at6native12_GLOBAL__N_135GammaBetaBackwardCUDAKernelTemplateIN3c104HalfEfLj64ELj1ELj32ELb1ELb0ELb0EEEvllPKT_S7_PKT0_SA_PS5_SB_
    .private_segment_fixed_size: 0
    .sgpr_count:     38
    .sgpr_spill_count: 0
    .symbol:         _ZN2at6native12_GLOBAL__N_135GammaBetaBackwardCUDAKernelTemplateIN3c104HalfEfLj64ELj1ELj32ELb1ELb0ELb0EEEvllPKT_S7_PKT0_SA_PS5_SB_.kd
    .uniform_work_group_size: 1
    .uses_dynamic_stack: false
    .vgpr_count:     346
    .vgpr_spill_count: 0
    .wavefront_size: 32
  - .args:
      - .offset:         0
        .size:           8
        .value_kind:     by_value
      - .offset:         8
        .size:           8
        .value_kind:     by_value
      - .actual_access:  read_only
        .address_space:  global
        .offset:         16
        .size:           8
        .value_kind:     global_buffer
      - .actual_access:  read_only
        .address_space:  global
        .offset:         24
        .size:           8
        .value_kind:     global_buffer
      - .actual_access:  read_only
        .address_space:  global
        .offset:         32
        .size:           8
        .value_kind:     global_buffer
      - .actual_access:  read_only
        .address_space:  global
        .offset:         40
        .size:           8
        .value_kind:     global_buffer
      - .actual_access:  write_only
        .address_space:  global
        .offset:         48
        .size:           8
        .value_kind:     global_buffer
      - .actual_access:  write_only
        .address_space:  global
        .offset:         56
        .size:           8
        .value_kind:     global_buffer
      - .offset:         64
        .size:           4
        .value_kind:     hidden_block_count_x
      - .offset:         68
        .size:           4
        .value_kind:     hidden_block_count_y
      - .offset:         72
        .size:           4
        .value_kind:     hidden_block_count_z
      - .offset:         76
        .size:           2
        .value_kind:     hidden_group_size_x
      - .offset:         78
        .size:           2
        .value_kind:     hidden_group_size_y
      - .offset:         80
        .size:           2
        .value_kind:     hidden_group_size_z
      - .offset:         82
        .size:           2
        .value_kind:     hidden_remainder_x
      - .offset:         84
        .size:           2
        .value_kind:     hidden_remainder_y
      - .offset:         86
        .size:           2
        .value_kind:     hidden_remainder_z
      - .offset:         104
        .size:           8
        .value_kind:     hidden_global_offset_x
      - .offset:         112
        .size:           8
        .value_kind:     hidden_global_offset_y
      - .offset:         120
        .size:           8
        .value_kind:     hidden_global_offset_z
      - .offset:         128
        .size:           2
        .value_kind:     hidden_grid_dims
    .group_segment_fixed_size: 0
    .kernarg_segment_align: 8
    .kernarg_segment_size: 320
    .language:       OpenCL C
    .language_version:
      - 2
      - 0
    .max_flat_workgroup_size: 64
    .name:           _ZN2at6native12_GLOBAL__N_135GammaBetaBackwardCUDAKernelTemplateIN3c104HalfEfLj64ELj1ELj8ELb1ELb1ELb0EEEvllPKT_S7_PKT0_SA_PS5_SB_
    .private_segment_fixed_size: 0
    .sgpr_count:     33
    .sgpr_spill_count: 0
    .symbol:         _ZN2at6native12_GLOBAL__N_135GammaBetaBackwardCUDAKernelTemplateIN3c104HalfEfLj64ELj1ELj8ELb1ELb1ELb0EEEvllPKT_S7_PKT0_SA_PS5_SB_.kd
    .uniform_work_group_size: 1
    .uses_dynamic_stack: false
    .vgpr_count:     49
    .vgpr_spill_count: 0
    .wavefront_size: 32
  - .args:
      - .offset:         0
        .size:           8
        .value_kind:     by_value
      - .offset:         8
        .size:           8
        .value_kind:     by_value
      - .actual_access:  read_only
        .address_space:  global
        .offset:         16
        .size:           8
        .value_kind:     global_buffer
      - .actual_access:  read_only
        .address_space:  global
        .offset:         24
        .size:           8
        .value_kind:     global_buffer
      - .actual_access:  read_only
        .address_space:  global
        .offset:         32
        .size:           8
        .value_kind:     global_buffer
      - .actual_access:  read_only
        .address_space:  global
        .offset:         40
        .size:           8
        .value_kind:     global_buffer
      - .actual_access:  write_only
        .address_space:  global
        .offset:         48
        .size:           8
        .value_kind:     global_buffer
      - .actual_access:  write_only
        .address_space:  global
        .offset:         56
        .size:           8
        .value_kind:     global_buffer
      - .offset:         64
        .size:           4
        .value_kind:     hidden_block_count_x
      - .offset:         68
        .size:           4
        .value_kind:     hidden_block_count_y
      - .offset:         72
        .size:           4
        .value_kind:     hidden_block_count_z
      - .offset:         76
        .size:           2
        .value_kind:     hidden_group_size_x
      - .offset:         78
        .size:           2
        .value_kind:     hidden_group_size_y
      - .offset:         80
        .size:           2
        .value_kind:     hidden_group_size_z
      - .offset:         82
        .size:           2
        .value_kind:     hidden_remainder_x
      - .offset:         84
        .size:           2
        .value_kind:     hidden_remainder_y
      - .offset:         86
        .size:           2
        .value_kind:     hidden_remainder_z
      - .offset:         104
        .size:           8
        .value_kind:     hidden_global_offset_x
      - .offset:         112
        .size:           8
        .value_kind:     hidden_global_offset_y
      - .offset:         120
        .size:           8
        .value_kind:     hidden_global_offset_z
      - .offset:         128
        .size:           2
        .value_kind:     hidden_grid_dims
    .group_segment_fixed_size: 0
    .kernarg_segment_align: 8
    .kernarg_segment_size: 320
    .language:       OpenCL C
    .language_version:
      - 2
      - 0
    .max_flat_workgroup_size: 64
    .name:           _ZN2at6native12_GLOBAL__N_135GammaBetaBackwardCUDAKernelTemplateIN3c104HalfEfLj64ELj1ELj8ELb1ELb0ELb0EEEvllPKT_S7_PKT0_SA_PS5_SB_
    .private_segment_fixed_size: 0
    .sgpr_count:     38
    .sgpr_spill_count: 0
    .symbol:         _ZN2at6native12_GLOBAL__N_135GammaBetaBackwardCUDAKernelTemplateIN3c104HalfEfLj64ELj1ELj8ELb1ELb0ELb0EEEvllPKT_S7_PKT0_SA_PS5_SB_.kd
    .uniform_work_group_size: 1
    .uses_dynamic_stack: false
    .vgpr_count:     106
    .vgpr_spill_count: 0
    .wavefront_size: 32
  - .args:
      - .offset:         0
        .size:           8
        .value_kind:     by_value
      - .offset:         8
        .size:           8
        .value_kind:     by_value
      - .actual_access:  read_only
        .address_space:  global
        .offset:         16
        .size:           8
        .value_kind:     global_buffer
      - .actual_access:  read_only
        .address_space:  global
        .offset:         24
        .size:           8
        .value_kind:     global_buffer
      - .actual_access:  read_only
        .address_space:  global
        .offset:         32
        .size:           8
        .value_kind:     global_buffer
      - .actual_access:  read_only
        .address_space:  global
        .offset:         40
        .size:           8
        .value_kind:     global_buffer
      - .actual_access:  write_only
        .address_space:  global
        .offset:         48
        .size:           8
        .value_kind:     global_buffer
      - .actual_access:  write_only
        .address_space:  global
        .offset:         56
        .size:           8
        .value_kind:     global_buffer
      - .offset:         64
        .size:           4
        .value_kind:     hidden_block_count_x
      - .offset:         68
        .size:           4
        .value_kind:     hidden_block_count_y
      - .offset:         72
        .size:           4
        .value_kind:     hidden_block_count_z
      - .offset:         76
        .size:           2
        .value_kind:     hidden_group_size_x
      - .offset:         78
        .size:           2
        .value_kind:     hidden_group_size_y
      - .offset:         80
        .size:           2
        .value_kind:     hidden_group_size_z
      - .offset:         82
        .size:           2
        .value_kind:     hidden_remainder_x
      - .offset:         84
        .size:           2
        .value_kind:     hidden_remainder_y
      - .offset:         86
        .size:           2
        .value_kind:     hidden_remainder_z
      - .offset:         104
        .size:           8
        .value_kind:     hidden_global_offset_x
      - .offset:         112
        .size:           8
        .value_kind:     hidden_global_offset_y
      - .offset:         120
        .size:           8
        .value_kind:     hidden_global_offset_z
      - .offset:         128
        .size:           2
        .value_kind:     hidden_grid_dims
      - .offset:         184
        .size:           4
        .value_kind:     hidden_dynamic_lds_size
    .group_segment_fixed_size: 0
    .kernarg_segment_align: 8
    .kernarg_segment_size: 320
    .language:       OpenCL C
    .language_version:
      - 2
      - 0
    .max_flat_workgroup_size: 512
    .name:           _ZN2at6native12_GLOBAL__N_135GammaBetaBackwardCUDAKernelTemplateIN3c104HalfEfLj64ELj8ELj64ELb0ELb1ELb0EEEvllPKT_S7_PKT0_SA_PS5_SB_
    .private_segment_fixed_size: 0
    .sgpr_count:     28
    .sgpr_spill_count: 0
    .symbol:         _ZN2at6native12_GLOBAL__N_135GammaBetaBackwardCUDAKernelTemplateIN3c104HalfEfLj64ELj8ELj64ELb0ELb1ELb0EEEvllPKT_S7_PKT0_SA_PS5_SB_.kd
    .uniform_work_group_size: 1
    .uses_dynamic_stack: false
    .vgpr_count:     49
    .vgpr_spill_count: 0
    .wavefront_size: 32
  - .args:
      - .offset:         0
        .size:           8
        .value_kind:     by_value
      - .offset:         8
        .size:           8
        .value_kind:     by_value
      - .actual_access:  read_only
        .address_space:  global
        .offset:         16
        .size:           8
        .value_kind:     global_buffer
      - .actual_access:  read_only
        .address_space:  global
        .offset:         24
        .size:           8
        .value_kind:     global_buffer
      - .actual_access:  read_only
        .address_space:  global
        .offset:         32
        .size:           8
        .value_kind:     global_buffer
      - .actual_access:  read_only
        .address_space:  global
        .offset:         40
        .size:           8
        .value_kind:     global_buffer
      - .actual_access:  write_only
        .address_space:  global
        .offset:         48
        .size:           8
        .value_kind:     global_buffer
      - .actual_access:  write_only
        .address_space:  global
        .offset:         56
        .size:           8
        .value_kind:     global_buffer
      - .offset:         64
        .size:           4
        .value_kind:     hidden_block_count_x
      - .offset:         68
        .size:           4
        .value_kind:     hidden_block_count_y
      - .offset:         72
        .size:           4
        .value_kind:     hidden_block_count_z
      - .offset:         76
        .size:           2
        .value_kind:     hidden_group_size_x
      - .offset:         78
        .size:           2
        .value_kind:     hidden_group_size_y
      - .offset:         80
        .size:           2
        .value_kind:     hidden_group_size_z
      - .offset:         82
        .size:           2
        .value_kind:     hidden_remainder_x
      - .offset:         84
        .size:           2
        .value_kind:     hidden_remainder_y
      - .offset:         86
        .size:           2
        .value_kind:     hidden_remainder_z
      - .offset:         104
        .size:           8
        .value_kind:     hidden_global_offset_x
      - .offset:         112
        .size:           8
        .value_kind:     hidden_global_offset_y
      - .offset:         120
        .size:           8
        .value_kind:     hidden_global_offset_z
      - .offset:         128
        .size:           2
        .value_kind:     hidden_grid_dims
      - .offset:         184
        .size:           4
        .value_kind:     hidden_dynamic_lds_size
    .group_segment_fixed_size: 0
    .kernarg_segment_align: 8
    .kernarg_segment_size: 320
    .language:       OpenCL C
    .language_version:
      - 2
      - 0
    .max_flat_workgroup_size: 512
    .name:           _ZN2at6native12_GLOBAL__N_135GammaBetaBackwardCUDAKernelTemplateIN3c104HalfEfLj64ELj8ELj64ELb0ELb0ELb0EEEvllPKT_S7_PKT0_SA_PS5_SB_
    .private_segment_fixed_size: 0
    .sgpr_count:     54
    .sgpr_spill_count: 0
    .symbol:         _ZN2at6native12_GLOBAL__N_135GammaBetaBackwardCUDAKernelTemplateIN3c104HalfEfLj64ELj8ELj64ELb0ELb0ELb0EEEvllPKT_S7_PKT0_SA_PS5_SB_.kd
    .uniform_work_group_size: 1
    .uses_dynamic_stack: false
    .vgpr_count:     106
    .vgpr_spill_count: 0
    .wavefront_size: 32
  - .args:
      - .offset:         0
        .size:           8
        .value_kind:     by_value
      - .offset:         8
        .size:           8
        .value_kind:     by_value
      - .actual_access:  read_only
        .address_space:  global
        .offset:         16
        .size:           8
        .value_kind:     global_buffer
      - .actual_access:  read_only
        .address_space:  global
        .offset:         24
        .size:           8
        .value_kind:     global_buffer
      - .actual_access:  read_only
        .address_space:  global
        .offset:         32
        .size:           8
        .value_kind:     global_buffer
      - .actual_access:  read_only
        .address_space:  global
        .offset:         40
        .size:           8
        .value_kind:     global_buffer
      - .actual_access:  write_only
        .address_space:  global
        .offset:         48
        .size:           8
        .value_kind:     global_buffer
      - .actual_access:  write_only
        .address_space:  global
        .offset:         56
        .size:           8
        .value_kind:     global_buffer
      - .offset:         64
        .size:           4
        .value_kind:     hidden_block_count_x
      - .offset:         68
        .size:           4
        .value_kind:     hidden_block_count_y
      - .offset:         72
        .size:           4
        .value_kind:     hidden_block_count_z
      - .offset:         76
        .size:           2
        .value_kind:     hidden_group_size_x
      - .offset:         78
        .size:           2
        .value_kind:     hidden_group_size_y
      - .offset:         80
        .size:           2
        .value_kind:     hidden_group_size_z
      - .offset:         82
        .size:           2
        .value_kind:     hidden_remainder_x
      - .offset:         84
        .size:           2
        .value_kind:     hidden_remainder_y
      - .offset:         86
        .size:           2
        .value_kind:     hidden_remainder_z
      - .offset:         104
        .size:           8
        .value_kind:     hidden_global_offset_x
      - .offset:         112
        .size:           8
        .value_kind:     hidden_global_offset_y
      - .offset:         120
        .size:           8
        .value_kind:     hidden_global_offset_z
      - .offset:         128
        .size:           2
        .value_kind:     hidden_grid_dims
      - .offset:         184
        .size:           4
        .value_kind:     hidden_dynamic_lds_size
    .group_segment_fixed_size: 0
    .kernarg_segment_align: 8
    .kernarg_segment_size: 320
    .language:       OpenCL C
    .language_version:
      - 2
      - 0
    .max_flat_workgroup_size: 1024
    .name:           _ZN2at6native12_GLOBAL__N_135GammaBetaBackwardCUDAKernelTemplateIN3c104HalfEfLj64ELj16ELj128ELb0ELb1ELb0EEEvllPKT_S7_PKT0_SA_PS5_SB_
    .private_segment_fixed_size: 0
    .sgpr_count:     28
    .sgpr_spill_count: 0
    .symbol:         _ZN2at6native12_GLOBAL__N_135GammaBetaBackwardCUDAKernelTemplateIN3c104HalfEfLj64ELj16ELj128ELb0ELb1ELb0EEEvllPKT_S7_PKT0_SA_PS5_SB_.kd
    .uniform_work_group_size: 1
    .uses_dynamic_stack: false
    .vgpr_count:     49
    .vgpr_spill_count: 0
    .wavefront_size: 32
  - .args:
      - .offset:         0
        .size:           8
        .value_kind:     by_value
      - .offset:         8
        .size:           8
        .value_kind:     by_value
      - .actual_access:  read_only
        .address_space:  global
        .offset:         16
        .size:           8
        .value_kind:     global_buffer
      - .actual_access:  read_only
        .address_space:  global
        .offset:         24
        .size:           8
        .value_kind:     global_buffer
      - .actual_access:  read_only
        .address_space:  global
        .offset:         32
        .size:           8
        .value_kind:     global_buffer
      - .actual_access:  read_only
        .address_space:  global
        .offset:         40
        .size:           8
        .value_kind:     global_buffer
      - .actual_access:  write_only
        .address_space:  global
        .offset:         48
        .size:           8
        .value_kind:     global_buffer
      - .actual_access:  write_only
        .address_space:  global
        .offset:         56
        .size:           8
        .value_kind:     global_buffer
      - .offset:         64
        .size:           4
        .value_kind:     hidden_block_count_x
      - .offset:         68
        .size:           4
        .value_kind:     hidden_block_count_y
      - .offset:         72
        .size:           4
        .value_kind:     hidden_block_count_z
      - .offset:         76
        .size:           2
        .value_kind:     hidden_group_size_x
      - .offset:         78
        .size:           2
        .value_kind:     hidden_group_size_y
      - .offset:         80
        .size:           2
        .value_kind:     hidden_group_size_z
      - .offset:         82
        .size:           2
        .value_kind:     hidden_remainder_x
      - .offset:         84
        .size:           2
        .value_kind:     hidden_remainder_y
      - .offset:         86
        .size:           2
        .value_kind:     hidden_remainder_z
      - .offset:         104
        .size:           8
        .value_kind:     hidden_global_offset_x
      - .offset:         112
        .size:           8
        .value_kind:     hidden_global_offset_y
      - .offset:         120
        .size:           8
        .value_kind:     hidden_global_offset_z
      - .offset:         128
        .size:           2
        .value_kind:     hidden_grid_dims
      - .offset:         184
        .size:           4
        .value_kind:     hidden_dynamic_lds_size
    .group_segment_fixed_size: 0
    .kernarg_segment_align: 8
    .kernarg_segment_size: 320
    .language:       OpenCL C
    .language_version:
      - 2
      - 0
    .max_flat_workgroup_size: 1024
    .name:           _ZN2at6native12_GLOBAL__N_135GammaBetaBackwardCUDAKernelTemplateIN3c104HalfEfLj64ELj16ELj128ELb0ELb0ELb0EEEvllPKT_S7_PKT0_SA_PS5_SB_
    .private_segment_fixed_size: 0
    .sgpr_count:     54
    .sgpr_spill_count: 0
    .symbol:         _ZN2at6native12_GLOBAL__N_135GammaBetaBackwardCUDAKernelTemplateIN3c104HalfEfLj64ELj16ELj128ELb0ELb0ELb0EEEvllPKT_S7_PKT0_SA_PS5_SB_.kd
    .uniform_work_group_size: 1
    .uses_dynamic_stack: false
    .vgpr_count:     106
    .vgpr_spill_count: 0
    .wavefront_size: 32
  - .args:
      - .offset:         0
        .size:           8
        .value_kind:     by_value
      - .offset:         8
        .size:           8
        .value_kind:     by_value
      - .actual_access:  read_only
        .address_space:  global
        .offset:         16
        .size:           8
        .value_kind:     global_buffer
      - .actual_access:  read_only
        .address_space:  global
        .offset:         24
        .size:           8
        .value_kind:     global_buffer
      - .actual_access:  read_only
        .address_space:  global
        .offset:         32
        .size:           8
        .value_kind:     global_buffer
      - .actual_access:  read_only
        .address_space:  global
        .offset:         40
        .size:           8
        .value_kind:     global_buffer
      - .actual_access:  write_only
        .address_space:  global
        .offset:         48
        .size:           8
        .value_kind:     global_buffer
      - .actual_access:  write_only
        .address_space:  global
        .offset:         56
        .size:           8
        .value_kind:     global_buffer
      - .offset:         64
        .size:           4
        .value_kind:     hidden_block_count_x
      - .offset:         68
        .size:           4
        .value_kind:     hidden_block_count_y
      - .offset:         72
        .size:           4
        .value_kind:     hidden_block_count_z
      - .offset:         76
        .size:           2
        .value_kind:     hidden_group_size_x
      - .offset:         78
        .size:           2
        .value_kind:     hidden_group_size_y
      - .offset:         80
        .size:           2
        .value_kind:     hidden_group_size_z
      - .offset:         82
        .size:           2
        .value_kind:     hidden_remainder_x
      - .offset:         84
        .size:           2
        .value_kind:     hidden_remainder_y
      - .offset:         86
        .size:           2
        .value_kind:     hidden_remainder_z
      - .offset:         104
        .size:           8
        .value_kind:     hidden_global_offset_x
      - .offset:         112
        .size:           8
        .value_kind:     hidden_global_offset_y
      - .offset:         120
        .size:           8
        .value_kind:     hidden_global_offset_z
      - .offset:         128
        .size:           2
        .value_kind:     hidden_grid_dims
      - .offset:         184
        .size:           4
        .value_kind:     hidden_dynamic_lds_size
    .group_segment_fixed_size: 0
    .kernarg_segment_align: 8
    .kernarg_segment_size: 320
    .language:       OpenCL C
    .language_version:
      - 2
      - 0
    .max_flat_workgroup_size: 1024
    .name:           _ZN2at6native12_GLOBAL__N_135GammaBetaBackwardCUDAKernelTemplateIN3c104HalfEfLj64ELj16ELj256ELb0ELb1ELb0EEEvllPKT_S7_PKT0_SA_PS5_SB_
    .private_segment_fixed_size: 0
    .sgpr_count:     28
    .sgpr_spill_count: 0
    .symbol:         _ZN2at6native12_GLOBAL__N_135GammaBetaBackwardCUDAKernelTemplateIN3c104HalfEfLj64ELj16ELj256ELb0ELb1ELb0EEEvllPKT_S7_PKT0_SA_PS5_SB_.kd
    .uniform_work_group_size: 1
    .uses_dynamic_stack: false
    .vgpr_count:     64
    .vgpr_spill_count: 0
    .wavefront_size: 32
  - .args:
      - .offset:         0
        .size:           8
        .value_kind:     by_value
      - .offset:         8
        .size:           8
        .value_kind:     by_value
      - .actual_access:  read_only
        .address_space:  global
        .offset:         16
        .size:           8
        .value_kind:     global_buffer
      - .actual_access:  read_only
        .address_space:  global
        .offset:         24
        .size:           8
        .value_kind:     global_buffer
      - .actual_access:  read_only
        .address_space:  global
        .offset:         32
        .size:           8
        .value_kind:     global_buffer
      - .actual_access:  read_only
        .address_space:  global
        .offset:         40
        .size:           8
        .value_kind:     global_buffer
      - .actual_access:  write_only
        .address_space:  global
        .offset:         48
        .size:           8
        .value_kind:     global_buffer
      - .actual_access:  write_only
        .address_space:  global
        .offset:         56
        .size:           8
        .value_kind:     global_buffer
      - .offset:         64
        .size:           4
        .value_kind:     hidden_block_count_x
      - .offset:         68
        .size:           4
        .value_kind:     hidden_block_count_y
      - .offset:         72
        .size:           4
        .value_kind:     hidden_block_count_z
      - .offset:         76
        .size:           2
        .value_kind:     hidden_group_size_x
      - .offset:         78
        .size:           2
        .value_kind:     hidden_group_size_y
      - .offset:         80
        .size:           2
        .value_kind:     hidden_group_size_z
      - .offset:         82
        .size:           2
        .value_kind:     hidden_remainder_x
      - .offset:         84
        .size:           2
        .value_kind:     hidden_remainder_y
      - .offset:         86
        .size:           2
        .value_kind:     hidden_remainder_z
      - .offset:         104
        .size:           8
        .value_kind:     hidden_global_offset_x
      - .offset:         112
        .size:           8
        .value_kind:     hidden_global_offset_y
      - .offset:         120
        .size:           8
        .value_kind:     hidden_global_offset_z
      - .offset:         128
        .size:           2
        .value_kind:     hidden_grid_dims
      - .offset:         184
        .size:           4
        .value_kind:     hidden_dynamic_lds_size
    .group_segment_fixed_size: 0
    .kernarg_segment_align: 8
    .kernarg_segment_size: 320
    .language:       OpenCL C
    .language_version:
      - 2
      - 0
    .max_flat_workgroup_size: 1024
    .name:           _ZN2at6native12_GLOBAL__N_135GammaBetaBackwardCUDAKernelTemplateIN3c104HalfEfLj64ELj16ELj256ELb0ELb0ELb0EEEvllPKT_S7_PKT0_SA_PS5_SB_
    .private_segment_fixed_size: 200
    .sgpr_count:     70
    .sgpr_spill_count: 0
    .symbol:         _ZN2at6native12_GLOBAL__N_135GammaBetaBackwardCUDAKernelTemplateIN3c104HalfEfLj64ELj16ELj256ELb0ELb0ELb0EEEvllPKT_S7_PKT0_SA_PS5_SB_.kd
    .uniform_work_group_size: 1
    .uses_dynamic_stack: false
    .vgpr_count:     128
    .vgpr_spill_count: 93
    .wavefront_size: 32
  - .args:
      - .offset:         0
        .size:           8
        .value_kind:     by_value
      - .offset:         8
        .size:           8
        .value_kind:     by_value
      - .actual_access:  read_only
        .address_space:  global
        .offset:         16
        .size:           8
        .value_kind:     global_buffer
      - .actual_access:  read_only
        .address_space:  global
        .offset:         24
        .size:           8
        .value_kind:     global_buffer
      - .actual_access:  read_only
        .address_space:  global
        .offset:         32
        .size:           8
        .value_kind:     global_buffer
      - .actual_access:  read_only
        .address_space:  global
        .offset:         40
        .size:           8
        .value_kind:     global_buffer
      - .actual_access:  write_only
        .address_space:  global
        .offset:         48
        .size:           8
        .value_kind:     global_buffer
      - .actual_access:  write_only
        .address_space:  global
        .offset:         56
        .size:           8
        .value_kind:     global_buffer
      - .offset:         64
        .size:           4
        .value_kind:     hidden_block_count_x
      - .offset:         68
        .size:           4
        .value_kind:     hidden_block_count_y
      - .offset:         72
        .size:           4
        .value_kind:     hidden_block_count_z
      - .offset:         76
        .size:           2
        .value_kind:     hidden_group_size_x
      - .offset:         78
        .size:           2
        .value_kind:     hidden_group_size_y
      - .offset:         80
        .size:           2
        .value_kind:     hidden_group_size_z
      - .offset:         82
        .size:           2
        .value_kind:     hidden_remainder_x
      - .offset:         84
        .size:           2
        .value_kind:     hidden_remainder_y
      - .offset:         86
        .size:           2
        .value_kind:     hidden_remainder_z
      - .offset:         104
        .size:           8
        .value_kind:     hidden_global_offset_x
      - .offset:         112
        .size:           8
        .value_kind:     hidden_global_offset_y
      - .offset:         120
        .size:           8
        .value_kind:     hidden_global_offset_z
      - .offset:         128
        .size:           2
        .value_kind:     hidden_grid_dims
    .group_segment_fixed_size: 0
    .kernarg_segment_align: 8
    .kernarg_segment_size: 320
    .language:       OpenCL C
    .language_version:
      - 2
      - 0
    .max_flat_workgroup_size: 32
    .name:           _ZN2at6native12_GLOBAL__N_135GammaBetaBackwardCUDAKernelTemplateIN3c104HalfEfLj32ELj1ELj32ELb1ELb1ELb0EEEvllPKT_S7_PKT0_SA_PS5_SB_
    .private_segment_fixed_size: 0
    .sgpr_count:     31
    .sgpr_spill_count: 0
    .symbol:         _ZN2at6native12_GLOBAL__N_135GammaBetaBackwardCUDAKernelTemplateIN3c104HalfEfLj32ELj1ELj32ELb1ELb1ELb0EEEvllPKT_S7_PKT0_SA_PS5_SB_.kd
    .uniform_work_group_size: 1
    .uses_dynamic_stack: false
    .vgpr_count:     65
    .vgpr_spill_count: 0
    .wavefront_size: 32
  - .args:
      - .offset:         0
        .size:           8
        .value_kind:     by_value
      - .offset:         8
        .size:           8
        .value_kind:     by_value
      - .actual_access:  read_only
        .address_space:  global
        .offset:         16
        .size:           8
        .value_kind:     global_buffer
      - .actual_access:  read_only
        .address_space:  global
        .offset:         24
        .size:           8
        .value_kind:     global_buffer
      - .actual_access:  read_only
        .address_space:  global
        .offset:         32
        .size:           8
        .value_kind:     global_buffer
      - .actual_access:  read_only
        .address_space:  global
        .offset:         40
        .size:           8
        .value_kind:     global_buffer
      - .actual_access:  write_only
        .address_space:  global
        .offset:         48
        .size:           8
        .value_kind:     global_buffer
      - .actual_access:  write_only
        .address_space:  global
        .offset:         56
        .size:           8
        .value_kind:     global_buffer
      - .offset:         64
        .size:           4
        .value_kind:     hidden_block_count_x
      - .offset:         68
        .size:           4
        .value_kind:     hidden_block_count_y
      - .offset:         72
        .size:           4
        .value_kind:     hidden_block_count_z
      - .offset:         76
        .size:           2
        .value_kind:     hidden_group_size_x
      - .offset:         78
        .size:           2
        .value_kind:     hidden_group_size_y
      - .offset:         80
        .size:           2
        .value_kind:     hidden_group_size_z
      - .offset:         82
        .size:           2
        .value_kind:     hidden_remainder_x
      - .offset:         84
        .size:           2
        .value_kind:     hidden_remainder_y
      - .offset:         86
        .size:           2
        .value_kind:     hidden_remainder_z
      - .offset:         104
        .size:           8
        .value_kind:     hidden_global_offset_x
      - .offset:         112
        .size:           8
        .value_kind:     hidden_global_offset_y
      - .offset:         120
        .size:           8
        .value_kind:     hidden_global_offset_z
      - .offset:         128
        .size:           2
        .value_kind:     hidden_grid_dims
    .group_segment_fixed_size: 0
    .kernarg_segment_align: 8
    .kernarg_segment_size: 320
    .language:       OpenCL C
    .language_version:
      - 2
      - 0
    .max_flat_workgroup_size: 32
    .name:           _ZN2at6native12_GLOBAL__N_135GammaBetaBackwardCUDAKernelTemplateIN3c104HalfEfLj32ELj1ELj32ELb1ELb0ELb0EEEvllPKT_S7_PKT0_SA_PS5_SB_
    .private_segment_fixed_size: 0
    .sgpr_count:     38
    .sgpr_spill_count: 0
    .symbol:         _ZN2at6native12_GLOBAL__N_135GammaBetaBackwardCUDAKernelTemplateIN3c104HalfEfLj32ELj1ELj32ELb1ELb0ELb0EEEvllPKT_S7_PKT0_SA_PS5_SB_.kd
    .uniform_work_group_size: 1
    .uses_dynamic_stack: false
    .vgpr_count:     346
    .vgpr_spill_count: 0
    .wavefront_size: 32
  - .args:
      - .offset:         0
        .size:           8
        .value_kind:     by_value
      - .offset:         8
        .size:           8
        .value_kind:     by_value
      - .actual_access:  read_only
        .address_space:  global
        .offset:         16
        .size:           8
        .value_kind:     global_buffer
      - .actual_access:  read_only
        .address_space:  global
        .offset:         24
        .size:           8
        .value_kind:     global_buffer
      - .actual_access:  read_only
        .address_space:  global
        .offset:         32
        .size:           8
        .value_kind:     global_buffer
      - .actual_access:  read_only
        .address_space:  global
        .offset:         40
        .size:           8
        .value_kind:     global_buffer
      - .actual_access:  write_only
        .address_space:  global
        .offset:         48
        .size:           8
        .value_kind:     global_buffer
      - .actual_access:  write_only
        .address_space:  global
        .offset:         56
        .size:           8
        .value_kind:     global_buffer
      - .offset:         64
        .size:           4
        .value_kind:     hidden_block_count_x
      - .offset:         68
        .size:           4
        .value_kind:     hidden_block_count_y
      - .offset:         72
        .size:           4
        .value_kind:     hidden_block_count_z
      - .offset:         76
        .size:           2
        .value_kind:     hidden_group_size_x
      - .offset:         78
        .size:           2
        .value_kind:     hidden_group_size_y
      - .offset:         80
        .size:           2
        .value_kind:     hidden_group_size_z
      - .offset:         82
        .size:           2
        .value_kind:     hidden_remainder_x
      - .offset:         84
        .size:           2
        .value_kind:     hidden_remainder_y
      - .offset:         86
        .size:           2
        .value_kind:     hidden_remainder_z
      - .offset:         104
        .size:           8
        .value_kind:     hidden_global_offset_x
      - .offset:         112
        .size:           8
        .value_kind:     hidden_global_offset_y
      - .offset:         120
        .size:           8
        .value_kind:     hidden_global_offset_z
      - .offset:         128
        .size:           2
        .value_kind:     hidden_grid_dims
    .group_segment_fixed_size: 0
    .kernarg_segment_align: 8
    .kernarg_segment_size: 320
    .language:       OpenCL C
    .language_version:
      - 2
      - 0
    .max_flat_workgroup_size: 32
    .name:           _ZN2at6native12_GLOBAL__N_135GammaBetaBackwardCUDAKernelTemplateIN3c104HalfEfLj32ELj1ELj8ELb1ELb1ELb0EEEvllPKT_S7_PKT0_SA_PS5_SB_
    .private_segment_fixed_size: 0
    .sgpr_count:     33
    .sgpr_spill_count: 0
    .symbol:         _ZN2at6native12_GLOBAL__N_135GammaBetaBackwardCUDAKernelTemplateIN3c104HalfEfLj32ELj1ELj8ELb1ELb1ELb0EEEvllPKT_S7_PKT0_SA_PS5_SB_.kd
    .uniform_work_group_size: 1
    .uses_dynamic_stack: false
    .vgpr_count:     49
    .vgpr_spill_count: 0
    .wavefront_size: 32
  - .args:
      - .offset:         0
        .size:           8
        .value_kind:     by_value
      - .offset:         8
        .size:           8
        .value_kind:     by_value
      - .actual_access:  read_only
        .address_space:  global
        .offset:         16
        .size:           8
        .value_kind:     global_buffer
      - .actual_access:  read_only
        .address_space:  global
        .offset:         24
        .size:           8
        .value_kind:     global_buffer
      - .actual_access:  read_only
        .address_space:  global
        .offset:         32
        .size:           8
        .value_kind:     global_buffer
      - .actual_access:  read_only
        .address_space:  global
        .offset:         40
        .size:           8
        .value_kind:     global_buffer
      - .actual_access:  write_only
        .address_space:  global
        .offset:         48
        .size:           8
        .value_kind:     global_buffer
      - .actual_access:  write_only
        .address_space:  global
        .offset:         56
        .size:           8
        .value_kind:     global_buffer
      - .offset:         64
        .size:           4
        .value_kind:     hidden_block_count_x
      - .offset:         68
        .size:           4
        .value_kind:     hidden_block_count_y
      - .offset:         72
        .size:           4
        .value_kind:     hidden_block_count_z
      - .offset:         76
        .size:           2
        .value_kind:     hidden_group_size_x
      - .offset:         78
        .size:           2
        .value_kind:     hidden_group_size_y
      - .offset:         80
        .size:           2
        .value_kind:     hidden_group_size_z
      - .offset:         82
        .size:           2
        .value_kind:     hidden_remainder_x
      - .offset:         84
        .size:           2
        .value_kind:     hidden_remainder_y
      - .offset:         86
        .size:           2
        .value_kind:     hidden_remainder_z
      - .offset:         104
        .size:           8
        .value_kind:     hidden_global_offset_x
      - .offset:         112
        .size:           8
        .value_kind:     hidden_global_offset_y
      - .offset:         120
        .size:           8
        .value_kind:     hidden_global_offset_z
      - .offset:         128
        .size:           2
        .value_kind:     hidden_grid_dims
    .group_segment_fixed_size: 0
    .kernarg_segment_align: 8
    .kernarg_segment_size: 320
    .language:       OpenCL C
    .language_version:
      - 2
      - 0
    .max_flat_workgroup_size: 32
    .name:           _ZN2at6native12_GLOBAL__N_135GammaBetaBackwardCUDAKernelTemplateIN3c104HalfEfLj32ELj1ELj8ELb1ELb0ELb0EEEvllPKT_S7_PKT0_SA_PS5_SB_
    .private_segment_fixed_size: 0
    .sgpr_count:     38
    .sgpr_spill_count: 0
    .symbol:         _ZN2at6native12_GLOBAL__N_135GammaBetaBackwardCUDAKernelTemplateIN3c104HalfEfLj32ELj1ELj8ELb1ELb0ELb0EEEvllPKT_S7_PKT0_SA_PS5_SB_.kd
    .uniform_work_group_size: 1
    .uses_dynamic_stack: false
    .vgpr_count:     106
    .vgpr_spill_count: 0
    .wavefront_size: 32
  - .args:
      - .offset:         0
        .size:           8
        .value_kind:     by_value
      - .offset:         8
        .size:           8
        .value_kind:     by_value
      - .actual_access:  read_only
        .address_space:  global
        .offset:         16
        .size:           8
        .value_kind:     global_buffer
      - .actual_access:  read_only
        .address_space:  global
        .offset:         24
        .size:           8
        .value_kind:     global_buffer
      - .actual_access:  read_only
        .address_space:  global
        .offset:         32
        .size:           8
        .value_kind:     global_buffer
      - .actual_access:  read_only
        .address_space:  global
        .offset:         40
        .size:           8
        .value_kind:     global_buffer
      - .actual_access:  write_only
        .address_space:  global
        .offset:         48
        .size:           8
        .value_kind:     global_buffer
      - .actual_access:  write_only
        .address_space:  global
        .offset:         56
        .size:           8
        .value_kind:     global_buffer
      - .offset:         64
        .size:           4
        .value_kind:     hidden_block_count_x
      - .offset:         68
        .size:           4
        .value_kind:     hidden_block_count_y
      - .offset:         72
        .size:           4
        .value_kind:     hidden_block_count_z
      - .offset:         76
        .size:           2
        .value_kind:     hidden_group_size_x
      - .offset:         78
        .size:           2
        .value_kind:     hidden_group_size_y
      - .offset:         80
        .size:           2
        .value_kind:     hidden_group_size_z
      - .offset:         82
        .size:           2
        .value_kind:     hidden_remainder_x
      - .offset:         84
        .size:           2
        .value_kind:     hidden_remainder_y
      - .offset:         86
        .size:           2
        .value_kind:     hidden_remainder_z
      - .offset:         104
        .size:           8
        .value_kind:     hidden_global_offset_x
      - .offset:         112
        .size:           8
        .value_kind:     hidden_global_offset_y
      - .offset:         120
        .size:           8
        .value_kind:     hidden_global_offset_z
      - .offset:         128
        .size:           2
        .value_kind:     hidden_grid_dims
      - .offset:         184
        .size:           4
        .value_kind:     hidden_dynamic_lds_size
    .group_segment_fixed_size: 0
    .kernarg_segment_align: 8
    .kernarg_segment_size: 320
    .language:       OpenCL C
    .language_version:
      - 2
      - 0
    .max_flat_workgroup_size: 256
    .name:           _ZN2at6native12_GLOBAL__N_135GammaBetaBackwardCUDAKernelTemplateIN3c104HalfEfLj32ELj8ELj64ELb0ELb1ELb0EEEvllPKT_S7_PKT0_SA_PS5_SB_
    .private_segment_fixed_size: 0
    .sgpr_count:     28
    .sgpr_spill_count: 0
    .symbol:         _ZN2at6native12_GLOBAL__N_135GammaBetaBackwardCUDAKernelTemplateIN3c104HalfEfLj32ELj8ELj64ELb0ELb1ELb0EEEvllPKT_S7_PKT0_SA_PS5_SB_.kd
    .uniform_work_group_size: 1
    .uses_dynamic_stack: false
    .vgpr_count:     49
    .vgpr_spill_count: 0
    .wavefront_size: 32
  - .args:
      - .offset:         0
        .size:           8
        .value_kind:     by_value
      - .offset:         8
        .size:           8
        .value_kind:     by_value
      - .actual_access:  read_only
        .address_space:  global
        .offset:         16
        .size:           8
        .value_kind:     global_buffer
      - .actual_access:  read_only
        .address_space:  global
        .offset:         24
        .size:           8
        .value_kind:     global_buffer
      - .actual_access:  read_only
        .address_space:  global
        .offset:         32
        .size:           8
        .value_kind:     global_buffer
      - .actual_access:  read_only
        .address_space:  global
        .offset:         40
        .size:           8
        .value_kind:     global_buffer
      - .actual_access:  write_only
        .address_space:  global
        .offset:         48
        .size:           8
        .value_kind:     global_buffer
      - .actual_access:  write_only
        .address_space:  global
        .offset:         56
        .size:           8
        .value_kind:     global_buffer
      - .offset:         64
        .size:           4
        .value_kind:     hidden_block_count_x
      - .offset:         68
        .size:           4
        .value_kind:     hidden_block_count_y
      - .offset:         72
        .size:           4
        .value_kind:     hidden_block_count_z
      - .offset:         76
        .size:           2
        .value_kind:     hidden_group_size_x
      - .offset:         78
        .size:           2
        .value_kind:     hidden_group_size_y
      - .offset:         80
        .size:           2
        .value_kind:     hidden_group_size_z
      - .offset:         82
        .size:           2
        .value_kind:     hidden_remainder_x
      - .offset:         84
        .size:           2
        .value_kind:     hidden_remainder_y
      - .offset:         86
        .size:           2
        .value_kind:     hidden_remainder_z
      - .offset:         104
        .size:           8
        .value_kind:     hidden_global_offset_x
      - .offset:         112
        .size:           8
        .value_kind:     hidden_global_offset_y
      - .offset:         120
        .size:           8
        .value_kind:     hidden_global_offset_z
      - .offset:         128
        .size:           2
        .value_kind:     hidden_grid_dims
      - .offset:         184
        .size:           4
        .value_kind:     hidden_dynamic_lds_size
    .group_segment_fixed_size: 0
    .kernarg_segment_align: 8
    .kernarg_segment_size: 320
    .language:       OpenCL C
    .language_version:
      - 2
      - 0
    .max_flat_workgroup_size: 256
    .name:           _ZN2at6native12_GLOBAL__N_135GammaBetaBackwardCUDAKernelTemplateIN3c104HalfEfLj32ELj8ELj64ELb0ELb0ELb0EEEvllPKT_S7_PKT0_SA_PS5_SB_
    .private_segment_fixed_size: 0
    .sgpr_count:     54
    .sgpr_spill_count: 0
    .symbol:         _ZN2at6native12_GLOBAL__N_135GammaBetaBackwardCUDAKernelTemplateIN3c104HalfEfLj32ELj8ELj64ELb0ELb0ELb0EEEvllPKT_S7_PKT0_SA_PS5_SB_.kd
    .uniform_work_group_size: 1
    .uses_dynamic_stack: false
    .vgpr_count:     106
    .vgpr_spill_count: 0
    .wavefront_size: 32
  - .args:
      - .offset:         0
        .size:           8
        .value_kind:     by_value
      - .offset:         8
        .size:           8
        .value_kind:     by_value
      - .actual_access:  read_only
        .address_space:  global
        .offset:         16
        .size:           8
        .value_kind:     global_buffer
      - .actual_access:  read_only
        .address_space:  global
        .offset:         24
        .size:           8
        .value_kind:     global_buffer
      - .actual_access:  read_only
        .address_space:  global
        .offset:         32
        .size:           8
        .value_kind:     global_buffer
      - .actual_access:  read_only
        .address_space:  global
        .offset:         40
        .size:           8
        .value_kind:     global_buffer
      - .actual_access:  write_only
        .address_space:  global
        .offset:         48
        .size:           8
        .value_kind:     global_buffer
      - .actual_access:  write_only
        .address_space:  global
        .offset:         56
        .size:           8
        .value_kind:     global_buffer
      - .offset:         64
        .size:           4
        .value_kind:     hidden_block_count_x
      - .offset:         68
        .size:           4
        .value_kind:     hidden_block_count_y
      - .offset:         72
        .size:           4
        .value_kind:     hidden_block_count_z
      - .offset:         76
        .size:           2
        .value_kind:     hidden_group_size_x
      - .offset:         78
        .size:           2
        .value_kind:     hidden_group_size_y
      - .offset:         80
        .size:           2
        .value_kind:     hidden_group_size_z
      - .offset:         82
        .size:           2
        .value_kind:     hidden_remainder_x
      - .offset:         84
        .size:           2
        .value_kind:     hidden_remainder_y
      - .offset:         86
        .size:           2
        .value_kind:     hidden_remainder_z
      - .offset:         104
        .size:           8
        .value_kind:     hidden_global_offset_x
      - .offset:         112
        .size:           8
        .value_kind:     hidden_global_offset_y
      - .offset:         120
        .size:           8
        .value_kind:     hidden_global_offset_z
      - .offset:         128
        .size:           2
        .value_kind:     hidden_grid_dims
      - .offset:         184
        .size:           4
        .value_kind:     hidden_dynamic_lds_size
    .group_segment_fixed_size: 0
    .kernarg_segment_align: 8
    .kernarg_segment_size: 320
    .language:       OpenCL C
    .language_version:
      - 2
      - 0
    .max_flat_workgroup_size: 512
    .name:           _ZN2at6native12_GLOBAL__N_135GammaBetaBackwardCUDAKernelTemplateIN3c104HalfEfLj32ELj16ELj128ELb0ELb1ELb0EEEvllPKT_S7_PKT0_SA_PS5_SB_
    .private_segment_fixed_size: 0
    .sgpr_count:     28
    .sgpr_spill_count: 0
    .symbol:         _ZN2at6native12_GLOBAL__N_135GammaBetaBackwardCUDAKernelTemplateIN3c104HalfEfLj32ELj16ELj128ELb0ELb1ELb0EEEvllPKT_S7_PKT0_SA_PS5_SB_.kd
    .uniform_work_group_size: 1
    .uses_dynamic_stack: false
    .vgpr_count:     49
    .vgpr_spill_count: 0
    .wavefront_size: 32
  - .args:
      - .offset:         0
        .size:           8
        .value_kind:     by_value
      - .offset:         8
        .size:           8
        .value_kind:     by_value
      - .actual_access:  read_only
        .address_space:  global
        .offset:         16
        .size:           8
        .value_kind:     global_buffer
      - .actual_access:  read_only
        .address_space:  global
        .offset:         24
        .size:           8
        .value_kind:     global_buffer
      - .actual_access:  read_only
        .address_space:  global
        .offset:         32
        .size:           8
        .value_kind:     global_buffer
      - .actual_access:  read_only
        .address_space:  global
        .offset:         40
        .size:           8
        .value_kind:     global_buffer
      - .actual_access:  write_only
        .address_space:  global
        .offset:         48
        .size:           8
        .value_kind:     global_buffer
      - .actual_access:  write_only
        .address_space:  global
        .offset:         56
        .size:           8
        .value_kind:     global_buffer
      - .offset:         64
        .size:           4
        .value_kind:     hidden_block_count_x
      - .offset:         68
        .size:           4
        .value_kind:     hidden_block_count_y
      - .offset:         72
        .size:           4
        .value_kind:     hidden_block_count_z
      - .offset:         76
        .size:           2
        .value_kind:     hidden_group_size_x
      - .offset:         78
        .size:           2
        .value_kind:     hidden_group_size_y
      - .offset:         80
        .size:           2
        .value_kind:     hidden_group_size_z
      - .offset:         82
        .size:           2
        .value_kind:     hidden_remainder_x
      - .offset:         84
        .size:           2
        .value_kind:     hidden_remainder_y
      - .offset:         86
        .size:           2
        .value_kind:     hidden_remainder_z
      - .offset:         104
        .size:           8
        .value_kind:     hidden_global_offset_x
      - .offset:         112
        .size:           8
        .value_kind:     hidden_global_offset_y
      - .offset:         120
        .size:           8
        .value_kind:     hidden_global_offset_z
      - .offset:         128
        .size:           2
        .value_kind:     hidden_grid_dims
      - .offset:         184
        .size:           4
        .value_kind:     hidden_dynamic_lds_size
    .group_segment_fixed_size: 0
    .kernarg_segment_align: 8
    .kernarg_segment_size: 320
    .language:       OpenCL C
    .language_version:
      - 2
      - 0
    .max_flat_workgroup_size: 512
    .name:           _ZN2at6native12_GLOBAL__N_135GammaBetaBackwardCUDAKernelTemplateIN3c104HalfEfLj32ELj16ELj128ELb0ELb0ELb0EEEvllPKT_S7_PKT0_SA_PS5_SB_
    .private_segment_fixed_size: 0
    .sgpr_count:     54
    .sgpr_spill_count: 0
    .symbol:         _ZN2at6native12_GLOBAL__N_135GammaBetaBackwardCUDAKernelTemplateIN3c104HalfEfLj32ELj16ELj128ELb0ELb0ELb0EEEvllPKT_S7_PKT0_SA_PS5_SB_.kd
    .uniform_work_group_size: 1
    .uses_dynamic_stack: false
    .vgpr_count:     106
    .vgpr_spill_count: 0
    .wavefront_size: 32
  - .args:
      - .offset:         0
        .size:           8
        .value_kind:     by_value
      - .offset:         8
        .size:           8
        .value_kind:     by_value
      - .actual_access:  read_only
        .address_space:  global
        .offset:         16
        .size:           8
        .value_kind:     global_buffer
      - .actual_access:  read_only
        .address_space:  global
        .offset:         24
        .size:           8
        .value_kind:     global_buffer
      - .actual_access:  read_only
        .address_space:  global
        .offset:         32
        .size:           8
        .value_kind:     global_buffer
      - .actual_access:  read_only
        .address_space:  global
        .offset:         40
        .size:           8
        .value_kind:     global_buffer
      - .actual_access:  write_only
        .address_space:  global
        .offset:         48
        .size:           8
        .value_kind:     global_buffer
      - .actual_access:  write_only
        .address_space:  global
        .offset:         56
        .size:           8
        .value_kind:     global_buffer
      - .offset:         64
        .size:           4
        .value_kind:     hidden_block_count_x
      - .offset:         68
        .size:           4
        .value_kind:     hidden_block_count_y
      - .offset:         72
        .size:           4
        .value_kind:     hidden_block_count_z
      - .offset:         76
        .size:           2
        .value_kind:     hidden_group_size_x
      - .offset:         78
        .size:           2
        .value_kind:     hidden_group_size_y
      - .offset:         80
        .size:           2
        .value_kind:     hidden_group_size_z
      - .offset:         82
        .size:           2
        .value_kind:     hidden_remainder_x
      - .offset:         84
        .size:           2
        .value_kind:     hidden_remainder_y
      - .offset:         86
        .size:           2
        .value_kind:     hidden_remainder_z
      - .offset:         104
        .size:           8
        .value_kind:     hidden_global_offset_x
      - .offset:         112
        .size:           8
        .value_kind:     hidden_global_offset_y
      - .offset:         120
        .size:           8
        .value_kind:     hidden_global_offset_z
      - .offset:         128
        .size:           2
        .value_kind:     hidden_grid_dims
      - .offset:         184
        .size:           4
        .value_kind:     hidden_dynamic_lds_size
    .group_segment_fixed_size: 0
    .kernarg_segment_align: 8
    .kernarg_segment_size: 320
    .language:       OpenCL C
    .language_version:
      - 2
      - 0
    .max_flat_workgroup_size: 1024
    .name:           _ZN2at6native12_GLOBAL__N_135GammaBetaBackwardCUDAKernelTemplateIN3c104HalfEfLj32ELj32ELj256ELb0ELb1ELb0EEEvllPKT_S7_PKT0_SA_PS5_SB_
    .private_segment_fixed_size: 0
    .sgpr_count:     28
    .sgpr_spill_count: 0
    .symbol:         _ZN2at6native12_GLOBAL__N_135GammaBetaBackwardCUDAKernelTemplateIN3c104HalfEfLj32ELj32ELj256ELb0ELb1ELb0EEEvllPKT_S7_PKT0_SA_PS5_SB_.kd
    .uniform_work_group_size: 1
    .uses_dynamic_stack: false
    .vgpr_count:     49
    .vgpr_spill_count: 0
    .wavefront_size: 32
  - .args:
      - .offset:         0
        .size:           8
        .value_kind:     by_value
      - .offset:         8
        .size:           8
        .value_kind:     by_value
      - .actual_access:  read_only
        .address_space:  global
        .offset:         16
        .size:           8
        .value_kind:     global_buffer
      - .actual_access:  read_only
        .address_space:  global
        .offset:         24
        .size:           8
        .value_kind:     global_buffer
      - .actual_access:  read_only
        .address_space:  global
        .offset:         32
        .size:           8
        .value_kind:     global_buffer
      - .actual_access:  read_only
        .address_space:  global
        .offset:         40
        .size:           8
        .value_kind:     global_buffer
      - .actual_access:  write_only
        .address_space:  global
        .offset:         48
        .size:           8
        .value_kind:     global_buffer
      - .actual_access:  write_only
        .address_space:  global
        .offset:         56
        .size:           8
        .value_kind:     global_buffer
      - .offset:         64
        .size:           4
        .value_kind:     hidden_block_count_x
      - .offset:         68
        .size:           4
        .value_kind:     hidden_block_count_y
      - .offset:         72
        .size:           4
        .value_kind:     hidden_block_count_z
      - .offset:         76
        .size:           2
        .value_kind:     hidden_group_size_x
      - .offset:         78
        .size:           2
        .value_kind:     hidden_group_size_y
      - .offset:         80
        .size:           2
        .value_kind:     hidden_group_size_z
      - .offset:         82
        .size:           2
        .value_kind:     hidden_remainder_x
      - .offset:         84
        .size:           2
        .value_kind:     hidden_remainder_y
      - .offset:         86
        .size:           2
        .value_kind:     hidden_remainder_z
      - .offset:         104
        .size:           8
        .value_kind:     hidden_global_offset_x
      - .offset:         112
        .size:           8
        .value_kind:     hidden_global_offset_y
      - .offset:         120
        .size:           8
        .value_kind:     hidden_global_offset_z
      - .offset:         128
        .size:           2
        .value_kind:     hidden_grid_dims
      - .offset:         184
        .size:           4
        .value_kind:     hidden_dynamic_lds_size
    .group_segment_fixed_size: 0
    .kernarg_segment_align: 8
    .kernarg_segment_size: 320
    .language:       OpenCL C
    .language_version:
      - 2
      - 0
    .max_flat_workgroup_size: 1024
    .name:           _ZN2at6native12_GLOBAL__N_135GammaBetaBackwardCUDAKernelTemplateIN3c104HalfEfLj32ELj32ELj256ELb0ELb0ELb0EEEvllPKT_S7_PKT0_SA_PS5_SB_
    .private_segment_fixed_size: 0
    .sgpr_count:     54
    .sgpr_spill_count: 0
    .symbol:         _ZN2at6native12_GLOBAL__N_135GammaBetaBackwardCUDAKernelTemplateIN3c104HalfEfLj32ELj32ELj256ELb0ELb0ELb0EEEvllPKT_S7_PKT0_SA_PS5_SB_.kd
    .uniform_work_group_size: 1
    .uses_dynamic_stack: false
    .vgpr_count:     106
    .vgpr_spill_count: 0
    .wavefront_size: 32
  - .args:
      - .actual_access:  read_only
        .address_space:  global
        .offset:         0
        .size:           8
        .value_kind:     global_buffer
      - .actual_access:  read_only
        .address_space:  global
        .offset:         8
        .size:           8
        .value_kind:     global_buffer
      - .offset:         16
        .size:           8
        .value_kind:     by_value
      - .offset:         24
        .size:           8
        .value_kind:     by_value
      - .actual_access:  read_only
        .address_space:  global
        .offset:         32
        .size:           8
        .value_kind:     global_buffer
      - .actual_access:  read_only
        .address_space:  global
        .offset:         40
        .size:           8
        .value_kind:     global_buffer
      - .address_space:  global
        .offset:         48
        .size:           8
        .value_kind:     global_buffer
      - .address_space:  global
        .offset:         56
        .size:           8
        .value_kind:     global_buffer
      - .offset:         64
        .size:           4
        .value_kind:     hidden_block_count_x
      - .offset:         68
        .size:           4
        .value_kind:     hidden_block_count_y
      - .offset:         72
        .size:           4
        .value_kind:     hidden_block_count_z
      - .offset:         76
        .size:           2
        .value_kind:     hidden_group_size_x
      - .offset:         78
        .size:           2
        .value_kind:     hidden_group_size_y
      - .offset:         80
        .size:           2
        .value_kind:     hidden_group_size_z
      - .offset:         82
        .size:           2
        .value_kind:     hidden_remainder_x
      - .offset:         84
        .size:           2
        .value_kind:     hidden_remainder_y
      - .offset:         86
        .size:           2
        .value_kind:     hidden_remainder_z
      - .offset:         104
        .size:           8
        .value_kind:     hidden_global_offset_x
      - .offset:         112
        .size:           8
        .value_kind:     hidden_global_offset_y
      - .offset:         120
        .size:           8
        .value_kind:     hidden_global_offset_z
      - .offset:         128
        .size:           2
        .value_kind:     hidden_grid_dims
      - .offset:         184
        .size:           4
        .value_kind:     hidden_dynamic_lds_size
    .group_segment_fixed_size: 0
    .kernarg_segment_align: 8
    .kernarg_segment_size: 320
    .language:       OpenCL C
    .language_version:
      - 2
      - 0
    .max_flat_workgroup_size: 1024
    .name:           _ZN2at6native12_GLOBAL__N_118cuComputeGradInputIN3c108BFloat16EfLb0EEEvPKT_S7_llPKT0_SA_S7_PS5_
    .private_segment_fixed_size: 0
    .sgpr_count:     43
    .sgpr_spill_count: 0
    .symbol:         _ZN2at6native12_GLOBAL__N_118cuComputeGradInputIN3c108BFloat16EfLb0EEEvPKT_S7_llPKT0_SA_S7_PS5_.kd
    .uniform_work_group_size: 1
    .uses_dynamic_stack: false
    .vgpr_count:     26
    .vgpr_spill_count: 0
    .wavefront_size: 32
  - .args:
      - .actual_access:  read_only
        .address_space:  global
        .offset:         0
        .size:           8
        .value_kind:     global_buffer
      - .actual_access:  read_only
        .address_space:  global
        .offset:         8
        .size:           8
        .value_kind:     global_buffer
      - .actual_access:  read_only
        .address_space:  global
        .offset:         16
        .size:           8
        .value_kind:     global_buffer
      - .actual_access:  read_only
        .address_space:  global
        .offset:         24
        .size:           8
        .value_kind:     global_buffer
      - .actual_access:  read_only
        .address_space:  global
        .offset:         32
        .size:           8
        .value_kind:     global_buffer
      - .address_space:  global
        .offset:         40
        .size:           8
        .value_kind:     global_buffer
      - .offset:         48
        .size:           4
        .value_kind:     by_value
      - .offset:         56
        .size:           4
        .value_kind:     hidden_block_count_x
      - .offset:         60
        .size:           4
        .value_kind:     hidden_block_count_y
      - .offset:         64
        .size:           4
        .value_kind:     hidden_block_count_z
      - .offset:         68
        .size:           2
        .value_kind:     hidden_group_size_x
      - .offset:         70
        .size:           2
        .value_kind:     hidden_group_size_y
      - .offset:         72
        .size:           2
        .value_kind:     hidden_group_size_z
      - .offset:         74
        .size:           2
        .value_kind:     hidden_remainder_x
      - .offset:         76
        .size:           2
        .value_kind:     hidden_remainder_y
      - .offset:         78
        .size:           2
        .value_kind:     hidden_remainder_z
      - .offset:         96
        .size:           8
        .value_kind:     hidden_global_offset_x
      - .offset:         104
        .size:           8
        .value_kind:     hidden_global_offset_y
      - .offset:         112
        .size:           8
        .value_kind:     hidden_global_offset_z
      - .offset:         120
        .size:           2
        .value_kind:     hidden_grid_dims
      - .offset:         176
        .size:           4
        .value_kind:     hidden_dynamic_lds_size
    .group_segment_fixed_size: 0
    .kernarg_segment_align: 8
    .kernarg_segment_size: 312
    .language:       OpenCL C
    .language_version:
      - 2
      - 0
    .max_flat_workgroup_size: 1024
    .name:           _ZN2at6native12_GLOBAL__N_128layer_norm_grad_input_kernelIN3c108BFloat16EfLb0EEEvPKT_S7_PKT0_SA_S7_PS5_i
    .private_segment_fixed_size: 0
    .sgpr_count:     25
    .sgpr_spill_count: 0
    .symbol:         _ZN2at6native12_GLOBAL__N_128layer_norm_grad_input_kernelIN3c108BFloat16EfLb0EEEvPKT_S7_PKT0_SA_S7_PS5_i.kd
    .uniform_work_group_size: 1
    .uses_dynamic_stack: false
    .vgpr_count:     22
    .vgpr_spill_count: 0
    .wavefront_size: 32
  - .args:
      - .offset:         0
        .size:           8
        .value_kind:     by_value
      - .offset:         8
        .size:           8
        .value_kind:     by_value
      - .address_space:  global
        .offset:         16
        .size:           8
        .value_kind:     global_buffer
      - .address_space:  global
        .offset:         24
        .size:           8
        .value_kind:     global_buffer
      - .address_space:  global
        .offset:         32
        .size:           8
        .value_kind:     global_buffer
      - .address_space:  global
        .offset:         40
        .size:           8
        .value_kind:     global_buffer
      - .address_space:  global
        .offset:         48
        .size:           8
        .value_kind:     global_buffer
      - .address_space:  global
        .offset:         56
        .size:           8
        .value_kind:     global_buffer
      - .offset:         64
        .size:           4
        .value_kind:     hidden_block_count_x
      - .offset:         68
        .size:           4
        .value_kind:     hidden_block_count_y
      - .offset:         72
        .size:           4
        .value_kind:     hidden_block_count_z
      - .offset:         76
        .size:           2
        .value_kind:     hidden_group_size_x
      - .offset:         78
        .size:           2
        .value_kind:     hidden_group_size_y
      - .offset:         80
        .size:           2
        .value_kind:     hidden_group_size_z
      - .offset:         82
        .size:           2
        .value_kind:     hidden_remainder_x
      - .offset:         84
        .size:           2
        .value_kind:     hidden_remainder_y
      - .offset:         86
        .size:           2
        .value_kind:     hidden_remainder_z
      - .offset:         104
        .size:           8
        .value_kind:     hidden_global_offset_x
      - .offset:         112
        .size:           8
        .value_kind:     hidden_global_offset_y
      - .offset:         120
        .size:           8
        .value_kind:     hidden_global_offset_z
      - .offset:         128
        .size:           2
        .value_kind:     hidden_grid_dims
    .group_segment_fixed_size: 0
    .kernarg_segment_align: 8
    .kernarg_segment_size: 320
    .language:       OpenCL C
    .language_version:
      - 2
      - 0
    .max_flat_workgroup_size: 1024
    .name:           _ZN2at6native12_GLOBAL__N_133GammaBetaBackwardSimpleCUDAKernelIN3c108BFloat16EfLb0EEEvllPKT_S7_PKT0_SA_PS5_SB_
    .private_segment_fixed_size: 0
    .sgpr_count:     23
    .sgpr_spill_count: 0
    .symbol:         _ZN2at6native12_GLOBAL__N_133GammaBetaBackwardSimpleCUDAKernelIN3c108BFloat16EfLb0EEEvllPKT_S7_PKT0_SA_PS5_SB_.kd
    .uniform_work_group_size: 1
    .uses_dynamic_stack: false
    .vgpr_count:     12
    .vgpr_spill_count: 0
    .wavefront_size: 32
  - .args:
      - .offset:         0
        .size:           8
        .value_kind:     by_value
      - .offset:         8
        .size:           8
        .value_kind:     by_value
      - .actual_access:  read_only
        .address_space:  global
        .offset:         16
        .size:           8
        .value_kind:     global_buffer
      - .actual_access:  read_only
        .address_space:  global
        .offset:         24
        .size:           8
        .value_kind:     global_buffer
      - .actual_access:  read_only
        .address_space:  global
        .offset:         32
        .size:           8
        .value_kind:     global_buffer
      - .actual_access:  read_only
        .address_space:  global
        .offset:         40
        .size:           8
        .value_kind:     global_buffer
      - .actual_access:  write_only
        .address_space:  global
        .offset:         48
        .size:           8
        .value_kind:     global_buffer
      - .actual_access:  write_only
        .address_space:  global
        .offset:         56
        .size:           8
        .value_kind:     global_buffer
      - .offset:         64
        .size:           4
        .value_kind:     hidden_block_count_x
      - .offset:         68
        .size:           4
        .value_kind:     hidden_block_count_y
      - .offset:         72
        .size:           4
        .value_kind:     hidden_block_count_z
      - .offset:         76
        .size:           2
        .value_kind:     hidden_group_size_x
      - .offset:         78
        .size:           2
        .value_kind:     hidden_group_size_y
      - .offset:         80
        .size:           2
        .value_kind:     hidden_group_size_z
      - .offset:         82
        .size:           2
        .value_kind:     hidden_remainder_x
      - .offset:         84
        .size:           2
        .value_kind:     hidden_remainder_y
      - .offset:         86
        .size:           2
        .value_kind:     hidden_remainder_z
      - .offset:         104
        .size:           8
        .value_kind:     hidden_global_offset_x
      - .offset:         112
        .size:           8
        .value_kind:     hidden_global_offset_y
      - .offset:         120
        .size:           8
        .value_kind:     hidden_global_offset_z
      - .offset:         128
        .size:           2
        .value_kind:     hidden_grid_dims
    .group_segment_fixed_size: 0
    .kernarg_segment_align: 8
    .kernarg_segment_size: 320
    .language:       OpenCL C
    .language_version:
      - 2
      - 0
    .max_flat_workgroup_size: 64
    .name:           _ZN2at6native12_GLOBAL__N_135GammaBetaBackwardCUDAKernelTemplateIN3c108BFloat16EfLj64ELj1ELj32ELb1ELb1ELb0EEEvllPKT_S7_PKT0_SA_PS5_SB_
    .private_segment_fixed_size: 0
    .sgpr_count:     31
    .sgpr_spill_count: 0
    .symbol:         _ZN2at6native12_GLOBAL__N_135GammaBetaBackwardCUDAKernelTemplateIN3c108BFloat16EfLj64ELj1ELj32ELb1ELb1ELb0EEEvllPKT_S7_PKT0_SA_PS5_SB_.kd
    .uniform_work_group_size: 1
    .uses_dynamic_stack: false
    .vgpr_count:     65
    .vgpr_spill_count: 0
    .wavefront_size: 32
  - .args:
      - .offset:         0
        .size:           8
        .value_kind:     by_value
      - .offset:         8
        .size:           8
        .value_kind:     by_value
      - .actual_access:  read_only
        .address_space:  global
        .offset:         16
        .size:           8
        .value_kind:     global_buffer
      - .actual_access:  read_only
        .address_space:  global
        .offset:         24
        .size:           8
        .value_kind:     global_buffer
      - .actual_access:  read_only
        .address_space:  global
        .offset:         32
        .size:           8
        .value_kind:     global_buffer
      - .actual_access:  read_only
        .address_space:  global
        .offset:         40
        .size:           8
        .value_kind:     global_buffer
      - .actual_access:  write_only
        .address_space:  global
        .offset:         48
        .size:           8
        .value_kind:     global_buffer
      - .actual_access:  write_only
        .address_space:  global
        .offset:         56
        .size:           8
        .value_kind:     global_buffer
      - .offset:         64
        .size:           4
        .value_kind:     hidden_block_count_x
      - .offset:         68
        .size:           4
        .value_kind:     hidden_block_count_y
      - .offset:         72
        .size:           4
        .value_kind:     hidden_block_count_z
      - .offset:         76
        .size:           2
        .value_kind:     hidden_group_size_x
      - .offset:         78
        .size:           2
        .value_kind:     hidden_group_size_y
      - .offset:         80
        .size:           2
        .value_kind:     hidden_group_size_z
      - .offset:         82
        .size:           2
        .value_kind:     hidden_remainder_x
      - .offset:         84
        .size:           2
        .value_kind:     hidden_remainder_y
      - .offset:         86
        .size:           2
        .value_kind:     hidden_remainder_z
      - .offset:         104
        .size:           8
        .value_kind:     hidden_global_offset_x
      - .offset:         112
        .size:           8
        .value_kind:     hidden_global_offset_y
      - .offset:         120
        .size:           8
        .value_kind:     hidden_global_offset_z
      - .offset:         128
        .size:           2
        .value_kind:     hidden_grid_dims
    .group_segment_fixed_size: 0
    .kernarg_segment_align: 8
    .kernarg_segment_size: 320
    .language:       OpenCL C
    .language_version:
      - 2
      - 0
    .max_flat_workgroup_size: 64
    .name:           _ZN2at6native12_GLOBAL__N_135GammaBetaBackwardCUDAKernelTemplateIN3c108BFloat16EfLj64ELj1ELj32ELb1ELb0ELb0EEEvllPKT_S7_PKT0_SA_PS5_SB_
    .private_segment_fixed_size: 0
    .sgpr_count:     38
    .sgpr_spill_count: 0
    .symbol:         _ZN2at6native12_GLOBAL__N_135GammaBetaBackwardCUDAKernelTemplateIN3c108BFloat16EfLj64ELj1ELj32ELb1ELb0ELb0EEEvllPKT_S7_PKT0_SA_PS5_SB_.kd
    .uniform_work_group_size: 1
    .uses_dynamic_stack: false
    .vgpr_count:     346
    .vgpr_spill_count: 0
    .wavefront_size: 32
  - .args:
      - .offset:         0
        .size:           8
        .value_kind:     by_value
      - .offset:         8
        .size:           8
        .value_kind:     by_value
      - .actual_access:  read_only
        .address_space:  global
        .offset:         16
        .size:           8
        .value_kind:     global_buffer
      - .actual_access:  read_only
        .address_space:  global
        .offset:         24
        .size:           8
        .value_kind:     global_buffer
      - .actual_access:  read_only
        .address_space:  global
        .offset:         32
        .size:           8
        .value_kind:     global_buffer
      - .actual_access:  read_only
        .address_space:  global
        .offset:         40
        .size:           8
        .value_kind:     global_buffer
      - .actual_access:  write_only
        .address_space:  global
        .offset:         48
        .size:           8
        .value_kind:     global_buffer
      - .actual_access:  write_only
        .address_space:  global
        .offset:         56
        .size:           8
        .value_kind:     global_buffer
      - .offset:         64
        .size:           4
        .value_kind:     hidden_block_count_x
      - .offset:         68
        .size:           4
        .value_kind:     hidden_block_count_y
      - .offset:         72
        .size:           4
        .value_kind:     hidden_block_count_z
      - .offset:         76
        .size:           2
        .value_kind:     hidden_group_size_x
      - .offset:         78
        .size:           2
        .value_kind:     hidden_group_size_y
      - .offset:         80
        .size:           2
        .value_kind:     hidden_group_size_z
      - .offset:         82
        .size:           2
        .value_kind:     hidden_remainder_x
      - .offset:         84
        .size:           2
        .value_kind:     hidden_remainder_y
      - .offset:         86
        .size:           2
        .value_kind:     hidden_remainder_z
      - .offset:         104
        .size:           8
        .value_kind:     hidden_global_offset_x
      - .offset:         112
        .size:           8
        .value_kind:     hidden_global_offset_y
      - .offset:         120
        .size:           8
        .value_kind:     hidden_global_offset_z
      - .offset:         128
        .size:           2
        .value_kind:     hidden_grid_dims
    .group_segment_fixed_size: 0
    .kernarg_segment_align: 8
    .kernarg_segment_size: 320
    .language:       OpenCL C
    .language_version:
      - 2
      - 0
    .max_flat_workgroup_size: 64
    .name:           _ZN2at6native12_GLOBAL__N_135GammaBetaBackwardCUDAKernelTemplateIN3c108BFloat16EfLj64ELj1ELj8ELb1ELb1ELb0EEEvllPKT_S7_PKT0_SA_PS5_SB_
    .private_segment_fixed_size: 0
    .sgpr_count:     33
    .sgpr_spill_count: 0
    .symbol:         _ZN2at6native12_GLOBAL__N_135GammaBetaBackwardCUDAKernelTemplateIN3c108BFloat16EfLj64ELj1ELj8ELb1ELb1ELb0EEEvllPKT_S7_PKT0_SA_PS5_SB_.kd
    .uniform_work_group_size: 1
    .uses_dynamic_stack: false
    .vgpr_count:     49
    .vgpr_spill_count: 0
    .wavefront_size: 32
  - .args:
      - .offset:         0
        .size:           8
        .value_kind:     by_value
      - .offset:         8
        .size:           8
        .value_kind:     by_value
      - .actual_access:  read_only
        .address_space:  global
        .offset:         16
        .size:           8
        .value_kind:     global_buffer
      - .actual_access:  read_only
        .address_space:  global
        .offset:         24
        .size:           8
        .value_kind:     global_buffer
      - .actual_access:  read_only
        .address_space:  global
        .offset:         32
        .size:           8
        .value_kind:     global_buffer
      - .actual_access:  read_only
        .address_space:  global
        .offset:         40
        .size:           8
        .value_kind:     global_buffer
      - .actual_access:  write_only
        .address_space:  global
        .offset:         48
        .size:           8
        .value_kind:     global_buffer
      - .actual_access:  write_only
        .address_space:  global
        .offset:         56
        .size:           8
        .value_kind:     global_buffer
      - .offset:         64
        .size:           4
        .value_kind:     hidden_block_count_x
      - .offset:         68
        .size:           4
        .value_kind:     hidden_block_count_y
      - .offset:         72
        .size:           4
        .value_kind:     hidden_block_count_z
      - .offset:         76
        .size:           2
        .value_kind:     hidden_group_size_x
      - .offset:         78
        .size:           2
        .value_kind:     hidden_group_size_y
      - .offset:         80
        .size:           2
        .value_kind:     hidden_group_size_z
      - .offset:         82
        .size:           2
        .value_kind:     hidden_remainder_x
      - .offset:         84
        .size:           2
        .value_kind:     hidden_remainder_y
      - .offset:         86
        .size:           2
        .value_kind:     hidden_remainder_z
      - .offset:         104
        .size:           8
        .value_kind:     hidden_global_offset_x
      - .offset:         112
        .size:           8
        .value_kind:     hidden_global_offset_y
      - .offset:         120
        .size:           8
        .value_kind:     hidden_global_offset_z
      - .offset:         128
        .size:           2
        .value_kind:     hidden_grid_dims
    .group_segment_fixed_size: 0
    .kernarg_segment_align: 8
    .kernarg_segment_size: 320
    .language:       OpenCL C
    .language_version:
      - 2
      - 0
    .max_flat_workgroup_size: 64
    .name:           _ZN2at6native12_GLOBAL__N_135GammaBetaBackwardCUDAKernelTemplateIN3c108BFloat16EfLj64ELj1ELj8ELb1ELb0ELb0EEEvllPKT_S7_PKT0_SA_PS5_SB_
    .private_segment_fixed_size: 0
    .sgpr_count:     38
    .sgpr_spill_count: 0
    .symbol:         _ZN2at6native12_GLOBAL__N_135GammaBetaBackwardCUDAKernelTemplateIN3c108BFloat16EfLj64ELj1ELj8ELb1ELb0ELb0EEEvllPKT_S7_PKT0_SA_PS5_SB_.kd
    .uniform_work_group_size: 1
    .uses_dynamic_stack: false
    .vgpr_count:     106
    .vgpr_spill_count: 0
    .wavefront_size: 32
  - .args:
      - .offset:         0
        .size:           8
        .value_kind:     by_value
      - .offset:         8
        .size:           8
        .value_kind:     by_value
      - .actual_access:  read_only
        .address_space:  global
        .offset:         16
        .size:           8
        .value_kind:     global_buffer
      - .actual_access:  read_only
        .address_space:  global
        .offset:         24
        .size:           8
        .value_kind:     global_buffer
      - .actual_access:  read_only
        .address_space:  global
        .offset:         32
        .size:           8
        .value_kind:     global_buffer
      - .actual_access:  read_only
        .address_space:  global
        .offset:         40
        .size:           8
        .value_kind:     global_buffer
      - .actual_access:  write_only
        .address_space:  global
        .offset:         48
        .size:           8
        .value_kind:     global_buffer
      - .actual_access:  write_only
        .address_space:  global
        .offset:         56
        .size:           8
        .value_kind:     global_buffer
      - .offset:         64
        .size:           4
        .value_kind:     hidden_block_count_x
      - .offset:         68
        .size:           4
        .value_kind:     hidden_block_count_y
      - .offset:         72
        .size:           4
        .value_kind:     hidden_block_count_z
      - .offset:         76
        .size:           2
        .value_kind:     hidden_group_size_x
      - .offset:         78
        .size:           2
        .value_kind:     hidden_group_size_y
      - .offset:         80
        .size:           2
        .value_kind:     hidden_group_size_z
      - .offset:         82
        .size:           2
        .value_kind:     hidden_remainder_x
      - .offset:         84
        .size:           2
        .value_kind:     hidden_remainder_y
      - .offset:         86
        .size:           2
        .value_kind:     hidden_remainder_z
      - .offset:         104
        .size:           8
        .value_kind:     hidden_global_offset_x
      - .offset:         112
        .size:           8
        .value_kind:     hidden_global_offset_y
      - .offset:         120
        .size:           8
        .value_kind:     hidden_global_offset_z
      - .offset:         128
        .size:           2
        .value_kind:     hidden_grid_dims
      - .offset:         184
        .size:           4
        .value_kind:     hidden_dynamic_lds_size
    .group_segment_fixed_size: 0
    .kernarg_segment_align: 8
    .kernarg_segment_size: 320
    .language:       OpenCL C
    .language_version:
      - 2
      - 0
    .max_flat_workgroup_size: 512
    .name:           _ZN2at6native12_GLOBAL__N_135GammaBetaBackwardCUDAKernelTemplateIN3c108BFloat16EfLj64ELj8ELj64ELb0ELb1ELb0EEEvllPKT_S7_PKT0_SA_PS5_SB_
    .private_segment_fixed_size: 0
    .sgpr_count:     28
    .sgpr_spill_count: 0
    .symbol:         _ZN2at6native12_GLOBAL__N_135GammaBetaBackwardCUDAKernelTemplateIN3c108BFloat16EfLj64ELj8ELj64ELb0ELb1ELb0EEEvllPKT_S7_PKT0_SA_PS5_SB_.kd
    .uniform_work_group_size: 1
    .uses_dynamic_stack: false
    .vgpr_count:     49
    .vgpr_spill_count: 0
    .wavefront_size: 32
  - .args:
      - .offset:         0
        .size:           8
        .value_kind:     by_value
      - .offset:         8
        .size:           8
        .value_kind:     by_value
      - .actual_access:  read_only
        .address_space:  global
        .offset:         16
        .size:           8
        .value_kind:     global_buffer
      - .actual_access:  read_only
        .address_space:  global
        .offset:         24
        .size:           8
        .value_kind:     global_buffer
      - .actual_access:  read_only
        .address_space:  global
        .offset:         32
        .size:           8
        .value_kind:     global_buffer
      - .actual_access:  read_only
        .address_space:  global
        .offset:         40
        .size:           8
        .value_kind:     global_buffer
      - .actual_access:  write_only
        .address_space:  global
        .offset:         48
        .size:           8
        .value_kind:     global_buffer
      - .actual_access:  write_only
        .address_space:  global
        .offset:         56
        .size:           8
        .value_kind:     global_buffer
      - .offset:         64
        .size:           4
        .value_kind:     hidden_block_count_x
      - .offset:         68
        .size:           4
        .value_kind:     hidden_block_count_y
      - .offset:         72
        .size:           4
        .value_kind:     hidden_block_count_z
      - .offset:         76
        .size:           2
        .value_kind:     hidden_group_size_x
      - .offset:         78
        .size:           2
        .value_kind:     hidden_group_size_y
      - .offset:         80
        .size:           2
        .value_kind:     hidden_group_size_z
      - .offset:         82
        .size:           2
        .value_kind:     hidden_remainder_x
      - .offset:         84
        .size:           2
        .value_kind:     hidden_remainder_y
      - .offset:         86
        .size:           2
        .value_kind:     hidden_remainder_z
      - .offset:         104
        .size:           8
        .value_kind:     hidden_global_offset_x
      - .offset:         112
        .size:           8
        .value_kind:     hidden_global_offset_y
      - .offset:         120
        .size:           8
        .value_kind:     hidden_global_offset_z
      - .offset:         128
        .size:           2
        .value_kind:     hidden_grid_dims
      - .offset:         184
        .size:           4
        .value_kind:     hidden_dynamic_lds_size
    .group_segment_fixed_size: 0
    .kernarg_segment_align: 8
    .kernarg_segment_size: 320
    .language:       OpenCL C
    .language_version:
      - 2
      - 0
    .max_flat_workgroup_size: 512
    .name:           _ZN2at6native12_GLOBAL__N_135GammaBetaBackwardCUDAKernelTemplateIN3c108BFloat16EfLj64ELj8ELj64ELb0ELb0ELb0EEEvllPKT_S7_PKT0_SA_PS5_SB_
    .private_segment_fixed_size: 0
    .sgpr_count:     54
    .sgpr_spill_count: 0
    .symbol:         _ZN2at6native12_GLOBAL__N_135GammaBetaBackwardCUDAKernelTemplateIN3c108BFloat16EfLj64ELj8ELj64ELb0ELb0ELb0EEEvllPKT_S7_PKT0_SA_PS5_SB_.kd
    .uniform_work_group_size: 1
    .uses_dynamic_stack: false
    .vgpr_count:     106
    .vgpr_spill_count: 0
    .wavefront_size: 32
  - .args:
      - .offset:         0
        .size:           8
        .value_kind:     by_value
      - .offset:         8
        .size:           8
        .value_kind:     by_value
      - .actual_access:  read_only
        .address_space:  global
        .offset:         16
        .size:           8
        .value_kind:     global_buffer
      - .actual_access:  read_only
        .address_space:  global
        .offset:         24
        .size:           8
        .value_kind:     global_buffer
      - .actual_access:  read_only
        .address_space:  global
        .offset:         32
        .size:           8
        .value_kind:     global_buffer
      - .actual_access:  read_only
        .address_space:  global
        .offset:         40
        .size:           8
        .value_kind:     global_buffer
      - .actual_access:  write_only
        .address_space:  global
        .offset:         48
        .size:           8
        .value_kind:     global_buffer
      - .actual_access:  write_only
        .address_space:  global
        .offset:         56
        .size:           8
        .value_kind:     global_buffer
      - .offset:         64
        .size:           4
        .value_kind:     hidden_block_count_x
      - .offset:         68
        .size:           4
        .value_kind:     hidden_block_count_y
      - .offset:         72
        .size:           4
        .value_kind:     hidden_block_count_z
      - .offset:         76
        .size:           2
        .value_kind:     hidden_group_size_x
      - .offset:         78
        .size:           2
        .value_kind:     hidden_group_size_y
      - .offset:         80
        .size:           2
        .value_kind:     hidden_group_size_z
      - .offset:         82
        .size:           2
        .value_kind:     hidden_remainder_x
      - .offset:         84
        .size:           2
        .value_kind:     hidden_remainder_y
      - .offset:         86
        .size:           2
        .value_kind:     hidden_remainder_z
      - .offset:         104
        .size:           8
        .value_kind:     hidden_global_offset_x
      - .offset:         112
        .size:           8
        .value_kind:     hidden_global_offset_y
      - .offset:         120
        .size:           8
        .value_kind:     hidden_global_offset_z
      - .offset:         128
        .size:           2
        .value_kind:     hidden_grid_dims
      - .offset:         184
        .size:           4
        .value_kind:     hidden_dynamic_lds_size
    .group_segment_fixed_size: 0
    .kernarg_segment_align: 8
    .kernarg_segment_size: 320
    .language:       OpenCL C
    .language_version:
      - 2
      - 0
    .max_flat_workgroup_size: 1024
    .name:           _ZN2at6native12_GLOBAL__N_135GammaBetaBackwardCUDAKernelTemplateIN3c108BFloat16EfLj64ELj16ELj128ELb0ELb1ELb0EEEvllPKT_S7_PKT0_SA_PS5_SB_
    .private_segment_fixed_size: 0
    .sgpr_count:     28
    .sgpr_spill_count: 0
    .symbol:         _ZN2at6native12_GLOBAL__N_135GammaBetaBackwardCUDAKernelTemplateIN3c108BFloat16EfLj64ELj16ELj128ELb0ELb1ELb0EEEvllPKT_S7_PKT0_SA_PS5_SB_.kd
    .uniform_work_group_size: 1
    .uses_dynamic_stack: false
    .vgpr_count:     49
    .vgpr_spill_count: 0
    .wavefront_size: 32
  - .args:
      - .offset:         0
        .size:           8
        .value_kind:     by_value
      - .offset:         8
        .size:           8
        .value_kind:     by_value
      - .actual_access:  read_only
        .address_space:  global
        .offset:         16
        .size:           8
        .value_kind:     global_buffer
      - .actual_access:  read_only
        .address_space:  global
        .offset:         24
        .size:           8
        .value_kind:     global_buffer
      - .actual_access:  read_only
        .address_space:  global
        .offset:         32
        .size:           8
        .value_kind:     global_buffer
      - .actual_access:  read_only
        .address_space:  global
        .offset:         40
        .size:           8
        .value_kind:     global_buffer
      - .actual_access:  write_only
        .address_space:  global
        .offset:         48
        .size:           8
        .value_kind:     global_buffer
      - .actual_access:  write_only
        .address_space:  global
        .offset:         56
        .size:           8
        .value_kind:     global_buffer
      - .offset:         64
        .size:           4
        .value_kind:     hidden_block_count_x
      - .offset:         68
        .size:           4
        .value_kind:     hidden_block_count_y
      - .offset:         72
        .size:           4
        .value_kind:     hidden_block_count_z
      - .offset:         76
        .size:           2
        .value_kind:     hidden_group_size_x
      - .offset:         78
        .size:           2
        .value_kind:     hidden_group_size_y
      - .offset:         80
        .size:           2
        .value_kind:     hidden_group_size_z
      - .offset:         82
        .size:           2
        .value_kind:     hidden_remainder_x
      - .offset:         84
        .size:           2
        .value_kind:     hidden_remainder_y
      - .offset:         86
        .size:           2
        .value_kind:     hidden_remainder_z
      - .offset:         104
        .size:           8
        .value_kind:     hidden_global_offset_x
      - .offset:         112
        .size:           8
        .value_kind:     hidden_global_offset_y
      - .offset:         120
        .size:           8
        .value_kind:     hidden_global_offset_z
      - .offset:         128
        .size:           2
        .value_kind:     hidden_grid_dims
      - .offset:         184
        .size:           4
        .value_kind:     hidden_dynamic_lds_size
    .group_segment_fixed_size: 0
    .kernarg_segment_align: 8
    .kernarg_segment_size: 320
    .language:       OpenCL C
    .language_version:
      - 2
      - 0
    .max_flat_workgroup_size: 1024
    .name:           _ZN2at6native12_GLOBAL__N_135GammaBetaBackwardCUDAKernelTemplateIN3c108BFloat16EfLj64ELj16ELj128ELb0ELb0ELb0EEEvllPKT_S7_PKT0_SA_PS5_SB_
    .private_segment_fixed_size: 0
    .sgpr_count:     54
    .sgpr_spill_count: 0
    .symbol:         _ZN2at6native12_GLOBAL__N_135GammaBetaBackwardCUDAKernelTemplateIN3c108BFloat16EfLj64ELj16ELj128ELb0ELb0ELb0EEEvllPKT_S7_PKT0_SA_PS5_SB_.kd
    .uniform_work_group_size: 1
    .uses_dynamic_stack: false
    .vgpr_count:     106
    .vgpr_spill_count: 0
    .wavefront_size: 32
  - .args:
      - .offset:         0
        .size:           8
        .value_kind:     by_value
      - .offset:         8
        .size:           8
        .value_kind:     by_value
      - .actual_access:  read_only
        .address_space:  global
        .offset:         16
        .size:           8
        .value_kind:     global_buffer
      - .actual_access:  read_only
        .address_space:  global
        .offset:         24
        .size:           8
        .value_kind:     global_buffer
      - .actual_access:  read_only
        .address_space:  global
        .offset:         32
        .size:           8
        .value_kind:     global_buffer
      - .actual_access:  read_only
        .address_space:  global
        .offset:         40
        .size:           8
        .value_kind:     global_buffer
      - .actual_access:  write_only
        .address_space:  global
        .offset:         48
        .size:           8
        .value_kind:     global_buffer
      - .actual_access:  write_only
        .address_space:  global
        .offset:         56
        .size:           8
        .value_kind:     global_buffer
      - .offset:         64
        .size:           4
        .value_kind:     hidden_block_count_x
      - .offset:         68
        .size:           4
        .value_kind:     hidden_block_count_y
      - .offset:         72
        .size:           4
        .value_kind:     hidden_block_count_z
      - .offset:         76
        .size:           2
        .value_kind:     hidden_group_size_x
      - .offset:         78
        .size:           2
        .value_kind:     hidden_group_size_y
      - .offset:         80
        .size:           2
        .value_kind:     hidden_group_size_z
      - .offset:         82
        .size:           2
        .value_kind:     hidden_remainder_x
      - .offset:         84
        .size:           2
        .value_kind:     hidden_remainder_y
      - .offset:         86
        .size:           2
        .value_kind:     hidden_remainder_z
      - .offset:         104
        .size:           8
        .value_kind:     hidden_global_offset_x
      - .offset:         112
        .size:           8
        .value_kind:     hidden_global_offset_y
      - .offset:         120
        .size:           8
        .value_kind:     hidden_global_offset_z
      - .offset:         128
        .size:           2
        .value_kind:     hidden_grid_dims
      - .offset:         184
        .size:           4
        .value_kind:     hidden_dynamic_lds_size
    .group_segment_fixed_size: 0
    .kernarg_segment_align: 8
    .kernarg_segment_size: 320
    .language:       OpenCL C
    .language_version:
      - 2
      - 0
    .max_flat_workgroup_size: 1024
    .name:           _ZN2at6native12_GLOBAL__N_135GammaBetaBackwardCUDAKernelTemplateIN3c108BFloat16EfLj64ELj16ELj256ELb0ELb1ELb0EEEvllPKT_S7_PKT0_SA_PS5_SB_
    .private_segment_fixed_size: 0
    .sgpr_count:     28
    .sgpr_spill_count: 0
    .symbol:         _ZN2at6native12_GLOBAL__N_135GammaBetaBackwardCUDAKernelTemplateIN3c108BFloat16EfLj64ELj16ELj256ELb0ELb1ELb0EEEvllPKT_S7_PKT0_SA_PS5_SB_.kd
    .uniform_work_group_size: 1
    .uses_dynamic_stack: false
    .vgpr_count:     64
    .vgpr_spill_count: 0
    .wavefront_size: 32
  - .args:
      - .offset:         0
        .size:           8
        .value_kind:     by_value
      - .offset:         8
        .size:           8
        .value_kind:     by_value
      - .actual_access:  read_only
        .address_space:  global
        .offset:         16
        .size:           8
        .value_kind:     global_buffer
      - .actual_access:  read_only
        .address_space:  global
        .offset:         24
        .size:           8
        .value_kind:     global_buffer
      - .actual_access:  read_only
        .address_space:  global
        .offset:         32
        .size:           8
        .value_kind:     global_buffer
      - .actual_access:  read_only
        .address_space:  global
        .offset:         40
        .size:           8
        .value_kind:     global_buffer
      - .actual_access:  write_only
        .address_space:  global
        .offset:         48
        .size:           8
        .value_kind:     global_buffer
      - .actual_access:  write_only
        .address_space:  global
        .offset:         56
        .size:           8
        .value_kind:     global_buffer
      - .offset:         64
        .size:           4
        .value_kind:     hidden_block_count_x
      - .offset:         68
        .size:           4
        .value_kind:     hidden_block_count_y
      - .offset:         72
        .size:           4
        .value_kind:     hidden_block_count_z
      - .offset:         76
        .size:           2
        .value_kind:     hidden_group_size_x
      - .offset:         78
        .size:           2
        .value_kind:     hidden_group_size_y
      - .offset:         80
        .size:           2
        .value_kind:     hidden_group_size_z
      - .offset:         82
        .size:           2
        .value_kind:     hidden_remainder_x
      - .offset:         84
        .size:           2
        .value_kind:     hidden_remainder_y
      - .offset:         86
        .size:           2
        .value_kind:     hidden_remainder_z
      - .offset:         104
        .size:           8
        .value_kind:     hidden_global_offset_x
      - .offset:         112
        .size:           8
        .value_kind:     hidden_global_offset_y
      - .offset:         120
        .size:           8
        .value_kind:     hidden_global_offset_z
      - .offset:         128
        .size:           2
        .value_kind:     hidden_grid_dims
      - .offset:         184
        .size:           4
        .value_kind:     hidden_dynamic_lds_size
    .group_segment_fixed_size: 0
    .kernarg_segment_align: 8
    .kernarg_segment_size: 320
    .language:       OpenCL C
    .language_version:
      - 2
      - 0
    .max_flat_workgroup_size: 1024
    .name:           _ZN2at6native12_GLOBAL__N_135GammaBetaBackwardCUDAKernelTemplateIN3c108BFloat16EfLj64ELj16ELj256ELb0ELb0ELb0EEEvllPKT_S7_PKT0_SA_PS5_SB_
    .private_segment_fixed_size: 200
    .sgpr_count:     70
    .sgpr_spill_count: 0
    .symbol:         _ZN2at6native12_GLOBAL__N_135GammaBetaBackwardCUDAKernelTemplateIN3c108BFloat16EfLj64ELj16ELj256ELb0ELb0ELb0EEEvllPKT_S7_PKT0_SA_PS5_SB_.kd
    .uniform_work_group_size: 1
    .uses_dynamic_stack: false
    .vgpr_count:     128
    .vgpr_spill_count: 93
    .wavefront_size: 32
  - .args:
      - .offset:         0
        .size:           8
        .value_kind:     by_value
      - .offset:         8
        .size:           8
        .value_kind:     by_value
      - .actual_access:  read_only
        .address_space:  global
        .offset:         16
        .size:           8
        .value_kind:     global_buffer
      - .actual_access:  read_only
        .address_space:  global
        .offset:         24
        .size:           8
        .value_kind:     global_buffer
      - .actual_access:  read_only
        .address_space:  global
        .offset:         32
        .size:           8
        .value_kind:     global_buffer
      - .actual_access:  read_only
        .address_space:  global
        .offset:         40
        .size:           8
        .value_kind:     global_buffer
      - .actual_access:  write_only
        .address_space:  global
        .offset:         48
        .size:           8
        .value_kind:     global_buffer
      - .actual_access:  write_only
        .address_space:  global
        .offset:         56
        .size:           8
        .value_kind:     global_buffer
      - .offset:         64
        .size:           4
        .value_kind:     hidden_block_count_x
      - .offset:         68
        .size:           4
        .value_kind:     hidden_block_count_y
      - .offset:         72
        .size:           4
        .value_kind:     hidden_block_count_z
      - .offset:         76
        .size:           2
        .value_kind:     hidden_group_size_x
      - .offset:         78
        .size:           2
        .value_kind:     hidden_group_size_y
      - .offset:         80
        .size:           2
        .value_kind:     hidden_group_size_z
      - .offset:         82
        .size:           2
        .value_kind:     hidden_remainder_x
      - .offset:         84
        .size:           2
        .value_kind:     hidden_remainder_y
      - .offset:         86
        .size:           2
        .value_kind:     hidden_remainder_z
      - .offset:         104
        .size:           8
        .value_kind:     hidden_global_offset_x
      - .offset:         112
        .size:           8
        .value_kind:     hidden_global_offset_y
      - .offset:         120
        .size:           8
        .value_kind:     hidden_global_offset_z
      - .offset:         128
        .size:           2
        .value_kind:     hidden_grid_dims
    .group_segment_fixed_size: 0
    .kernarg_segment_align: 8
    .kernarg_segment_size: 320
    .language:       OpenCL C
    .language_version:
      - 2
      - 0
    .max_flat_workgroup_size: 32
    .name:           _ZN2at6native12_GLOBAL__N_135GammaBetaBackwardCUDAKernelTemplateIN3c108BFloat16EfLj32ELj1ELj32ELb1ELb1ELb0EEEvllPKT_S7_PKT0_SA_PS5_SB_
    .private_segment_fixed_size: 0
    .sgpr_count:     31
    .sgpr_spill_count: 0
    .symbol:         _ZN2at6native12_GLOBAL__N_135GammaBetaBackwardCUDAKernelTemplateIN3c108BFloat16EfLj32ELj1ELj32ELb1ELb1ELb0EEEvllPKT_S7_PKT0_SA_PS5_SB_.kd
    .uniform_work_group_size: 1
    .uses_dynamic_stack: false
    .vgpr_count:     65
    .vgpr_spill_count: 0
    .wavefront_size: 32
  - .args:
      - .offset:         0
        .size:           8
        .value_kind:     by_value
      - .offset:         8
        .size:           8
        .value_kind:     by_value
      - .actual_access:  read_only
        .address_space:  global
        .offset:         16
        .size:           8
        .value_kind:     global_buffer
      - .actual_access:  read_only
        .address_space:  global
        .offset:         24
        .size:           8
        .value_kind:     global_buffer
      - .actual_access:  read_only
        .address_space:  global
        .offset:         32
        .size:           8
        .value_kind:     global_buffer
      - .actual_access:  read_only
        .address_space:  global
        .offset:         40
        .size:           8
        .value_kind:     global_buffer
      - .actual_access:  write_only
        .address_space:  global
        .offset:         48
        .size:           8
        .value_kind:     global_buffer
      - .actual_access:  write_only
        .address_space:  global
        .offset:         56
        .size:           8
        .value_kind:     global_buffer
      - .offset:         64
        .size:           4
        .value_kind:     hidden_block_count_x
      - .offset:         68
        .size:           4
        .value_kind:     hidden_block_count_y
      - .offset:         72
        .size:           4
        .value_kind:     hidden_block_count_z
      - .offset:         76
        .size:           2
        .value_kind:     hidden_group_size_x
      - .offset:         78
        .size:           2
        .value_kind:     hidden_group_size_y
      - .offset:         80
        .size:           2
        .value_kind:     hidden_group_size_z
      - .offset:         82
        .size:           2
        .value_kind:     hidden_remainder_x
      - .offset:         84
        .size:           2
        .value_kind:     hidden_remainder_y
      - .offset:         86
        .size:           2
        .value_kind:     hidden_remainder_z
      - .offset:         104
        .size:           8
        .value_kind:     hidden_global_offset_x
      - .offset:         112
        .size:           8
        .value_kind:     hidden_global_offset_y
      - .offset:         120
        .size:           8
        .value_kind:     hidden_global_offset_z
      - .offset:         128
        .size:           2
        .value_kind:     hidden_grid_dims
    .group_segment_fixed_size: 0
    .kernarg_segment_align: 8
    .kernarg_segment_size: 320
    .language:       OpenCL C
    .language_version:
      - 2
      - 0
    .max_flat_workgroup_size: 32
    .name:           _ZN2at6native12_GLOBAL__N_135GammaBetaBackwardCUDAKernelTemplateIN3c108BFloat16EfLj32ELj1ELj32ELb1ELb0ELb0EEEvllPKT_S7_PKT0_SA_PS5_SB_
    .private_segment_fixed_size: 0
    .sgpr_count:     38
    .sgpr_spill_count: 0
    .symbol:         _ZN2at6native12_GLOBAL__N_135GammaBetaBackwardCUDAKernelTemplateIN3c108BFloat16EfLj32ELj1ELj32ELb1ELb0ELb0EEEvllPKT_S7_PKT0_SA_PS5_SB_.kd
    .uniform_work_group_size: 1
    .uses_dynamic_stack: false
    .vgpr_count:     346
    .vgpr_spill_count: 0
    .wavefront_size: 32
  - .args:
      - .offset:         0
        .size:           8
        .value_kind:     by_value
      - .offset:         8
        .size:           8
        .value_kind:     by_value
      - .actual_access:  read_only
        .address_space:  global
        .offset:         16
        .size:           8
        .value_kind:     global_buffer
      - .actual_access:  read_only
        .address_space:  global
        .offset:         24
        .size:           8
        .value_kind:     global_buffer
      - .actual_access:  read_only
        .address_space:  global
        .offset:         32
        .size:           8
        .value_kind:     global_buffer
      - .actual_access:  read_only
        .address_space:  global
        .offset:         40
        .size:           8
        .value_kind:     global_buffer
      - .actual_access:  write_only
        .address_space:  global
        .offset:         48
        .size:           8
        .value_kind:     global_buffer
      - .actual_access:  write_only
        .address_space:  global
        .offset:         56
        .size:           8
        .value_kind:     global_buffer
      - .offset:         64
        .size:           4
        .value_kind:     hidden_block_count_x
      - .offset:         68
        .size:           4
        .value_kind:     hidden_block_count_y
      - .offset:         72
        .size:           4
        .value_kind:     hidden_block_count_z
      - .offset:         76
        .size:           2
        .value_kind:     hidden_group_size_x
      - .offset:         78
        .size:           2
        .value_kind:     hidden_group_size_y
      - .offset:         80
        .size:           2
        .value_kind:     hidden_group_size_z
      - .offset:         82
        .size:           2
        .value_kind:     hidden_remainder_x
      - .offset:         84
        .size:           2
        .value_kind:     hidden_remainder_y
      - .offset:         86
        .size:           2
        .value_kind:     hidden_remainder_z
      - .offset:         104
        .size:           8
        .value_kind:     hidden_global_offset_x
      - .offset:         112
        .size:           8
        .value_kind:     hidden_global_offset_y
      - .offset:         120
        .size:           8
        .value_kind:     hidden_global_offset_z
      - .offset:         128
        .size:           2
        .value_kind:     hidden_grid_dims
    .group_segment_fixed_size: 0
    .kernarg_segment_align: 8
    .kernarg_segment_size: 320
    .language:       OpenCL C
    .language_version:
      - 2
      - 0
    .max_flat_workgroup_size: 32
    .name:           _ZN2at6native12_GLOBAL__N_135GammaBetaBackwardCUDAKernelTemplateIN3c108BFloat16EfLj32ELj1ELj8ELb1ELb1ELb0EEEvllPKT_S7_PKT0_SA_PS5_SB_
    .private_segment_fixed_size: 0
    .sgpr_count:     33
    .sgpr_spill_count: 0
    .symbol:         _ZN2at6native12_GLOBAL__N_135GammaBetaBackwardCUDAKernelTemplateIN3c108BFloat16EfLj32ELj1ELj8ELb1ELb1ELb0EEEvllPKT_S7_PKT0_SA_PS5_SB_.kd
    .uniform_work_group_size: 1
    .uses_dynamic_stack: false
    .vgpr_count:     49
    .vgpr_spill_count: 0
    .wavefront_size: 32
  - .args:
      - .offset:         0
        .size:           8
        .value_kind:     by_value
      - .offset:         8
        .size:           8
        .value_kind:     by_value
      - .actual_access:  read_only
        .address_space:  global
        .offset:         16
        .size:           8
        .value_kind:     global_buffer
      - .actual_access:  read_only
        .address_space:  global
        .offset:         24
        .size:           8
        .value_kind:     global_buffer
      - .actual_access:  read_only
        .address_space:  global
        .offset:         32
        .size:           8
        .value_kind:     global_buffer
      - .actual_access:  read_only
        .address_space:  global
        .offset:         40
        .size:           8
        .value_kind:     global_buffer
      - .actual_access:  write_only
        .address_space:  global
        .offset:         48
        .size:           8
        .value_kind:     global_buffer
      - .actual_access:  write_only
        .address_space:  global
        .offset:         56
        .size:           8
        .value_kind:     global_buffer
      - .offset:         64
        .size:           4
        .value_kind:     hidden_block_count_x
      - .offset:         68
        .size:           4
        .value_kind:     hidden_block_count_y
      - .offset:         72
        .size:           4
        .value_kind:     hidden_block_count_z
      - .offset:         76
        .size:           2
        .value_kind:     hidden_group_size_x
      - .offset:         78
        .size:           2
        .value_kind:     hidden_group_size_y
      - .offset:         80
        .size:           2
        .value_kind:     hidden_group_size_z
      - .offset:         82
        .size:           2
        .value_kind:     hidden_remainder_x
      - .offset:         84
        .size:           2
        .value_kind:     hidden_remainder_y
      - .offset:         86
        .size:           2
        .value_kind:     hidden_remainder_z
      - .offset:         104
        .size:           8
        .value_kind:     hidden_global_offset_x
      - .offset:         112
        .size:           8
        .value_kind:     hidden_global_offset_y
      - .offset:         120
        .size:           8
        .value_kind:     hidden_global_offset_z
      - .offset:         128
        .size:           2
        .value_kind:     hidden_grid_dims
    .group_segment_fixed_size: 0
    .kernarg_segment_align: 8
    .kernarg_segment_size: 320
    .language:       OpenCL C
    .language_version:
      - 2
      - 0
    .max_flat_workgroup_size: 32
    .name:           _ZN2at6native12_GLOBAL__N_135GammaBetaBackwardCUDAKernelTemplateIN3c108BFloat16EfLj32ELj1ELj8ELb1ELb0ELb0EEEvllPKT_S7_PKT0_SA_PS5_SB_
    .private_segment_fixed_size: 0
    .sgpr_count:     38
    .sgpr_spill_count: 0
    .symbol:         _ZN2at6native12_GLOBAL__N_135GammaBetaBackwardCUDAKernelTemplateIN3c108BFloat16EfLj32ELj1ELj8ELb1ELb0ELb0EEEvllPKT_S7_PKT0_SA_PS5_SB_.kd
    .uniform_work_group_size: 1
    .uses_dynamic_stack: false
    .vgpr_count:     106
    .vgpr_spill_count: 0
    .wavefront_size: 32
  - .args:
      - .offset:         0
        .size:           8
        .value_kind:     by_value
      - .offset:         8
        .size:           8
        .value_kind:     by_value
      - .actual_access:  read_only
        .address_space:  global
        .offset:         16
        .size:           8
        .value_kind:     global_buffer
      - .actual_access:  read_only
        .address_space:  global
        .offset:         24
        .size:           8
        .value_kind:     global_buffer
      - .actual_access:  read_only
        .address_space:  global
        .offset:         32
        .size:           8
        .value_kind:     global_buffer
      - .actual_access:  read_only
        .address_space:  global
        .offset:         40
        .size:           8
        .value_kind:     global_buffer
      - .actual_access:  write_only
        .address_space:  global
        .offset:         48
        .size:           8
        .value_kind:     global_buffer
      - .actual_access:  write_only
        .address_space:  global
        .offset:         56
        .size:           8
        .value_kind:     global_buffer
      - .offset:         64
        .size:           4
        .value_kind:     hidden_block_count_x
      - .offset:         68
        .size:           4
        .value_kind:     hidden_block_count_y
      - .offset:         72
        .size:           4
        .value_kind:     hidden_block_count_z
      - .offset:         76
        .size:           2
        .value_kind:     hidden_group_size_x
      - .offset:         78
        .size:           2
        .value_kind:     hidden_group_size_y
      - .offset:         80
        .size:           2
        .value_kind:     hidden_group_size_z
      - .offset:         82
        .size:           2
        .value_kind:     hidden_remainder_x
      - .offset:         84
        .size:           2
        .value_kind:     hidden_remainder_y
      - .offset:         86
        .size:           2
        .value_kind:     hidden_remainder_z
      - .offset:         104
        .size:           8
        .value_kind:     hidden_global_offset_x
      - .offset:         112
        .size:           8
        .value_kind:     hidden_global_offset_y
      - .offset:         120
        .size:           8
        .value_kind:     hidden_global_offset_z
      - .offset:         128
        .size:           2
        .value_kind:     hidden_grid_dims
      - .offset:         184
        .size:           4
        .value_kind:     hidden_dynamic_lds_size
    .group_segment_fixed_size: 0
    .kernarg_segment_align: 8
    .kernarg_segment_size: 320
    .language:       OpenCL C
    .language_version:
      - 2
      - 0
    .max_flat_workgroup_size: 256
    .name:           _ZN2at6native12_GLOBAL__N_135GammaBetaBackwardCUDAKernelTemplateIN3c108BFloat16EfLj32ELj8ELj64ELb0ELb1ELb0EEEvllPKT_S7_PKT0_SA_PS5_SB_
    .private_segment_fixed_size: 0
    .sgpr_count:     28
    .sgpr_spill_count: 0
    .symbol:         _ZN2at6native12_GLOBAL__N_135GammaBetaBackwardCUDAKernelTemplateIN3c108BFloat16EfLj32ELj8ELj64ELb0ELb1ELb0EEEvllPKT_S7_PKT0_SA_PS5_SB_.kd
    .uniform_work_group_size: 1
    .uses_dynamic_stack: false
    .vgpr_count:     49
    .vgpr_spill_count: 0
    .wavefront_size: 32
  - .args:
      - .offset:         0
        .size:           8
        .value_kind:     by_value
      - .offset:         8
        .size:           8
        .value_kind:     by_value
      - .actual_access:  read_only
        .address_space:  global
        .offset:         16
        .size:           8
        .value_kind:     global_buffer
      - .actual_access:  read_only
        .address_space:  global
        .offset:         24
        .size:           8
        .value_kind:     global_buffer
      - .actual_access:  read_only
        .address_space:  global
        .offset:         32
        .size:           8
        .value_kind:     global_buffer
      - .actual_access:  read_only
        .address_space:  global
        .offset:         40
        .size:           8
        .value_kind:     global_buffer
      - .actual_access:  write_only
        .address_space:  global
        .offset:         48
        .size:           8
        .value_kind:     global_buffer
      - .actual_access:  write_only
        .address_space:  global
        .offset:         56
        .size:           8
        .value_kind:     global_buffer
      - .offset:         64
        .size:           4
        .value_kind:     hidden_block_count_x
      - .offset:         68
        .size:           4
        .value_kind:     hidden_block_count_y
      - .offset:         72
        .size:           4
        .value_kind:     hidden_block_count_z
      - .offset:         76
        .size:           2
        .value_kind:     hidden_group_size_x
      - .offset:         78
        .size:           2
        .value_kind:     hidden_group_size_y
      - .offset:         80
        .size:           2
        .value_kind:     hidden_group_size_z
      - .offset:         82
        .size:           2
        .value_kind:     hidden_remainder_x
      - .offset:         84
        .size:           2
        .value_kind:     hidden_remainder_y
      - .offset:         86
        .size:           2
        .value_kind:     hidden_remainder_z
      - .offset:         104
        .size:           8
        .value_kind:     hidden_global_offset_x
      - .offset:         112
        .size:           8
        .value_kind:     hidden_global_offset_y
      - .offset:         120
        .size:           8
        .value_kind:     hidden_global_offset_z
      - .offset:         128
        .size:           2
        .value_kind:     hidden_grid_dims
      - .offset:         184
        .size:           4
        .value_kind:     hidden_dynamic_lds_size
    .group_segment_fixed_size: 0
    .kernarg_segment_align: 8
    .kernarg_segment_size: 320
    .language:       OpenCL C
    .language_version:
      - 2
      - 0
    .max_flat_workgroup_size: 256
    .name:           _ZN2at6native12_GLOBAL__N_135GammaBetaBackwardCUDAKernelTemplateIN3c108BFloat16EfLj32ELj8ELj64ELb0ELb0ELb0EEEvllPKT_S7_PKT0_SA_PS5_SB_
    .private_segment_fixed_size: 0
    .sgpr_count:     54
    .sgpr_spill_count: 0
    .symbol:         _ZN2at6native12_GLOBAL__N_135GammaBetaBackwardCUDAKernelTemplateIN3c108BFloat16EfLj32ELj8ELj64ELb0ELb0ELb0EEEvllPKT_S7_PKT0_SA_PS5_SB_.kd
    .uniform_work_group_size: 1
    .uses_dynamic_stack: false
    .vgpr_count:     106
    .vgpr_spill_count: 0
    .wavefront_size: 32
  - .args:
      - .offset:         0
        .size:           8
        .value_kind:     by_value
      - .offset:         8
        .size:           8
        .value_kind:     by_value
      - .actual_access:  read_only
        .address_space:  global
        .offset:         16
        .size:           8
        .value_kind:     global_buffer
      - .actual_access:  read_only
        .address_space:  global
        .offset:         24
        .size:           8
        .value_kind:     global_buffer
      - .actual_access:  read_only
        .address_space:  global
        .offset:         32
        .size:           8
        .value_kind:     global_buffer
      - .actual_access:  read_only
        .address_space:  global
        .offset:         40
        .size:           8
        .value_kind:     global_buffer
      - .actual_access:  write_only
        .address_space:  global
        .offset:         48
        .size:           8
        .value_kind:     global_buffer
      - .actual_access:  write_only
        .address_space:  global
        .offset:         56
        .size:           8
        .value_kind:     global_buffer
      - .offset:         64
        .size:           4
        .value_kind:     hidden_block_count_x
      - .offset:         68
        .size:           4
        .value_kind:     hidden_block_count_y
      - .offset:         72
        .size:           4
        .value_kind:     hidden_block_count_z
      - .offset:         76
        .size:           2
        .value_kind:     hidden_group_size_x
      - .offset:         78
        .size:           2
        .value_kind:     hidden_group_size_y
      - .offset:         80
        .size:           2
        .value_kind:     hidden_group_size_z
      - .offset:         82
        .size:           2
        .value_kind:     hidden_remainder_x
      - .offset:         84
        .size:           2
        .value_kind:     hidden_remainder_y
      - .offset:         86
        .size:           2
        .value_kind:     hidden_remainder_z
      - .offset:         104
        .size:           8
        .value_kind:     hidden_global_offset_x
      - .offset:         112
        .size:           8
        .value_kind:     hidden_global_offset_y
      - .offset:         120
        .size:           8
        .value_kind:     hidden_global_offset_z
      - .offset:         128
        .size:           2
        .value_kind:     hidden_grid_dims
      - .offset:         184
        .size:           4
        .value_kind:     hidden_dynamic_lds_size
    .group_segment_fixed_size: 0
    .kernarg_segment_align: 8
    .kernarg_segment_size: 320
    .language:       OpenCL C
    .language_version:
      - 2
      - 0
    .max_flat_workgroup_size: 512
    .name:           _ZN2at6native12_GLOBAL__N_135GammaBetaBackwardCUDAKernelTemplateIN3c108BFloat16EfLj32ELj16ELj128ELb0ELb1ELb0EEEvllPKT_S7_PKT0_SA_PS5_SB_
    .private_segment_fixed_size: 0
    .sgpr_count:     28
    .sgpr_spill_count: 0
    .symbol:         _ZN2at6native12_GLOBAL__N_135GammaBetaBackwardCUDAKernelTemplateIN3c108BFloat16EfLj32ELj16ELj128ELb0ELb1ELb0EEEvllPKT_S7_PKT0_SA_PS5_SB_.kd
    .uniform_work_group_size: 1
    .uses_dynamic_stack: false
    .vgpr_count:     49
    .vgpr_spill_count: 0
    .wavefront_size: 32
  - .args:
      - .offset:         0
        .size:           8
        .value_kind:     by_value
      - .offset:         8
        .size:           8
        .value_kind:     by_value
      - .actual_access:  read_only
        .address_space:  global
        .offset:         16
        .size:           8
        .value_kind:     global_buffer
      - .actual_access:  read_only
        .address_space:  global
        .offset:         24
        .size:           8
        .value_kind:     global_buffer
      - .actual_access:  read_only
        .address_space:  global
        .offset:         32
        .size:           8
        .value_kind:     global_buffer
      - .actual_access:  read_only
        .address_space:  global
        .offset:         40
        .size:           8
        .value_kind:     global_buffer
      - .actual_access:  write_only
        .address_space:  global
        .offset:         48
        .size:           8
        .value_kind:     global_buffer
      - .actual_access:  write_only
        .address_space:  global
        .offset:         56
        .size:           8
        .value_kind:     global_buffer
      - .offset:         64
        .size:           4
        .value_kind:     hidden_block_count_x
      - .offset:         68
        .size:           4
        .value_kind:     hidden_block_count_y
      - .offset:         72
        .size:           4
        .value_kind:     hidden_block_count_z
      - .offset:         76
        .size:           2
        .value_kind:     hidden_group_size_x
      - .offset:         78
        .size:           2
        .value_kind:     hidden_group_size_y
      - .offset:         80
        .size:           2
        .value_kind:     hidden_group_size_z
      - .offset:         82
        .size:           2
        .value_kind:     hidden_remainder_x
      - .offset:         84
        .size:           2
        .value_kind:     hidden_remainder_y
      - .offset:         86
        .size:           2
        .value_kind:     hidden_remainder_z
      - .offset:         104
        .size:           8
        .value_kind:     hidden_global_offset_x
      - .offset:         112
        .size:           8
        .value_kind:     hidden_global_offset_y
      - .offset:         120
        .size:           8
        .value_kind:     hidden_global_offset_z
      - .offset:         128
        .size:           2
        .value_kind:     hidden_grid_dims
      - .offset:         184
        .size:           4
        .value_kind:     hidden_dynamic_lds_size
    .group_segment_fixed_size: 0
    .kernarg_segment_align: 8
    .kernarg_segment_size: 320
    .language:       OpenCL C
    .language_version:
      - 2
      - 0
    .max_flat_workgroup_size: 512
    .name:           _ZN2at6native12_GLOBAL__N_135GammaBetaBackwardCUDAKernelTemplateIN3c108BFloat16EfLj32ELj16ELj128ELb0ELb0ELb0EEEvllPKT_S7_PKT0_SA_PS5_SB_
    .private_segment_fixed_size: 0
    .sgpr_count:     54
    .sgpr_spill_count: 0
    .symbol:         _ZN2at6native12_GLOBAL__N_135GammaBetaBackwardCUDAKernelTemplateIN3c108BFloat16EfLj32ELj16ELj128ELb0ELb0ELb0EEEvllPKT_S7_PKT0_SA_PS5_SB_.kd
    .uniform_work_group_size: 1
    .uses_dynamic_stack: false
    .vgpr_count:     106
    .vgpr_spill_count: 0
    .wavefront_size: 32
  - .args:
      - .offset:         0
        .size:           8
        .value_kind:     by_value
      - .offset:         8
        .size:           8
        .value_kind:     by_value
      - .actual_access:  read_only
        .address_space:  global
        .offset:         16
        .size:           8
        .value_kind:     global_buffer
      - .actual_access:  read_only
        .address_space:  global
        .offset:         24
        .size:           8
        .value_kind:     global_buffer
      - .actual_access:  read_only
        .address_space:  global
        .offset:         32
        .size:           8
        .value_kind:     global_buffer
      - .actual_access:  read_only
        .address_space:  global
        .offset:         40
        .size:           8
        .value_kind:     global_buffer
      - .actual_access:  write_only
        .address_space:  global
        .offset:         48
        .size:           8
        .value_kind:     global_buffer
      - .actual_access:  write_only
        .address_space:  global
        .offset:         56
        .size:           8
        .value_kind:     global_buffer
      - .offset:         64
        .size:           4
        .value_kind:     hidden_block_count_x
      - .offset:         68
        .size:           4
        .value_kind:     hidden_block_count_y
      - .offset:         72
        .size:           4
        .value_kind:     hidden_block_count_z
      - .offset:         76
        .size:           2
        .value_kind:     hidden_group_size_x
      - .offset:         78
        .size:           2
        .value_kind:     hidden_group_size_y
      - .offset:         80
        .size:           2
        .value_kind:     hidden_group_size_z
      - .offset:         82
        .size:           2
        .value_kind:     hidden_remainder_x
      - .offset:         84
        .size:           2
        .value_kind:     hidden_remainder_y
      - .offset:         86
        .size:           2
        .value_kind:     hidden_remainder_z
      - .offset:         104
        .size:           8
        .value_kind:     hidden_global_offset_x
      - .offset:         112
        .size:           8
        .value_kind:     hidden_global_offset_y
      - .offset:         120
        .size:           8
        .value_kind:     hidden_global_offset_z
      - .offset:         128
        .size:           2
        .value_kind:     hidden_grid_dims
      - .offset:         184
        .size:           4
        .value_kind:     hidden_dynamic_lds_size
    .group_segment_fixed_size: 0
    .kernarg_segment_align: 8
    .kernarg_segment_size: 320
    .language:       OpenCL C
    .language_version:
      - 2
      - 0
    .max_flat_workgroup_size: 1024
    .name:           _ZN2at6native12_GLOBAL__N_135GammaBetaBackwardCUDAKernelTemplateIN3c108BFloat16EfLj32ELj32ELj256ELb0ELb1ELb0EEEvllPKT_S7_PKT0_SA_PS5_SB_
    .private_segment_fixed_size: 0
    .sgpr_count:     28
    .sgpr_spill_count: 0
    .symbol:         _ZN2at6native12_GLOBAL__N_135GammaBetaBackwardCUDAKernelTemplateIN3c108BFloat16EfLj32ELj32ELj256ELb0ELb1ELb0EEEvllPKT_S7_PKT0_SA_PS5_SB_.kd
    .uniform_work_group_size: 1
    .uses_dynamic_stack: false
    .vgpr_count:     49
    .vgpr_spill_count: 0
    .wavefront_size: 32
  - .args:
      - .offset:         0
        .size:           8
        .value_kind:     by_value
      - .offset:         8
        .size:           8
        .value_kind:     by_value
      - .actual_access:  read_only
        .address_space:  global
        .offset:         16
        .size:           8
        .value_kind:     global_buffer
      - .actual_access:  read_only
        .address_space:  global
        .offset:         24
        .size:           8
        .value_kind:     global_buffer
      - .actual_access:  read_only
        .address_space:  global
        .offset:         32
        .size:           8
        .value_kind:     global_buffer
      - .actual_access:  read_only
        .address_space:  global
        .offset:         40
        .size:           8
        .value_kind:     global_buffer
      - .actual_access:  write_only
        .address_space:  global
        .offset:         48
        .size:           8
        .value_kind:     global_buffer
      - .actual_access:  write_only
        .address_space:  global
        .offset:         56
        .size:           8
        .value_kind:     global_buffer
      - .offset:         64
        .size:           4
        .value_kind:     hidden_block_count_x
      - .offset:         68
        .size:           4
        .value_kind:     hidden_block_count_y
      - .offset:         72
        .size:           4
        .value_kind:     hidden_block_count_z
      - .offset:         76
        .size:           2
        .value_kind:     hidden_group_size_x
      - .offset:         78
        .size:           2
        .value_kind:     hidden_group_size_y
      - .offset:         80
        .size:           2
        .value_kind:     hidden_group_size_z
      - .offset:         82
        .size:           2
        .value_kind:     hidden_remainder_x
      - .offset:         84
        .size:           2
        .value_kind:     hidden_remainder_y
      - .offset:         86
        .size:           2
        .value_kind:     hidden_remainder_z
      - .offset:         104
        .size:           8
        .value_kind:     hidden_global_offset_x
      - .offset:         112
        .size:           8
        .value_kind:     hidden_global_offset_y
      - .offset:         120
        .size:           8
        .value_kind:     hidden_global_offset_z
      - .offset:         128
        .size:           2
        .value_kind:     hidden_grid_dims
      - .offset:         184
        .size:           4
        .value_kind:     hidden_dynamic_lds_size
    .group_segment_fixed_size: 0
    .kernarg_segment_align: 8
    .kernarg_segment_size: 320
    .language:       OpenCL C
    .language_version:
      - 2
      - 0
    .max_flat_workgroup_size: 1024
    .name:           _ZN2at6native12_GLOBAL__N_135GammaBetaBackwardCUDAKernelTemplateIN3c108BFloat16EfLj32ELj32ELj256ELb0ELb0ELb0EEEvllPKT_S7_PKT0_SA_PS5_SB_
    .private_segment_fixed_size: 0
    .sgpr_count:     54
    .sgpr_spill_count: 0
    .symbol:         _ZN2at6native12_GLOBAL__N_135GammaBetaBackwardCUDAKernelTemplateIN3c108BFloat16EfLj32ELj32ELj256ELb0ELb0ELb0EEEvllPKT_S7_PKT0_SA_PS5_SB_.kd
    .uniform_work_group_size: 1
    .uses_dynamic_stack: false
    .vgpr_count:     106
    .vgpr_spill_count: 0
    .wavefront_size: 32
  - .args:
      - .actual_access:  read_only
        .address_space:  global
        .offset:         0
        .size:           8
        .value_kind:     global_buffer
      - .actual_access:  read_only
        .address_space:  global
        .offset:         8
        .size:           8
        .value_kind:     global_buffer
      - .offset:         16
        .size:           8
        .value_kind:     by_value
      - .offset:         24
        .size:           8
        .value_kind:     by_value
      - .actual_access:  read_only
        .address_space:  global
        .offset:         32
        .size:           8
        .value_kind:     global_buffer
      - .actual_access:  read_only
        .address_space:  global
        .offset:         40
        .size:           8
        .value_kind:     global_buffer
      - .address_space:  global
        .offset:         48
        .size:           8
        .value_kind:     global_buffer
      - .address_space:  global
        .offset:         56
        .size:           8
        .value_kind:     global_buffer
      - .offset:         64
        .size:           4
        .value_kind:     hidden_block_count_x
      - .offset:         68
        .size:           4
        .value_kind:     hidden_block_count_y
      - .offset:         72
        .size:           4
        .value_kind:     hidden_block_count_z
      - .offset:         76
        .size:           2
        .value_kind:     hidden_group_size_x
      - .offset:         78
        .size:           2
        .value_kind:     hidden_group_size_y
      - .offset:         80
        .size:           2
        .value_kind:     hidden_group_size_z
      - .offset:         82
        .size:           2
        .value_kind:     hidden_remainder_x
      - .offset:         84
        .size:           2
        .value_kind:     hidden_remainder_y
      - .offset:         86
        .size:           2
        .value_kind:     hidden_remainder_z
      - .offset:         104
        .size:           8
        .value_kind:     hidden_global_offset_x
      - .offset:         112
        .size:           8
        .value_kind:     hidden_global_offset_y
      - .offset:         120
        .size:           8
        .value_kind:     hidden_global_offset_z
      - .offset:         128
        .size:           2
        .value_kind:     hidden_grid_dims
      - .offset:         184
        .size:           4
        .value_kind:     hidden_dynamic_lds_size
    .group_segment_fixed_size: 0
    .kernarg_segment_align: 8
    .kernarg_segment_size: 320
    .language:       OpenCL C
    .language_version:
      - 2
      - 0
    .max_flat_workgroup_size: 1024
    .name:           _ZN2at6native12_GLOBAL__N_118cuComputeGradInputIddLb1EEEvPKT_S5_llPKT0_S8_S5_PS3_
    .private_segment_fixed_size: 0
    .sgpr_count:     42
    .sgpr_spill_count: 0
    .symbol:         _ZN2at6native12_GLOBAL__N_118cuComputeGradInputIddLb1EEEvPKT_S5_llPKT0_S8_S5_PS3_.kd
    .uniform_work_group_size: 1
    .uses_dynamic_stack: false
    .vgpr_count:     28
    .vgpr_spill_count: 0
    .wavefront_size: 32
  - .args:
      - .actual_access:  read_only
        .address_space:  global
        .offset:         0
        .size:           8
        .value_kind:     global_buffer
      - .actual_access:  read_only
        .address_space:  global
        .offset:         8
        .size:           8
        .value_kind:     global_buffer
      - .actual_access:  read_only
        .address_space:  global
        .offset:         16
        .size:           8
        .value_kind:     global_buffer
      - .actual_access:  read_only
        .address_space:  global
        .offset:         24
        .size:           8
        .value_kind:     global_buffer
      - .actual_access:  read_only
        .address_space:  global
        .offset:         32
        .size:           8
        .value_kind:     global_buffer
      - .address_space:  global
        .offset:         40
        .size:           8
        .value_kind:     global_buffer
      - .offset:         48
        .size:           4
        .value_kind:     by_value
      - .offset:         56
        .size:           4
        .value_kind:     hidden_block_count_x
      - .offset:         60
        .size:           4
        .value_kind:     hidden_block_count_y
      - .offset:         64
        .size:           4
        .value_kind:     hidden_block_count_z
      - .offset:         68
        .size:           2
        .value_kind:     hidden_group_size_x
      - .offset:         70
        .size:           2
        .value_kind:     hidden_group_size_y
      - .offset:         72
        .size:           2
        .value_kind:     hidden_group_size_z
      - .offset:         74
        .size:           2
        .value_kind:     hidden_remainder_x
      - .offset:         76
        .size:           2
        .value_kind:     hidden_remainder_y
      - .offset:         78
        .size:           2
        .value_kind:     hidden_remainder_z
      - .offset:         96
        .size:           8
        .value_kind:     hidden_global_offset_x
      - .offset:         104
        .size:           8
        .value_kind:     hidden_global_offset_y
      - .offset:         112
        .size:           8
        .value_kind:     hidden_global_offset_z
      - .offset:         120
        .size:           2
        .value_kind:     hidden_grid_dims
      - .offset:         176
        .size:           4
        .value_kind:     hidden_dynamic_lds_size
    .group_segment_fixed_size: 0
    .kernarg_segment_align: 8
    .kernarg_segment_size: 312
    .language:       OpenCL C
    .language_version:
      - 2
      - 0
    .max_flat_workgroup_size: 1024
    .name:           _ZN2at6native12_GLOBAL__N_128layer_norm_grad_input_kernelIddLb1EEEvPKT_S5_PKT0_S8_S5_PS3_i
    .private_segment_fixed_size: 0
    .sgpr_count:     25
    .sgpr_spill_count: 0
    .symbol:         _ZN2at6native12_GLOBAL__N_128layer_norm_grad_input_kernelIddLb1EEEvPKT_S5_PKT0_S8_S5_PS3_i.kd
    .uniform_work_group_size: 1
    .uses_dynamic_stack: false
    .vgpr_count:     34
    .vgpr_spill_count: 0
    .wavefront_size: 32
  - .args:
      - .offset:         0
        .size:           8
        .value_kind:     by_value
      - .offset:         8
        .size:           8
        .value_kind:     by_value
      - .address_space:  global
        .offset:         16
        .size:           8
        .value_kind:     global_buffer
      - .address_space:  global
        .offset:         24
        .size:           8
        .value_kind:     global_buffer
      - .address_space:  global
        .offset:         32
        .size:           8
        .value_kind:     global_buffer
      - .address_space:  global
        .offset:         40
        .size:           8
        .value_kind:     global_buffer
      - .address_space:  global
        .offset:         48
        .size:           8
        .value_kind:     global_buffer
      - .address_space:  global
        .offset:         56
        .size:           8
        .value_kind:     global_buffer
      - .offset:         64
        .size:           4
        .value_kind:     hidden_block_count_x
      - .offset:         68
        .size:           4
        .value_kind:     hidden_block_count_y
      - .offset:         72
        .size:           4
        .value_kind:     hidden_block_count_z
      - .offset:         76
        .size:           2
        .value_kind:     hidden_group_size_x
      - .offset:         78
        .size:           2
        .value_kind:     hidden_group_size_y
      - .offset:         80
        .size:           2
        .value_kind:     hidden_group_size_z
      - .offset:         82
        .size:           2
        .value_kind:     hidden_remainder_x
      - .offset:         84
        .size:           2
        .value_kind:     hidden_remainder_y
      - .offset:         86
        .size:           2
        .value_kind:     hidden_remainder_z
      - .offset:         104
        .size:           8
        .value_kind:     hidden_global_offset_x
      - .offset:         112
        .size:           8
        .value_kind:     hidden_global_offset_y
      - .offset:         120
        .size:           8
        .value_kind:     hidden_global_offset_z
      - .offset:         128
        .size:           2
        .value_kind:     hidden_grid_dims
    .group_segment_fixed_size: 0
    .kernarg_segment_align: 8
    .kernarg_segment_size: 320
    .language:       OpenCL C
    .language_version:
      - 2
      - 0
    .max_flat_workgroup_size: 1024
    .name:           _ZN2at6native12_GLOBAL__N_133GammaBetaBackwardSimpleCUDAKernelIddLb1EEEvllPKT_S5_PKT0_S8_PS3_S9_
    .private_segment_fixed_size: 0
    .sgpr_count:     18
    .sgpr_spill_count: 0
    .symbol:         _ZN2at6native12_GLOBAL__N_133GammaBetaBackwardSimpleCUDAKernelIddLb1EEEvllPKT_S5_PKT0_S8_PS3_S9_.kd
    .uniform_work_group_size: 1
    .uses_dynamic_stack: false
    .vgpr_count:     14
    .vgpr_spill_count: 0
    .wavefront_size: 32
  - .args:
      - .offset:         0
        .size:           8
        .value_kind:     by_value
      - .offset:         8
        .size:           8
        .value_kind:     by_value
      - .actual_access:  read_only
        .address_space:  global
        .offset:         16
        .size:           8
        .value_kind:     global_buffer
      - .actual_access:  read_only
        .address_space:  global
        .offset:         24
        .size:           8
        .value_kind:     global_buffer
      - .actual_access:  read_only
        .address_space:  global
        .offset:         32
        .size:           8
        .value_kind:     global_buffer
      - .actual_access:  read_only
        .address_space:  global
        .offset:         40
        .size:           8
        .value_kind:     global_buffer
      - .actual_access:  write_only
        .address_space:  global
        .offset:         48
        .size:           8
        .value_kind:     global_buffer
      - .actual_access:  read_only
        .address_space:  global
        .offset:         56
        .size:           8
        .value_kind:     global_buffer
      - .offset:         64
        .size:           4
        .value_kind:     hidden_block_count_x
      - .offset:         68
        .size:           4
        .value_kind:     hidden_block_count_y
      - .offset:         72
        .size:           4
        .value_kind:     hidden_block_count_z
      - .offset:         76
        .size:           2
        .value_kind:     hidden_group_size_x
      - .offset:         78
        .size:           2
        .value_kind:     hidden_group_size_y
      - .offset:         80
        .size:           2
        .value_kind:     hidden_group_size_z
      - .offset:         82
        .size:           2
        .value_kind:     hidden_remainder_x
      - .offset:         84
        .size:           2
        .value_kind:     hidden_remainder_y
      - .offset:         86
        .size:           2
        .value_kind:     hidden_remainder_z
      - .offset:         104
        .size:           8
        .value_kind:     hidden_global_offset_x
      - .offset:         112
        .size:           8
        .value_kind:     hidden_global_offset_y
      - .offset:         120
        .size:           8
        .value_kind:     hidden_global_offset_z
      - .offset:         128
        .size:           2
        .value_kind:     hidden_grid_dims
    .group_segment_fixed_size: 0
    .kernarg_segment_align: 8
    .kernarg_segment_size: 320
    .language:       OpenCL C
    .language_version:
      - 2
      - 0
    .max_flat_workgroup_size: 64
    .name:           _ZN2at6native12_GLOBAL__N_135GammaBetaBackwardCUDAKernelTemplateIddLj64ELj1ELj32ELb1ELb1ELb1EEEvllPKT_S5_PKT0_S8_PS3_S9_
    .private_segment_fixed_size: 0
    .sgpr_count:     25
    .sgpr_spill_count: 0
    .symbol:         _ZN2at6native12_GLOBAL__N_135GammaBetaBackwardCUDAKernelTemplateIddLj64ELj1ELj32ELb1ELb1ELb1EEEvllPKT_S5_PKT0_S8_PS3_S9_.kd
    .uniform_work_group_size: 1
    .uses_dynamic_stack: false
    .vgpr_count:     64
    .vgpr_spill_count: 0
    .wavefront_size: 32
  - .args:
      - .offset:         0
        .size:           8
        .value_kind:     by_value
      - .offset:         8
        .size:           8
        .value_kind:     by_value
      - .actual_access:  read_only
        .address_space:  global
        .offset:         16
        .size:           8
        .value_kind:     global_buffer
      - .actual_access:  read_only
        .address_space:  global
        .offset:         24
        .size:           8
        .value_kind:     global_buffer
      - .actual_access:  read_only
        .address_space:  global
        .offset:         32
        .size:           8
        .value_kind:     global_buffer
      - .actual_access:  read_only
        .address_space:  global
        .offset:         40
        .size:           8
        .value_kind:     global_buffer
      - .actual_access:  write_only
        .address_space:  global
        .offset:         48
        .size:           8
        .value_kind:     global_buffer
      - .actual_access:  read_only
        .address_space:  global
        .offset:         56
        .size:           8
        .value_kind:     global_buffer
      - .offset:         64
        .size:           4
        .value_kind:     hidden_block_count_x
      - .offset:         68
        .size:           4
        .value_kind:     hidden_block_count_y
      - .offset:         72
        .size:           4
        .value_kind:     hidden_block_count_z
      - .offset:         76
        .size:           2
        .value_kind:     hidden_group_size_x
      - .offset:         78
        .size:           2
        .value_kind:     hidden_group_size_y
      - .offset:         80
        .size:           2
        .value_kind:     hidden_group_size_z
      - .offset:         82
        .size:           2
        .value_kind:     hidden_remainder_x
      - .offset:         84
        .size:           2
        .value_kind:     hidden_remainder_y
      - .offset:         86
        .size:           2
        .value_kind:     hidden_remainder_z
      - .offset:         104
        .size:           8
        .value_kind:     hidden_global_offset_x
      - .offset:         112
        .size:           8
        .value_kind:     hidden_global_offset_y
      - .offset:         120
        .size:           8
        .value_kind:     hidden_global_offset_z
      - .offset:         128
        .size:           2
        .value_kind:     hidden_grid_dims
    .group_segment_fixed_size: 0
    .kernarg_segment_align: 8
    .kernarg_segment_size: 320
    .language:       OpenCL C
    .language_version:
      - 2
      - 0
    .max_flat_workgroup_size: 64
    .name:           _ZN2at6native12_GLOBAL__N_135GammaBetaBackwardCUDAKernelTemplateIddLj64ELj1ELj32ELb1ELb0ELb1EEEvllPKT_S5_PKT0_S8_PS3_S9_
    .private_segment_fixed_size: 0
    .sgpr_count:     38
    .sgpr_spill_count: 0
    .symbol:         _ZN2at6native12_GLOBAL__N_135GammaBetaBackwardCUDAKernelTemplateIddLj64ELj1ELj32ELb1ELb0ELb1EEEvllPKT_S5_PKT0_S8_PS3_S9_.kd
    .uniform_work_group_size: 1
    .uses_dynamic_stack: false
    .vgpr_count:     400
    .vgpr_spill_count: 0
    .wavefront_size: 32
  - .args:
      - .offset:         0
        .size:           8
        .value_kind:     by_value
      - .offset:         8
        .size:           8
        .value_kind:     by_value
      - .actual_access:  read_only
        .address_space:  global
        .offset:         16
        .size:           8
        .value_kind:     global_buffer
      - .actual_access:  read_only
        .address_space:  global
        .offset:         24
        .size:           8
        .value_kind:     global_buffer
      - .actual_access:  read_only
        .address_space:  global
        .offset:         32
        .size:           8
        .value_kind:     global_buffer
      - .actual_access:  read_only
        .address_space:  global
        .offset:         40
        .size:           8
        .value_kind:     global_buffer
      - .actual_access:  write_only
        .address_space:  global
        .offset:         48
        .size:           8
        .value_kind:     global_buffer
      - .actual_access:  read_only
        .address_space:  global
        .offset:         56
        .size:           8
        .value_kind:     global_buffer
      - .offset:         64
        .size:           4
        .value_kind:     hidden_block_count_x
      - .offset:         68
        .size:           4
        .value_kind:     hidden_block_count_y
      - .offset:         72
        .size:           4
        .value_kind:     hidden_block_count_z
      - .offset:         76
        .size:           2
        .value_kind:     hidden_group_size_x
      - .offset:         78
        .size:           2
        .value_kind:     hidden_group_size_y
      - .offset:         80
        .size:           2
        .value_kind:     hidden_group_size_z
      - .offset:         82
        .size:           2
        .value_kind:     hidden_remainder_x
      - .offset:         84
        .size:           2
        .value_kind:     hidden_remainder_y
      - .offset:         86
        .size:           2
        .value_kind:     hidden_remainder_z
      - .offset:         104
        .size:           8
        .value_kind:     hidden_global_offset_x
      - .offset:         112
        .size:           8
        .value_kind:     hidden_global_offset_y
      - .offset:         120
        .size:           8
        .value_kind:     hidden_global_offset_z
      - .offset:         128
        .size:           2
        .value_kind:     hidden_grid_dims
    .group_segment_fixed_size: 0
    .kernarg_segment_align: 8
    .kernarg_segment_size: 320
    .language:       OpenCL C
    .language_version:
      - 2
      - 0
    .max_flat_workgroup_size: 64
    .name:           _ZN2at6native12_GLOBAL__N_135GammaBetaBackwardCUDAKernelTemplateIddLj64ELj1ELj8ELb1ELb1ELb1EEEvllPKT_S5_PKT0_S8_PS3_S9_
    .private_segment_fixed_size: 0
    .sgpr_count:     27
    .sgpr_spill_count: 0
    .symbol:         _ZN2at6native12_GLOBAL__N_135GammaBetaBackwardCUDAKernelTemplateIddLj64ELj1ELj8ELb1ELb1ELb1EEEvllPKT_S5_PKT0_S8_PS3_S9_.kd
    .uniform_work_group_size: 1
    .uses_dynamic_stack: false
    .vgpr_count:     56
    .vgpr_spill_count: 0
    .wavefront_size: 32
  - .args:
      - .offset:         0
        .size:           8
        .value_kind:     by_value
      - .offset:         8
        .size:           8
        .value_kind:     by_value
      - .actual_access:  read_only
        .address_space:  global
        .offset:         16
        .size:           8
        .value_kind:     global_buffer
      - .actual_access:  read_only
        .address_space:  global
        .offset:         24
        .size:           8
        .value_kind:     global_buffer
      - .actual_access:  read_only
        .address_space:  global
        .offset:         32
        .size:           8
        .value_kind:     global_buffer
      - .actual_access:  read_only
        .address_space:  global
        .offset:         40
        .size:           8
        .value_kind:     global_buffer
      - .actual_access:  write_only
        .address_space:  global
        .offset:         48
        .size:           8
        .value_kind:     global_buffer
      - .actual_access:  read_only
        .address_space:  global
        .offset:         56
        .size:           8
        .value_kind:     global_buffer
      - .offset:         64
        .size:           4
        .value_kind:     hidden_block_count_x
      - .offset:         68
        .size:           4
        .value_kind:     hidden_block_count_y
      - .offset:         72
        .size:           4
        .value_kind:     hidden_block_count_z
      - .offset:         76
        .size:           2
        .value_kind:     hidden_group_size_x
      - .offset:         78
        .size:           2
        .value_kind:     hidden_group_size_y
      - .offset:         80
        .size:           2
        .value_kind:     hidden_group_size_z
      - .offset:         82
        .size:           2
        .value_kind:     hidden_remainder_x
      - .offset:         84
        .size:           2
        .value_kind:     hidden_remainder_y
      - .offset:         86
        .size:           2
        .value_kind:     hidden_remainder_z
      - .offset:         104
        .size:           8
        .value_kind:     hidden_global_offset_x
      - .offset:         112
        .size:           8
        .value_kind:     hidden_global_offset_y
      - .offset:         120
        .size:           8
        .value_kind:     hidden_global_offset_z
      - .offset:         128
        .size:           2
        .value_kind:     hidden_grid_dims
    .group_segment_fixed_size: 0
    .kernarg_segment_align: 8
    .kernarg_segment_size: 320
    .language:       OpenCL C
    .language_version:
      - 2
      - 0
    .max_flat_workgroup_size: 64
    .name:           _ZN2at6native12_GLOBAL__N_135GammaBetaBackwardCUDAKernelTemplateIddLj64ELj1ELj8ELb1ELb0ELb1EEEvllPKT_S5_PKT0_S8_PS3_S9_
    .private_segment_fixed_size: 0
    .sgpr_count:     38
    .sgpr_spill_count: 0
    .symbol:         _ZN2at6native12_GLOBAL__N_135GammaBetaBackwardCUDAKernelTemplateIddLj64ELj1ELj8ELb1ELb0ELb1EEEvllPKT_S5_PKT0_S8_PS3_S9_.kd
    .uniform_work_group_size: 1
    .uses_dynamic_stack: false
    .vgpr_count:     121
    .vgpr_spill_count: 0
    .wavefront_size: 32
  - .args:
      - .offset:         0
        .size:           8
        .value_kind:     by_value
      - .offset:         8
        .size:           8
        .value_kind:     by_value
      - .actual_access:  read_only
        .address_space:  global
        .offset:         16
        .size:           8
        .value_kind:     global_buffer
      - .actual_access:  read_only
        .address_space:  global
        .offset:         24
        .size:           8
        .value_kind:     global_buffer
      - .actual_access:  read_only
        .address_space:  global
        .offset:         32
        .size:           8
        .value_kind:     global_buffer
      - .actual_access:  read_only
        .address_space:  global
        .offset:         40
        .size:           8
        .value_kind:     global_buffer
      - .actual_access:  write_only
        .address_space:  global
        .offset:         48
        .size:           8
        .value_kind:     global_buffer
      - .actual_access:  read_only
        .address_space:  global
        .offset:         56
        .size:           8
        .value_kind:     global_buffer
      - .offset:         64
        .size:           4
        .value_kind:     hidden_block_count_x
      - .offset:         68
        .size:           4
        .value_kind:     hidden_block_count_y
      - .offset:         72
        .size:           4
        .value_kind:     hidden_block_count_z
      - .offset:         76
        .size:           2
        .value_kind:     hidden_group_size_x
      - .offset:         78
        .size:           2
        .value_kind:     hidden_group_size_y
      - .offset:         80
        .size:           2
        .value_kind:     hidden_group_size_z
      - .offset:         82
        .size:           2
        .value_kind:     hidden_remainder_x
      - .offset:         84
        .size:           2
        .value_kind:     hidden_remainder_y
      - .offset:         86
        .size:           2
        .value_kind:     hidden_remainder_z
      - .offset:         104
        .size:           8
        .value_kind:     hidden_global_offset_x
      - .offset:         112
        .size:           8
        .value_kind:     hidden_global_offset_y
      - .offset:         120
        .size:           8
        .value_kind:     hidden_global_offset_z
      - .offset:         128
        .size:           2
        .value_kind:     hidden_grid_dims
      - .offset:         184
        .size:           4
        .value_kind:     hidden_dynamic_lds_size
    .group_segment_fixed_size: 0
    .kernarg_segment_align: 8
    .kernarg_segment_size: 320
    .language:       OpenCL C
    .language_version:
      - 2
      - 0
    .max_flat_workgroup_size: 512
    .name:           _ZN2at6native12_GLOBAL__N_135GammaBetaBackwardCUDAKernelTemplateIddLj64ELj8ELj64ELb0ELb1ELb1EEEvllPKT_S5_PKT0_S8_PS3_S9_
    .private_segment_fixed_size: 0
    .sgpr_count:     24
    .sgpr_spill_count: 0
    .symbol:         _ZN2at6native12_GLOBAL__N_135GammaBetaBackwardCUDAKernelTemplateIddLj64ELj8ELj64ELb0ELb1ELb1EEEvllPKT_S5_PKT0_S8_PS3_S9_.kd
    .uniform_work_group_size: 1
    .uses_dynamic_stack: false
    .vgpr_count:     56
    .vgpr_spill_count: 0
    .wavefront_size: 32
  - .args:
      - .offset:         0
        .size:           8
        .value_kind:     by_value
      - .offset:         8
        .size:           8
        .value_kind:     by_value
      - .actual_access:  read_only
        .address_space:  global
        .offset:         16
        .size:           8
        .value_kind:     global_buffer
      - .actual_access:  read_only
        .address_space:  global
        .offset:         24
        .size:           8
        .value_kind:     global_buffer
      - .actual_access:  read_only
        .address_space:  global
        .offset:         32
        .size:           8
        .value_kind:     global_buffer
      - .actual_access:  read_only
        .address_space:  global
        .offset:         40
        .size:           8
        .value_kind:     global_buffer
      - .actual_access:  write_only
        .address_space:  global
        .offset:         48
        .size:           8
        .value_kind:     global_buffer
      - .actual_access:  read_only
        .address_space:  global
        .offset:         56
        .size:           8
        .value_kind:     global_buffer
      - .offset:         64
        .size:           4
        .value_kind:     hidden_block_count_x
      - .offset:         68
        .size:           4
        .value_kind:     hidden_block_count_y
      - .offset:         72
        .size:           4
        .value_kind:     hidden_block_count_z
      - .offset:         76
        .size:           2
        .value_kind:     hidden_group_size_x
      - .offset:         78
        .size:           2
        .value_kind:     hidden_group_size_y
      - .offset:         80
        .size:           2
        .value_kind:     hidden_group_size_z
      - .offset:         82
        .size:           2
        .value_kind:     hidden_remainder_x
      - .offset:         84
        .size:           2
        .value_kind:     hidden_remainder_y
      - .offset:         86
        .size:           2
        .value_kind:     hidden_remainder_z
      - .offset:         104
        .size:           8
        .value_kind:     hidden_global_offset_x
      - .offset:         112
        .size:           8
        .value_kind:     hidden_global_offset_y
      - .offset:         120
        .size:           8
        .value_kind:     hidden_global_offset_z
      - .offset:         128
        .size:           2
        .value_kind:     hidden_grid_dims
      - .offset:         184
        .size:           4
        .value_kind:     hidden_dynamic_lds_size
    .group_segment_fixed_size: 0
    .kernarg_segment_align: 8
    .kernarg_segment_size: 320
    .language:       OpenCL C
    .language_version:
      - 2
      - 0
    .max_flat_workgroup_size: 512
    .name:           _ZN2at6native12_GLOBAL__N_135GammaBetaBackwardCUDAKernelTemplateIddLj64ELj8ELj64ELb0ELb0ELb1EEEvllPKT_S5_PKT0_S8_PS3_S9_
    .private_segment_fixed_size: 0
    .sgpr_count:     52
    .sgpr_spill_count: 0
    .symbol:         _ZN2at6native12_GLOBAL__N_135GammaBetaBackwardCUDAKernelTemplateIddLj64ELj8ELj64ELb0ELb0ELb1EEEvllPKT_S5_PKT0_S8_PS3_S9_.kd
    .uniform_work_group_size: 1
    .uses_dynamic_stack: false
    .vgpr_count:     121
    .vgpr_spill_count: 0
    .wavefront_size: 32
  - .args:
      - .offset:         0
        .size:           8
        .value_kind:     by_value
      - .offset:         8
        .size:           8
        .value_kind:     by_value
      - .actual_access:  read_only
        .address_space:  global
        .offset:         16
        .size:           8
        .value_kind:     global_buffer
      - .actual_access:  read_only
        .address_space:  global
        .offset:         24
        .size:           8
        .value_kind:     global_buffer
      - .actual_access:  read_only
        .address_space:  global
        .offset:         32
        .size:           8
        .value_kind:     global_buffer
      - .actual_access:  read_only
        .address_space:  global
        .offset:         40
        .size:           8
        .value_kind:     global_buffer
      - .actual_access:  write_only
        .address_space:  global
        .offset:         48
        .size:           8
        .value_kind:     global_buffer
      - .actual_access:  read_only
        .address_space:  global
        .offset:         56
        .size:           8
        .value_kind:     global_buffer
      - .offset:         64
        .size:           4
        .value_kind:     hidden_block_count_x
      - .offset:         68
        .size:           4
        .value_kind:     hidden_block_count_y
      - .offset:         72
        .size:           4
        .value_kind:     hidden_block_count_z
      - .offset:         76
        .size:           2
        .value_kind:     hidden_group_size_x
      - .offset:         78
        .size:           2
        .value_kind:     hidden_group_size_y
      - .offset:         80
        .size:           2
        .value_kind:     hidden_group_size_z
      - .offset:         82
        .size:           2
        .value_kind:     hidden_remainder_x
      - .offset:         84
        .size:           2
        .value_kind:     hidden_remainder_y
      - .offset:         86
        .size:           2
        .value_kind:     hidden_remainder_z
      - .offset:         104
        .size:           8
        .value_kind:     hidden_global_offset_x
      - .offset:         112
        .size:           8
        .value_kind:     hidden_global_offset_y
      - .offset:         120
        .size:           8
        .value_kind:     hidden_global_offset_z
      - .offset:         128
        .size:           2
        .value_kind:     hidden_grid_dims
      - .offset:         184
        .size:           4
        .value_kind:     hidden_dynamic_lds_size
    .group_segment_fixed_size: 0
    .kernarg_segment_align: 8
    .kernarg_segment_size: 320
    .language:       OpenCL C
    .language_version:
      - 2
      - 0
    .max_flat_workgroup_size: 1024
    .name:           _ZN2at6native12_GLOBAL__N_135GammaBetaBackwardCUDAKernelTemplateIddLj64ELj16ELj128ELb0ELb1ELb1EEEvllPKT_S5_PKT0_S8_PS3_S9_
    .private_segment_fixed_size: 0
    .sgpr_count:     24
    .sgpr_spill_count: 0
    .symbol:         _ZN2at6native12_GLOBAL__N_135GammaBetaBackwardCUDAKernelTemplateIddLj64ELj16ELj128ELb0ELb1ELb1EEEvllPKT_S5_PKT0_S8_PS3_S9_.kd
    .uniform_work_group_size: 1
    .uses_dynamic_stack: false
    .vgpr_count:     56
    .vgpr_spill_count: 0
    .wavefront_size: 32
  - .args:
      - .offset:         0
        .size:           8
        .value_kind:     by_value
      - .offset:         8
        .size:           8
        .value_kind:     by_value
      - .actual_access:  read_only
        .address_space:  global
        .offset:         16
        .size:           8
        .value_kind:     global_buffer
      - .actual_access:  read_only
        .address_space:  global
        .offset:         24
        .size:           8
        .value_kind:     global_buffer
      - .actual_access:  read_only
        .address_space:  global
        .offset:         32
        .size:           8
        .value_kind:     global_buffer
      - .actual_access:  read_only
        .address_space:  global
        .offset:         40
        .size:           8
        .value_kind:     global_buffer
      - .actual_access:  write_only
        .address_space:  global
        .offset:         48
        .size:           8
        .value_kind:     global_buffer
      - .actual_access:  read_only
        .address_space:  global
        .offset:         56
        .size:           8
        .value_kind:     global_buffer
      - .offset:         64
        .size:           4
        .value_kind:     hidden_block_count_x
      - .offset:         68
        .size:           4
        .value_kind:     hidden_block_count_y
      - .offset:         72
        .size:           4
        .value_kind:     hidden_block_count_z
      - .offset:         76
        .size:           2
        .value_kind:     hidden_group_size_x
      - .offset:         78
        .size:           2
        .value_kind:     hidden_group_size_y
      - .offset:         80
        .size:           2
        .value_kind:     hidden_group_size_z
      - .offset:         82
        .size:           2
        .value_kind:     hidden_remainder_x
      - .offset:         84
        .size:           2
        .value_kind:     hidden_remainder_y
      - .offset:         86
        .size:           2
        .value_kind:     hidden_remainder_z
      - .offset:         104
        .size:           8
        .value_kind:     hidden_global_offset_x
      - .offset:         112
        .size:           8
        .value_kind:     hidden_global_offset_y
      - .offset:         120
        .size:           8
        .value_kind:     hidden_global_offset_z
      - .offset:         128
        .size:           2
        .value_kind:     hidden_grid_dims
      - .offset:         184
        .size:           4
        .value_kind:     hidden_dynamic_lds_size
    .group_segment_fixed_size: 0
    .kernarg_segment_align: 8
    .kernarg_segment_size: 320
    .language:       OpenCL C
    .language_version:
      - 2
      - 0
    .max_flat_workgroup_size: 1024
    .name:           _ZN2at6native12_GLOBAL__N_135GammaBetaBackwardCUDAKernelTemplateIddLj64ELj16ELj128ELb0ELb0ELb1EEEvllPKT_S5_PKT0_S8_PS3_S9_
    .private_segment_fixed_size: 0
    .sgpr_count:     52
    .sgpr_spill_count: 0
    .symbol:         _ZN2at6native12_GLOBAL__N_135GammaBetaBackwardCUDAKernelTemplateIddLj64ELj16ELj128ELb0ELb0ELb1EEEvllPKT_S5_PKT0_S8_PS3_S9_.kd
    .uniform_work_group_size: 1
    .uses_dynamic_stack: false
    .vgpr_count:     121
    .vgpr_spill_count: 0
    .wavefront_size: 32
  - .args:
      - .offset:         0
        .size:           8
        .value_kind:     by_value
      - .offset:         8
        .size:           8
        .value_kind:     by_value
      - .actual_access:  read_only
        .address_space:  global
        .offset:         16
        .size:           8
        .value_kind:     global_buffer
      - .actual_access:  read_only
        .address_space:  global
        .offset:         24
        .size:           8
        .value_kind:     global_buffer
      - .actual_access:  read_only
        .address_space:  global
        .offset:         32
        .size:           8
        .value_kind:     global_buffer
      - .actual_access:  read_only
        .address_space:  global
        .offset:         40
        .size:           8
        .value_kind:     global_buffer
      - .actual_access:  write_only
        .address_space:  global
        .offset:         48
        .size:           8
        .value_kind:     global_buffer
      - .actual_access:  read_only
        .address_space:  global
        .offset:         56
        .size:           8
        .value_kind:     global_buffer
      - .offset:         64
        .size:           4
        .value_kind:     hidden_block_count_x
      - .offset:         68
        .size:           4
        .value_kind:     hidden_block_count_y
      - .offset:         72
        .size:           4
        .value_kind:     hidden_block_count_z
      - .offset:         76
        .size:           2
        .value_kind:     hidden_group_size_x
      - .offset:         78
        .size:           2
        .value_kind:     hidden_group_size_y
      - .offset:         80
        .size:           2
        .value_kind:     hidden_group_size_z
      - .offset:         82
        .size:           2
        .value_kind:     hidden_remainder_x
      - .offset:         84
        .size:           2
        .value_kind:     hidden_remainder_y
      - .offset:         86
        .size:           2
        .value_kind:     hidden_remainder_z
      - .offset:         104
        .size:           8
        .value_kind:     hidden_global_offset_x
      - .offset:         112
        .size:           8
        .value_kind:     hidden_global_offset_y
      - .offset:         120
        .size:           8
        .value_kind:     hidden_global_offset_z
      - .offset:         128
        .size:           2
        .value_kind:     hidden_grid_dims
      - .offset:         184
        .size:           4
        .value_kind:     hidden_dynamic_lds_size
    .group_segment_fixed_size: 0
    .kernarg_segment_align: 8
    .kernarg_segment_size: 320
    .language:       OpenCL C
    .language_version:
      - 2
      - 0
    .max_flat_workgroup_size: 1024
    .name:           _ZN2at6native12_GLOBAL__N_135GammaBetaBackwardCUDAKernelTemplateIddLj64ELj16ELj256ELb0ELb1ELb1EEEvllPKT_S5_PKT0_S8_PS3_S9_
    .private_segment_fixed_size: 0
    .sgpr_count:     24
    .sgpr_spill_count: 0
    .symbol:         _ZN2at6native12_GLOBAL__N_135GammaBetaBackwardCUDAKernelTemplateIddLj64ELj16ELj256ELb0ELb1ELb1EEEvllPKT_S5_PKT0_S8_PS3_S9_.kd
    .uniform_work_group_size: 1
    .uses_dynamic_stack: false
    .vgpr_count:     64
    .vgpr_spill_count: 0
    .wavefront_size: 32
  - .args:
      - .offset:         0
        .size:           8
        .value_kind:     by_value
      - .offset:         8
        .size:           8
        .value_kind:     by_value
      - .actual_access:  read_only
        .address_space:  global
        .offset:         16
        .size:           8
        .value_kind:     global_buffer
      - .actual_access:  read_only
        .address_space:  global
        .offset:         24
        .size:           8
        .value_kind:     global_buffer
      - .actual_access:  read_only
        .address_space:  global
        .offset:         32
        .size:           8
        .value_kind:     global_buffer
      - .actual_access:  read_only
        .address_space:  global
        .offset:         40
        .size:           8
        .value_kind:     global_buffer
      - .actual_access:  write_only
        .address_space:  global
        .offset:         48
        .size:           8
        .value_kind:     global_buffer
      - .actual_access:  read_only
        .address_space:  global
        .offset:         56
        .size:           8
        .value_kind:     global_buffer
      - .offset:         64
        .size:           4
        .value_kind:     hidden_block_count_x
      - .offset:         68
        .size:           4
        .value_kind:     hidden_block_count_y
      - .offset:         72
        .size:           4
        .value_kind:     hidden_block_count_z
      - .offset:         76
        .size:           2
        .value_kind:     hidden_group_size_x
      - .offset:         78
        .size:           2
        .value_kind:     hidden_group_size_y
      - .offset:         80
        .size:           2
        .value_kind:     hidden_group_size_z
      - .offset:         82
        .size:           2
        .value_kind:     hidden_remainder_x
      - .offset:         84
        .size:           2
        .value_kind:     hidden_remainder_y
      - .offset:         86
        .size:           2
        .value_kind:     hidden_remainder_z
      - .offset:         104
        .size:           8
        .value_kind:     hidden_global_offset_x
      - .offset:         112
        .size:           8
        .value_kind:     hidden_global_offset_y
      - .offset:         120
        .size:           8
        .value_kind:     hidden_global_offset_z
      - .offset:         128
        .size:           2
        .value_kind:     hidden_grid_dims
      - .offset:         184
        .size:           4
        .value_kind:     hidden_dynamic_lds_size
    .group_segment_fixed_size: 0
    .kernarg_segment_align: 8
    .kernarg_segment_size: 320
    .language:       OpenCL C
    .language_version:
      - 2
      - 0
    .max_flat_workgroup_size: 1024
    .name:           _ZN2at6native12_GLOBAL__N_135GammaBetaBackwardCUDAKernelTemplateIddLj64ELj16ELj256ELb0ELb0ELb1EEEvllPKT_S5_PKT0_S8_PS3_S9_
    .private_segment_fixed_size: 320
    .sgpr_count:     68
    .sgpr_spill_count: 0
    .symbol:         _ZN2at6native12_GLOBAL__N_135GammaBetaBackwardCUDAKernelTemplateIddLj64ELj16ELj256ELb0ELb0ELb1EEEvllPKT_S5_PKT0_S8_PS3_S9_.kd
    .uniform_work_group_size: 1
    .uses_dynamic_stack: false
    .vgpr_count:     128
    .vgpr_spill_count: 198
    .wavefront_size: 32
  - .args:
      - .offset:         0
        .size:           8
        .value_kind:     by_value
      - .offset:         8
        .size:           8
        .value_kind:     by_value
      - .actual_access:  read_only
        .address_space:  global
        .offset:         16
        .size:           8
        .value_kind:     global_buffer
      - .actual_access:  read_only
        .address_space:  global
        .offset:         24
        .size:           8
        .value_kind:     global_buffer
      - .actual_access:  read_only
        .address_space:  global
        .offset:         32
        .size:           8
        .value_kind:     global_buffer
      - .actual_access:  read_only
        .address_space:  global
        .offset:         40
        .size:           8
        .value_kind:     global_buffer
      - .actual_access:  write_only
        .address_space:  global
        .offset:         48
        .size:           8
        .value_kind:     global_buffer
      - .actual_access:  read_only
        .address_space:  global
        .offset:         56
        .size:           8
        .value_kind:     global_buffer
      - .offset:         64
        .size:           4
        .value_kind:     hidden_block_count_x
      - .offset:         68
        .size:           4
        .value_kind:     hidden_block_count_y
      - .offset:         72
        .size:           4
        .value_kind:     hidden_block_count_z
      - .offset:         76
        .size:           2
        .value_kind:     hidden_group_size_x
      - .offset:         78
        .size:           2
        .value_kind:     hidden_group_size_y
      - .offset:         80
        .size:           2
        .value_kind:     hidden_group_size_z
      - .offset:         82
        .size:           2
        .value_kind:     hidden_remainder_x
      - .offset:         84
        .size:           2
        .value_kind:     hidden_remainder_y
      - .offset:         86
        .size:           2
        .value_kind:     hidden_remainder_z
      - .offset:         104
        .size:           8
        .value_kind:     hidden_global_offset_x
      - .offset:         112
        .size:           8
        .value_kind:     hidden_global_offset_y
      - .offset:         120
        .size:           8
        .value_kind:     hidden_global_offset_z
      - .offset:         128
        .size:           2
        .value_kind:     hidden_grid_dims
    .group_segment_fixed_size: 0
    .kernarg_segment_align: 8
    .kernarg_segment_size: 320
    .language:       OpenCL C
    .language_version:
      - 2
      - 0
    .max_flat_workgroup_size: 32
    .name:           _ZN2at6native12_GLOBAL__N_135GammaBetaBackwardCUDAKernelTemplateIddLj32ELj1ELj32ELb1ELb1ELb1EEEvllPKT_S5_PKT0_S8_PS3_S9_
    .private_segment_fixed_size: 0
    .sgpr_count:     25
    .sgpr_spill_count: 0
    .symbol:         _ZN2at6native12_GLOBAL__N_135GammaBetaBackwardCUDAKernelTemplateIddLj32ELj1ELj32ELb1ELb1ELb1EEEvllPKT_S5_PKT0_S8_PS3_S9_.kd
    .uniform_work_group_size: 1
    .uses_dynamic_stack: false
    .vgpr_count:     64
    .vgpr_spill_count: 0
    .wavefront_size: 32
  - .args:
      - .offset:         0
        .size:           8
        .value_kind:     by_value
      - .offset:         8
        .size:           8
        .value_kind:     by_value
      - .actual_access:  read_only
        .address_space:  global
        .offset:         16
        .size:           8
        .value_kind:     global_buffer
      - .actual_access:  read_only
        .address_space:  global
        .offset:         24
        .size:           8
        .value_kind:     global_buffer
      - .actual_access:  read_only
        .address_space:  global
        .offset:         32
        .size:           8
        .value_kind:     global_buffer
      - .actual_access:  read_only
        .address_space:  global
        .offset:         40
        .size:           8
        .value_kind:     global_buffer
      - .actual_access:  write_only
        .address_space:  global
        .offset:         48
        .size:           8
        .value_kind:     global_buffer
      - .actual_access:  read_only
        .address_space:  global
        .offset:         56
        .size:           8
        .value_kind:     global_buffer
      - .offset:         64
        .size:           4
        .value_kind:     hidden_block_count_x
      - .offset:         68
        .size:           4
        .value_kind:     hidden_block_count_y
      - .offset:         72
        .size:           4
        .value_kind:     hidden_block_count_z
      - .offset:         76
        .size:           2
        .value_kind:     hidden_group_size_x
      - .offset:         78
        .size:           2
        .value_kind:     hidden_group_size_y
      - .offset:         80
        .size:           2
        .value_kind:     hidden_group_size_z
      - .offset:         82
        .size:           2
        .value_kind:     hidden_remainder_x
      - .offset:         84
        .size:           2
        .value_kind:     hidden_remainder_y
      - .offset:         86
        .size:           2
        .value_kind:     hidden_remainder_z
      - .offset:         104
        .size:           8
        .value_kind:     hidden_global_offset_x
      - .offset:         112
        .size:           8
        .value_kind:     hidden_global_offset_y
      - .offset:         120
        .size:           8
        .value_kind:     hidden_global_offset_z
      - .offset:         128
        .size:           2
        .value_kind:     hidden_grid_dims
    .group_segment_fixed_size: 0
    .kernarg_segment_align: 8
    .kernarg_segment_size: 320
    .language:       OpenCL C
    .language_version:
      - 2
      - 0
    .max_flat_workgroup_size: 32
    .name:           _ZN2at6native12_GLOBAL__N_135GammaBetaBackwardCUDAKernelTemplateIddLj32ELj1ELj32ELb1ELb0ELb1EEEvllPKT_S5_PKT0_S8_PS3_S9_
    .private_segment_fixed_size: 0
    .sgpr_count:     38
    .sgpr_spill_count: 0
    .symbol:         _ZN2at6native12_GLOBAL__N_135GammaBetaBackwardCUDAKernelTemplateIddLj32ELj1ELj32ELb1ELb0ELb1EEEvllPKT_S5_PKT0_S8_PS3_S9_.kd
    .uniform_work_group_size: 1
    .uses_dynamic_stack: false
    .vgpr_count:     400
    .vgpr_spill_count: 0
    .wavefront_size: 32
  - .args:
      - .offset:         0
        .size:           8
        .value_kind:     by_value
      - .offset:         8
        .size:           8
        .value_kind:     by_value
      - .actual_access:  read_only
        .address_space:  global
        .offset:         16
        .size:           8
        .value_kind:     global_buffer
      - .actual_access:  read_only
        .address_space:  global
        .offset:         24
        .size:           8
        .value_kind:     global_buffer
      - .actual_access:  read_only
        .address_space:  global
        .offset:         32
        .size:           8
        .value_kind:     global_buffer
      - .actual_access:  read_only
        .address_space:  global
        .offset:         40
        .size:           8
        .value_kind:     global_buffer
      - .actual_access:  write_only
        .address_space:  global
        .offset:         48
        .size:           8
        .value_kind:     global_buffer
      - .actual_access:  read_only
        .address_space:  global
        .offset:         56
        .size:           8
        .value_kind:     global_buffer
      - .offset:         64
        .size:           4
        .value_kind:     hidden_block_count_x
      - .offset:         68
        .size:           4
        .value_kind:     hidden_block_count_y
      - .offset:         72
        .size:           4
        .value_kind:     hidden_block_count_z
      - .offset:         76
        .size:           2
        .value_kind:     hidden_group_size_x
      - .offset:         78
        .size:           2
        .value_kind:     hidden_group_size_y
      - .offset:         80
        .size:           2
        .value_kind:     hidden_group_size_z
      - .offset:         82
        .size:           2
        .value_kind:     hidden_remainder_x
      - .offset:         84
        .size:           2
        .value_kind:     hidden_remainder_y
      - .offset:         86
        .size:           2
        .value_kind:     hidden_remainder_z
      - .offset:         104
        .size:           8
        .value_kind:     hidden_global_offset_x
      - .offset:         112
        .size:           8
        .value_kind:     hidden_global_offset_y
      - .offset:         120
        .size:           8
        .value_kind:     hidden_global_offset_z
      - .offset:         128
        .size:           2
        .value_kind:     hidden_grid_dims
    .group_segment_fixed_size: 0
    .kernarg_segment_align: 8
    .kernarg_segment_size: 320
    .language:       OpenCL C
    .language_version:
      - 2
      - 0
    .max_flat_workgroup_size: 32
    .name:           _ZN2at6native12_GLOBAL__N_135GammaBetaBackwardCUDAKernelTemplateIddLj32ELj1ELj8ELb1ELb1ELb1EEEvllPKT_S5_PKT0_S8_PS3_S9_
    .private_segment_fixed_size: 0
    .sgpr_count:     27
    .sgpr_spill_count: 0
    .symbol:         _ZN2at6native12_GLOBAL__N_135GammaBetaBackwardCUDAKernelTemplateIddLj32ELj1ELj8ELb1ELb1ELb1EEEvllPKT_S5_PKT0_S8_PS3_S9_.kd
    .uniform_work_group_size: 1
    .uses_dynamic_stack: false
    .vgpr_count:     56
    .vgpr_spill_count: 0
    .wavefront_size: 32
  - .args:
      - .offset:         0
        .size:           8
        .value_kind:     by_value
      - .offset:         8
        .size:           8
        .value_kind:     by_value
      - .actual_access:  read_only
        .address_space:  global
        .offset:         16
        .size:           8
        .value_kind:     global_buffer
      - .actual_access:  read_only
        .address_space:  global
        .offset:         24
        .size:           8
        .value_kind:     global_buffer
      - .actual_access:  read_only
        .address_space:  global
        .offset:         32
        .size:           8
        .value_kind:     global_buffer
      - .actual_access:  read_only
        .address_space:  global
        .offset:         40
        .size:           8
        .value_kind:     global_buffer
      - .actual_access:  write_only
        .address_space:  global
        .offset:         48
        .size:           8
        .value_kind:     global_buffer
      - .actual_access:  read_only
        .address_space:  global
        .offset:         56
        .size:           8
        .value_kind:     global_buffer
      - .offset:         64
        .size:           4
        .value_kind:     hidden_block_count_x
      - .offset:         68
        .size:           4
        .value_kind:     hidden_block_count_y
      - .offset:         72
        .size:           4
        .value_kind:     hidden_block_count_z
      - .offset:         76
        .size:           2
        .value_kind:     hidden_group_size_x
      - .offset:         78
        .size:           2
        .value_kind:     hidden_group_size_y
      - .offset:         80
        .size:           2
        .value_kind:     hidden_group_size_z
      - .offset:         82
        .size:           2
        .value_kind:     hidden_remainder_x
      - .offset:         84
        .size:           2
        .value_kind:     hidden_remainder_y
      - .offset:         86
        .size:           2
        .value_kind:     hidden_remainder_z
      - .offset:         104
        .size:           8
        .value_kind:     hidden_global_offset_x
      - .offset:         112
        .size:           8
        .value_kind:     hidden_global_offset_y
      - .offset:         120
        .size:           8
        .value_kind:     hidden_global_offset_z
      - .offset:         128
        .size:           2
        .value_kind:     hidden_grid_dims
    .group_segment_fixed_size: 0
    .kernarg_segment_align: 8
    .kernarg_segment_size: 320
    .language:       OpenCL C
    .language_version:
      - 2
      - 0
    .max_flat_workgroup_size: 32
    .name:           _ZN2at6native12_GLOBAL__N_135GammaBetaBackwardCUDAKernelTemplateIddLj32ELj1ELj8ELb1ELb0ELb1EEEvllPKT_S5_PKT0_S8_PS3_S9_
    .private_segment_fixed_size: 0
    .sgpr_count:     38
    .sgpr_spill_count: 0
    .symbol:         _ZN2at6native12_GLOBAL__N_135GammaBetaBackwardCUDAKernelTemplateIddLj32ELj1ELj8ELb1ELb0ELb1EEEvllPKT_S5_PKT0_S8_PS3_S9_.kd
    .uniform_work_group_size: 1
    .uses_dynamic_stack: false
    .vgpr_count:     121
    .vgpr_spill_count: 0
    .wavefront_size: 32
  - .args:
      - .offset:         0
        .size:           8
        .value_kind:     by_value
      - .offset:         8
        .size:           8
        .value_kind:     by_value
      - .actual_access:  read_only
        .address_space:  global
        .offset:         16
        .size:           8
        .value_kind:     global_buffer
      - .actual_access:  read_only
        .address_space:  global
        .offset:         24
        .size:           8
        .value_kind:     global_buffer
      - .actual_access:  read_only
        .address_space:  global
        .offset:         32
        .size:           8
        .value_kind:     global_buffer
      - .actual_access:  read_only
        .address_space:  global
        .offset:         40
        .size:           8
        .value_kind:     global_buffer
      - .actual_access:  write_only
        .address_space:  global
        .offset:         48
        .size:           8
        .value_kind:     global_buffer
      - .actual_access:  read_only
        .address_space:  global
        .offset:         56
        .size:           8
        .value_kind:     global_buffer
      - .offset:         64
        .size:           4
        .value_kind:     hidden_block_count_x
      - .offset:         68
        .size:           4
        .value_kind:     hidden_block_count_y
      - .offset:         72
        .size:           4
        .value_kind:     hidden_block_count_z
      - .offset:         76
        .size:           2
        .value_kind:     hidden_group_size_x
      - .offset:         78
        .size:           2
        .value_kind:     hidden_group_size_y
      - .offset:         80
        .size:           2
        .value_kind:     hidden_group_size_z
      - .offset:         82
        .size:           2
        .value_kind:     hidden_remainder_x
      - .offset:         84
        .size:           2
        .value_kind:     hidden_remainder_y
      - .offset:         86
        .size:           2
        .value_kind:     hidden_remainder_z
      - .offset:         104
        .size:           8
        .value_kind:     hidden_global_offset_x
      - .offset:         112
        .size:           8
        .value_kind:     hidden_global_offset_y
      - .offset:         120
        .size:           8
        .value_kind:     hidden_global_offset_z
      - .offset:         128
        .size:           2
        .value_kind:     hidden_grid_dims
      - .offset:         184
        .size:           4
        .value_kind:     hidden_dynamic_lds_size
    .group_segment_fixed_size: 0
    .kernarg_segment_align: 8
    .kernarg_segment_size: 320
    .language:       OpenCL C
    .language_version:
      - 2
      - 0
    .max_flat_workgroup_size: 256
    .name:           _ZN2at6native12_GLOBAL__N_135GammaBetaBackwardCUDAKernelTemplateIddLj32ELj8ELj64ELb0ELb1ELb1EEEvllPKT_S5_PKT0_S8_PS3_S9_
    .private_segment_fixed_size: 0
    .sgpr_count:     24
    .sgpr_spill_count: 0
    .symbol:         _ZN2at6native12_GLOBAL__N_135GammaBetaBackwardCUDAKernelTemplateIddLj32ELj8ELj64ELb0ELb1ELb1EEEvllPKT_S5_PKT0_S8_PS3_S9_.kd
    .uniform_work_group_size: 1
    .uses_dynamic_stack: false
    .vgpr_count:     56
    .vgpr_spill_count: 0
    .wavefront_size: 32
  - .args:
      - .offset:         0
        .size:           8
        .value_kind:     by_value
      - .offset:         8
        .size:           8
        .value_kind:     by_value
      - .actual_access:  read_only
        .address_space:  global
        .offset:         16
        .size:           8
        .value_kind:     global_buffer
      - .actual_access:  read_only
        .address_space:  global
        .offset:         24
        .size:           8
        .value_kind:     global_buffer
      - .actual_access:  read_only
        .address_space:  global
        .offset:         32
        .size:           8
        .value_kind:     global_buffer
      - .actual_access:  read_only
        .address_space:  global
        .offset:         40
        .size:           8
        .value_kind:     global_buffer
      - .actual_access:  write_only
        .address_space:  global
        .offset:         48
        .size:           8
        .value_kind:     global_buffer
      - .actual_access:  read_only
        .address_space:  global
        .offset:         56
        .size:           8
        .value_kind:     global_buffer
      - .offset:         64
        .size:           4
        .value_kind:     hidden_block_count_x
      - .offset:         68
        .size:           4
        .value_kind:     hidden_block_count_y
      - .offset:         72
        .size:           4
        .value_kind:     hidden_block_count_z
      - .offset:         76
        .size:           2
        .value_kind:     hidden_group_size_x
      - .offset:         78
        .size:           2
        .value_kind:     hidden_group_size_y
      - .offset:         80
        .size:           2
        .value_kind:     hidden_group_size_z
      - .offset:         82
        .size:           2
        .value_kind:     hidden_remainder_x
      - .offset:         84
        .size:           2
        .value_kind:     hidden_remainder_y
      - .offset:         86
        .size:           2
        .value_kind:     hidden_remainder_z
      - .offset:         104
        .size:           8
        .value_kind:     hidden_global_offset_x
      - .offset:         112
        .size:           8
        .value_kind:     hidden_global_offset_y
      - .offset:         120
        .size:           8
        .value_kind:     hidden_global_offset_z
      - .offset:         128
        .size:           2
        .value_kind:     hidden_grid_dims
      - .offset:         184
        .size:           4
        .value_kind:     hidden_dynamic_lds_size
    .group_segment_fixed_size: 0
    .kernarg_segment_align: 8
    .kernarg_segment_size: 320
    .language:       OpenCL C
    .language_version:
      - 2
      - 0
    .max_flat_workgroup_size: 256
    .name:           _ZN2at6native12_GLOBAL__N_135GammaBetaBackwardCUDAKernelTemplateIddLj32ELj8ELj64ELb0ELb0ELb1EEEvllPKT_S5_PKT0_S8_PS3_S9_
    .private_segment_fixed_size: 0
    .sgpr_count:     52
    .sgpr_spill_count: 0
    .symbol:         _ZN2at6native12_GLOBAL__N_135GammaBetaBackwardCUDAKernelTemplateIddLj32ELj8ELj64ELb0ELb0ELb1EEEvllPKT_S5_PKT0_S8_PS3_S9_.kd
    .uniform_work_group_size: 1
    .uses_dynamic_stack: false
    .vgpr_count:     121
    .vgpr_spill_count: 0
    .wavefront_size: 32
  - .args:
      - .offset:         0
        .size:           8
        .value_kind:     by_value
      - .offset:         8
        .size:           8
        .value_kind:     by_value
      - .actual_access:  read_only
        .address_space:  global
        .offset:         16
        .size:           8
        .value_kind:     global_buffer
      - .actual_access:  read_only
        .address_space:  global
        .offset:         24
        .size:           8
        .value_kind:     global_buffer
      - .actual_access:  read_only
        .address_space:  global
        .offset:         32
        .size:           8
        .value_kind:     global_buffer
      - .actual_access:  read_only
        .address_space:  global
        .offset:         40
        .size:           8
        .value_kind:     global_buffer
      - .actual_access:  write_only
        .address_space:  global
        .offset:         48
        .size:           8
        .value_kind:     global_buffer
      - .actual_access:  read_only
        .address_space:  global
        .offset:         56
        .size:           8
        .value_kind:     global_buffer
      - .offset:         64
        .size:           4
        .value_kind:     hidden_block_count_x
      - .offset:         68
        .size:           4
        .value_kind:     hidden_block_count_y
      - .offset:         72
        .size:           4
        .value_kind:     hidden_block_count_z
      - .offset:         76
        .size:           2
        .value_kind:     hidden_group_size_x
      - .offset:         78
        .size:           2
        .value_kind:     hidden_group_size_y
      - .offset:         80
        .size:           2
        .value_kind:     hidden_group_size_z
      - .offset:         82
        .size:           2
        .value_kind:     hidden_remainder_x
      - .offset:         84
        .size:           2
        .value_kind:     hidden_remainder_y
      - .offset:         86
        .size:           2
        .value_kind:     hidden_remainder_z
      - .offset:         104
        .size:           8
        .value_kind:     hidden_global_offset_x
      - .offset:         112
        .size:           8
        .value_kind:     hidden_global_offset_y
      - .offset:         120
        .size:           8
        .value_kind:     hidden_global_offset_z
      - .offset:         128
        .size:           2
        .value_kind:     hidden_grid_dims
      - .offset:         184
        .size:           4
        .value_kind:     hidden_dynamic_lds_size
    .group_segment_fixed_size: 0
    .kernarg_segment_align: 8
    .kernarg_segment_size: 320
    .language:       OpenCL C
    .language_version:
      - 2
      - 0
    .max_flat_workgroup_size: 512
    .name:           _ZN2at6native12_GLOBAL__N_135GammaBetaBackwardCUDAKernelTemplateIddLj32ELj16ELj128ELb0ELb1ELb1EEEvllPKT_S5_PKT0_S8_PS3_S9_
    .private_segment_fixed_size: 0
    .sgpr_count:     24
    .sgpr_spill_count: 0
    .symbol:         _ZN2at6native12_GLOBAL__N_135GammaBetaBackwardCUDAKernelTemplateIddLj32ELj16ELj128ELb0ELb1ELb1EEEvllPKT_S5_PKT0_S8_PS3_S9_.kd
    .uniform_work_group_size: 1
    .uses_dynamic_stack: false
    .vgpr_count:     56
    .vgpr_spill_count: 0
    .wavefront_size: 32
  - .args:
      - .offset:         0
        .size:           8
        .value_kind:     by_value
      - .offset:         8
        .size:           8
        .value_kind:     by_value
      - .actual_access:  read_only
        .address_space:  global
        .offset:         16
        .size:           8
        .value_kind:     global_buffer
      - .actual_access:  read_only
        .address_space:  global
        .offset:         24
        .size:           8
        .value_kind:     global_buffer
      - .actual_access:  read_only
        .address_space:  global
        .offset:         32
        .size:           8
        .value_kind:     global_buffer
      - .actual_access:  read_only
        .address_space:  global
        .offset:         40
        .size:           8
        .value_kind:     global_buffer
      - .actual_access:  write_only
        .address_space:  global
        .offset:         48
        .size:           8
        .value_kind:     global_buffer
      - .actual_access:  read_only
        .address_space:  global
        .offset:         56
        .size:           8
        .value_kind:     global_buffer
      - .offset:         64
        .size:           4
        .value_kind:     hidden_block_count_x
      - .offset:         68
        .size:           4
        .value_kind:     hidden_block_count_y
      - .offset:         72
        .size:           4
        .value_kind:     hidden_block_count_z
      - .offset:         76
        .size:           2
        .value_kind:     hidden_group_size_x
      - .offset:         78
        .size:           2
        .value_kind:     hidden_group_size_y
      - .offset:         80
        .size:           2
        .value_kind:     hidden_group_size_z
      - .offset:         82
        .size:           2
        .value_kind:     hidden_remainder_x
      - .offset:         84
        .size:           2
        .value_kind:     hidden_remainder_y
      - .offset:         86
        .size:           2
        .value_kind:     hidden_remainder_z
      - .offset:         104
        .size:           8
        .value_kind:     hidden_global_offset_x
      - .offset:         112
        .size:           8
        .value_kind:     hidden_global_offset_y
      - .offset:         120
        .size:           8
        .value_kind:     hidden_global_offset_z
      - .offset:         128
        .size:           2
        .value_kind:     hidden_grid_dims
      - .offset:         184
        .size:           4
        .value_kind:     hidden_dynamic_lds_size
    .group_segment_fixed_size: 0
    .kernarg_segment_align: 8
    .kernarg_segment_size: 320
    .language:       OpenCL C
    .language_version:
      - 2
      - 0
    .max_flat_workgroup_size: 512
    .name:           _ZN2at6native12_GLOBAL__N_135GammaBetaBackwardCUDAKernelTemplateIddLj32ELj16ELj128ELb0ELb0ELb1EEEvllPKT_S5_PKT0_S8_PS3_S9_
    .private_segment_fixed_size: 0
    .sgpr_count:     52
    .sgpr_spill_count: 0
    .symbol:         _ZN2at6native12_GLOBAL__N_135GammaBetaBackwardCUDAKernelTemplateIddLj32ELj16ELj128ELb0ELb0ELb1EEEvllPKT_S5_PKT0_S8_PS3_S9_.kd
    .uniform_work_group_size: 1
    .uses_dynamic_stack: false
    .vgpr_count:     121
    .vgpr_spill_count: 0
    .wavefront_size: 32
  - .args:
      - .offset:         0
        .size:           8
        .value_kind:     by_value
      - .offset:         8
        .size:           8
        .value_kind:     by_value
      - .actual_access:  read_only
        .address_space:  global
        .offset:         16
        .size:           8
        .value_kind:     global_buffer
      - .actual_access:  read_only
        .address_space:  global
        .offset:         24
        .size:           8
        .value_kind:     global_buffer
      - .actual_access:  read_only
        .address_space:  global
        .offset:         32
        .size:           8
        .value_kind:     global_buffer
      - .actual_access:  read_only
        .address_space:  global
        .offset:         40
        .size:           8
        .value_kind:     global_buffer
      - .actual_access:  write_only
        .address_space:  global
        .offset:         48
        .size:           8
        .value_kind:     global_buffer
      - .actual_access:  read_only
        .address_space:  global
        .offset:         56
        .size:           8
        .value_kind:     global_buffer
      - .offset:         64
        .size:           4
        .value_kind:     hidden_block_count_x
      - .offset:         68
        .size:           4
        .value_kind:     hidden_block_count_y
      - .offset:         72
        .size:           4
        .value_kind:     hidden_block_count_z
      - .offset:         76
        .size:           2
        .value_kind:     hidden_group_size_x
      - .offset:         78
        .size:           2
        .value_kind:     hidden_group_size_y
      - .offset:         80
        .size:           2
        .value_kind:     hidden_group_size_z
      - .offset:         82
        .size:           2
        .value_kind:     hidden_remainder_x
      - .offset:         84
        .size:           2
        .value_kind:     hidden_remainder_y
      - .offset:         86
        .size:           2
        .value_kind:     hidden_remainder_z
      - .offset:         104
        .size:           8
        .value_kind:     hidden_global_offset_x
      - .offset:         112
        .size:           8
        .value_kind:     hidden_global_offset_y
      - .offset:         120
        .size:           8
        .value_kind:     hidden_global_offset_z
      - .offset:         128
        .size:           2
        .value_kind:     hidden_grid_dims
      - .offset:         184
        .size:           4
        .value_kind:     hidden_dynamic_lds_size
    .group_segment_fixed_size: 0
    .kernarg_segment_align: 8
    .kernarg_segment_size: 320
    .language:       OpenCL C
    .language_version:
      - 2
      - 0
    .max_flat_workgroup_size: 1024
    .name:           _ZN2at6native12_GLOBAL__N_135GammaBetaBackwardCUDAKernelTemplateIddLj32ELj32ELj256ELb0ELb1ELb1EEEvllPKT_S5_PKT0_S8_PS3_S9_
    .private_segment_fixed_size: 0
    .sgpr_count:     24
    .sgpr_spill_count: 0
    .symbol:         _ZN2at6native12_GLOBAL__N_135GammaBetaBackwardCUDAKernelTemplateIddLj32ELj32ELj256ELb0ELb1ELb1EEEvllPKT_S5_PKT0_S8_PS3_S9_.kd
    .uniform_work_group_size: 1
    .uses_dynamic_stack: false
    .vgpr_count:     56
    .vgpr_spill_count: 0
    .wavefront_size: 32
  - .args:
      - .offset:         0
        .size:           8
        .value_kind:     by_value
      - .offset:         8
        .size:           8
        .value_kind:     by_value
      - .actual_access:  read_only
        .address_space:  global
        .offset:         16
        .size:           8
        .value_kind:     global_buffer
      - .actual_access:  read_only
        .address_space:  global
        .offset:         24
        .size:           8
        .value_kind:     global_buffer
      - .actual_access:  read_only
        .address_space:  global
        .offset:         32
        .size:           8
        .value_kind:     global_buffer
      - .actual_access:  read_only
        .address_space:  global
        .offset:         40
        .size:           8
        .value_kind:     global_buffer
      - .actual_access:  write_only
        .address_space:  global
        .offset:         48
        .size:           8
        .value_kind:     global_buffer
      - .actual_access:  read_only
        .address_space:  global
        .offset:         56
        .size:           8
        .value_kind:     global_buffer
      - .offset:         64
        .size:           4
        .value_kind:     hidden_block_count_x
      - .offset:         68
        .size:           4
        .value_kind:     hidden_block_count_y
      - .offset:         72
        .size:           4
        .value_kind:     hidden_block_count_z
      - .offset:         76
        .size:           2
        .value_kind:     hidden_group_size_x
      - .offset:         78
        .size:           2
        .value_kind:     hidden_group_size_y
      - .offset:         80
        .size:           2
        .value_kind:     hidden_group_size_z
      - .offset:         82
        .size:           2
        .value_kind:     hidden_remainder_x
      - .offset:         84
        .size:           2
        .value_kind:     hidden_remainder_y
      - .offset:         86
        .size:           2
        .value_kind:     hidden_remainder_z
      - .offset:         104
        .size:           8
        .value_kind:     hidden_global_offset_x
      - .offset:         112
        .size:           8
        .value_kind:     hidden_global_offset_y
      - .offset:         120
        .size:           8
        .value_kind:     hidden_global_offset_z
      - .offset:         128
        .size:           2
        .value_kind:     hidden_grid_dims
      - .offset:         184
        .size:           4
        .value_kind:     hidden_dynamic_lds_size
    .group_segment_fixed_size: 0
    .kernarg_segment_align: 8
    .kernarg_segment_size: 320
    .language:       OpenCL C
    .language_version:
      - 2
      - 0
    .max_flat_workgroup_size: 1024
    .name:           _ZN2at6native12_GLOBAL__N_135GammaBetaBackwardCUDAKernelTemplateIddLj32ELj32ELj256ELb0ELb0ELb1EEEvllPKT_S5_PKT0_S8_PS3_S9_
    .private_segment_fixed_size: 0
    .sgpr_count:     52
    .sgpr_spill_count: 0
    .symbol:         _ZN2at6native12_GLOBAL__N_135GammaBetaBackwardCUDAKernelTemplateIddLj32ELj32ELj256ELb0ELb0ELb1EEEvllPKT_S5_PKT0_S8_PS3_S9_.kd
    .uniform_work_group_size: 1
    .uses_dynamic_stack: false
    .vgpr_count:     121
    .vgpr_spill_count: 0
    .wavefront_size: 32
  - .args:
      - .actual_access:  read_only
        .address_space:  global
        .offset:         0
        .size:           8
        .value_kind:     global_buffer
      - .actual_access:  read_only
        .address_space:  global
        .offset:         8
        .size:           8
        .value_kind:     global_buffer
      - .offset:         16
        .size:           8
        .value_kind:     by_value
      - .offset:         24
        .size:           8
        .value_kind:     by_value
      - .actual_access:  read_only
        .address_space:  global
        .offset:         32
        .size:           8
        .value_kind:     global_buffer
      - .actual_access:  read_only
        .address_space:  global
        .offset:         40
        .size:           8
        .value_kind:     global_buffer
      - .address_space:  global
        .offset:         48
        .size:           8
        .value_kind:     global_buffer
      - .address_space:  global
        .offset:         56
        .size:           8
        .value_kind:     global_buffer
      - .offset:         64
        .size:           4
        .value_kind:     hidden_block_count_x
      - .offset:         68
        .size:           4
        .value_kind:     hidden_block_count_y
      - .offset:         72
        .size:           4
        .value_kind:     hidden_block_count_z
      - .offset:         76
        .size:           2
        .value_kind:     hidden_group_size_x
      - .offset:         78
        .size:           2
        .value_kind:     hidden_group_size_y
      - .offset:         80
        .size:           2
        .value_kind:     hidden_group_size_z
      - .offset:         82
        .size:           2
        .value_kind:     hidden_remainder_x
      - .offset:         84
        .size:           2
        .value_kind:     hidden_remainder_y
      - .offset:         86
        .size:           2
        .value_kind:     hidden_remainder_z
      - .offset:         104
        .size:           8
        .value_kind:     hidden_global_offset_x
      - .offset:         112
        .size:           8
        .value_kind:     hidden_global_offset_y
      - .offset:         120
        .size:           8
        .value_kind:     hidden_global_offset_z
      - .offset:         128
        .size:           2
        .value_kind:     hidden_grid_dims
      - .offset:         184
        .size:           4
        .value_kind:     hidden_dynamic_lds_size
    .group_segment_fixed_size: 0
    .kernarg_segment_align: 8
    .kernarg_segment_size: 320
    .language:       OpenCL C
    .language_version:
      - 2
      - 0
    .max_flat_workgroup_size: 1024
    .name:           _ZN2at6native12_GLOBAL__N_118cuComputeGradInputIffLb1EEEvPKT_S5_llPKT0_S8_S5_PS3_
    .private_segment_fixed_size: 0
    .sgpr_count:     41
    .sgpr_spill_count: 0
    .symbol:         _ZN2at6native12_GLOBAL__N_118cuComputeGradInputIffLb1EEEvPKT_S5_llPKT0_S8_S5_PS3_.kd
    .uniform_work_group_size: 1
    .uses_dynamic_stack: false
    .vgpr_count:     28
    .vgpr_spill_count: 0
    .wavefront_size: 32
  - .args:
      - .actual_access:  read_only
        .address_space:  global
        .offset:         0
        .size:           8
        .value_kind:     global_buffer
      - .actual_access:  read_only
        .address_space:  global
        .offset:         8
        .size:           8
        .value_kind:     global_buffer
      - .actual_access:  read_only
        .address_space:  global
        .offset:         16
        .size:           8
        .value_kind:     global_buffer
      - .actual_access:  read_only
        .address_space:  global
        .offset:         24
        .size:           8
        .value_kind:     global_buffer
      - .actual_access:  read_only
        .address_space:  global
        .offset:         32
        .size:           8
        .value_kind:     global_buffer
      - .address_space:  global
        .offset:         40
        .size:           8
        .value_kind:     global_buffer
      - .offset:         48
        .size:           4
        .value_kind:     by_value
      - .offset:         56
        .size:           4
        .value_kind:     hidden_block_count_x
      - .offset:         60
        .size:           4
        .value_kind:     hidden_block_count_y
      - .offset:         64
        .size:           4
        .value_kind:     hidden_block_count_z
      - .offset:         68
        .size:           2
        .value_kind:     hidden_group_size_x
      - .offset:         70
        .size:           2
        .value_kind:     hidden_group_size_y
      - .offset:         72
        .size:           2
        .value_kind:     hidden_group_size_z
      - .offset:         74
        .size:           2
        .value_kind:     hidden_remainder_x
      - .offset:         76
        .size:           2
        .value_kind:     hidden_remainder_y
      - .offset:         78
        .size:           2
        .value_kind:     hidden_remainder_z
      - .offset:         96
        .size:           8
        .value_kind:     hidden_global_offset_x
      - .offset:         104
        .size:           8
        .value_kind:     hidden_global_offset_y
      - .offset:         112
        .size:           8
        .value_kind:     hidden_global_offset_z
      - .offset:         120
        .size:           2
        .value_kind:     hidden_grid_dims
      - .offset:         176
        .size:           4
        .value_kind:     hidden_dynamic_lds_size
    .group_segment_fixed_size: 0
    .kernarg_segment_align: 8
    .kernarg_segment_size: 312
    .language:       OpenCL C
    .language_version:
      - 2
      - 0
    .max_flat_workgroup_size: 1024
    .name:           _ZN2at6native12_GLOBAL__N_128layer_norm_grad_input_kernelIffLb1EEEvPKT_S5_PKT0_S8_S5_PS3_i
    .private_segment_fixed_size: 0
    .sgpr_count:     24
    .sgpr_spill_count: 0
    .symbol:         _ZN2at6native12_GLOBAL__N_128layer_norm_grad_input_kernelIffLb1EEEvPKT_S5_PKT0_S8_S5_PS3_i.kd
    .uniform_work_group_size: 1
    .uses_dynamic_stack: false
    .vgpr_count:     20
    .vgpr_spill_count: 0
    .wavefront_size: 32
  - .args:
      - .offset:         0
        .size:           8
        .value_kind:     by_value
      - .offset:         8
        .size:           8
        .value_kind:     by_value
      - .address_space:  global
        .offset:         16
        .size:           8
        .value_kind:     global_buffer
      - .address_space:  global
        .offset:         24
        .size:           8
        .value_kind:     global_buffer
      - .address_space:  global
        .offset:         32
        .size:           8
        .value_kind:     global_buffer
      - .address_space:  global
        .offset:         40
        .size:           8
        .value_kind:     global_buffer
      - .address_space:  global
        .offset:         48
        .size:           8
        .value_kind:     global_buffer
      - .address_space:  global
        .offset:         56
        .size:           8
        .value_kind:     global_buffer
      - .offset:         64
        .size:           4
        .value_kind:     hidden_block_count_x
      - .offset:         68
        .size:           4
        .value_kind:     hidden_block_count_y
      - .offset:         72
        .size:           4
        .value_kind:     hidden_block_count_z
      - .offset:         76
        .size:           2
        .value_kind:     hidden_group_size_x
      - .offset:         78
        .size:           2
        .value_kind:     hidden_group_size_y
      - .offset:         80
        .size:           2
        .value_kind:     hidden_group_size_z
      - .offset:         82
        .size:           2
        .value_kind:     hidden_remainder_x
      - .offset:         84
        .size:           2
        .value_kind:     hidden_remainder_y
      - .offset:         86
        .size:           2
        .value_kind:     hidden_remainder_z
      - .offset:         104
        .size:           8
        .value_kind:     hidden_global_offset_x
      - .offset:         112
        .size:           8
        .value_kind:     hidden_global_offset_y
      - .offset:         120
        .size:           8
        .value_kind:     hidden_global_offset_z
      - .offset:         128
        .size:           2
        .value_kind:     hidden_grid_dims
    .group_segment_fixed_size: 0
    .kernarg_segment_align: 8
    .kernarg_segment_size: 320
    .language:       OpenCL C
    .language_version:
      - 2
      - 0
    .max_flat_workgroup_size: 1024
    .name:           _ZN2at6native12_GLOBAL__N_133GammaBetaBackwardSimpleCUDAKernelIffLb1EEEvllPKT_S5_PKT0_S8_PS3_S9_
    .private_segment_fixed_size: 0
    .sgpr_count:     18
    .sgpr_spill_count: 0
    .symbol:         _ZN2at6native12_GLOBAL__N_133GammaBetaBackwardSimpleCUDAKernelIffLb1EEEvllPKT_S5_PKT0_S8_PS3_S9_.kd
    .uniform_work_group_size: 1
    .uses_dynamic_stack: false
    .vgpr_count:     11
    .vgpr_spill_count: 0
    .wavefront_size: 32
  - .args:
      - .offset:         0
        .size:           8
        .value_kind:     by_value
      - .offset:         8
        .size:           8
        .value_kind:     by_value
      - .actual_access:  read_only
        .address_space:  global
        .offset:         16
        .size:           8
        .value_kind:     global_buffer
      - .actual_access:  read_only
        .address_space:  global
        .offset:         24
        .size:           8
        .value_kind:     global_buffer
      - .actual_access:  read_only
        .address_space:  global
        .offset:         32
        .size:           8
        .value_kind:     global_buffer
      - .actual_access:  read_only
        .address_space:  global
        .offset:         40
        .size:           8
        .value_kind:     global_buffer
      - .actual_access:  write_only
        .address_space:  global
        .offset:         48
        .size:           8
        .value_kind:     global_buffer
      - .actual_access:  read_only
        .address_space:  global
        .offset:         56
        .size:           8
        .value_kind:     global_buffer
      - .offset:         64
        .size:           4
        .value_kind:     hidden_block_count_x
      - .offset:         68
        .size:           4
        .value_kind:     hidden_block_count_y
      - .offset:         72
        .size:           4
        .value_kind:     hidden_block_count_z
      - .offset:         76
        .size:           2
        .value_kind:     hidden_group_size_x
      - .offset:         78
        .size:           2
        .value_kind:     hidden_group_size_y
      - .offset:         80
        .size:           2
        .value_kind:     hidden_group_size_z
      - .offset:         82
        .size:           2
        .value_kind:     hidden_remainder_x
      - .offset:         84
        .size:           2
        .value_kind:     hidden_remainder_y
      - .offset:         86
        .size:           2
        .value_kind:     hidden_remainder_z
      - .offset:         104
        .size:           8
        .value_kind:     hidden_global_offset_x
      - .offset:         112
        .size:           8
        .value_kind:     hidden_global_offset_y
      - .offset:         120
        .size:           8
        .value_kind:     hidden_global_offset_z
      - .offset:         128
        .size:           2
        .value_kind:     hidden_grid_dims
    .group_segment_fixed_size: 0
    .kernarg_segment_align: 8
    .kernarg_segment_size: 320
    .language:       OpenCL C
    .language_version:
      - 2
      - 0
    .max_flat_workgroup_size: 64
    .name:           _ZN2at6native12_GLOBAL__N_135GammaBetaBackwardCUDAKernelTemplateIffLj64ELj1ELj32ELb1ELb1ELb1EEEvllPKT_S5_PKT0_S8_PS3_S9_
    .private_segment_fixed_size: 0
    .sgpr_count:     25
    .sgpr_spill_count: 0
    .symbol:         _ZN2at6native12_GLOBAL__N_135GammaBetaBackwardCUDAKernelTemplateIffLj64ELj1ELj32ELb1ELb1ELb1EEEvllPKT_S5_PKT0_S8_PS3_S9_.kd
    .uniform_work_group_size: 1
    .uses_dynamic_stack: false
    .vgpr_count:     98
    .vgpr_spill_count: 0
    .wavefront_size: 32
  - .args:
      - .offset:         0
        .size:           8
        .value_kind:     by_value
      - .offset:         8
        .size:           8
        .value_kind:     by_value
      - .actual_access:  read_only
        .address_space:  global
        .offset:         16
        .size:           8
        .value_kind:     global_buffer
      - .actual_access:  read_only
        .address_space:  global
        .offset:         24
        .size:           8
        .value_kind:     global_buffer
      - .actual_access:  read_only
        .address_space:  global
        .offset:         32
        .size:           8
        .value_kind:     global_buffer
      - .actual_access:  read_only
        .address_space:  global
        .offset:         40
        .size:           8
        .value_kind:     global_buffer
      - .actual_access:  write_only
        .address_space:  global
        .offset:         48
        .size:           8
        .value_kind:     global_buffer
      - .actual_access:  read_only
        .address_space:  global
        .offset:         56
        .size:           8
        .value_kind:     global_buffer
      - .offset:         64
        .size:           4
        .value_kind:     hidden_block_count_x
      - .offset:         68
        .size:           4
        .value_kind:     hidden_block_count_y
      - .offset:         72
        .size:           4
        .value_kind:     hidden_block_count_z
      - .offset:         76
        .size:           2
        .value_kind:     hidden_group_size_x
      - .offset:         78
        .size:           2
        .value_kind:     hidden_group_size_y
      - .offset:         80
        .size:           2
        .value_kind:     hidden_group_size_z
      - .offset:         82
        .size:           2
        .value_kind:     hidden_remainder_x
      - .offset:         84
        .size:           2
        .value_kind:     hidden_remainder_y
      - .offset:         86
        .size:           2
        .value_kind:     hidden_remainder_z
      - .offset:         104
        .size:           8
        .value_kind:     hidden_global_offset_x
      - .offset:         112
        .size:           8
        .value_kind:     hidden_global_offset_y
      - .offset:         120
        .size:           8
        .value_kind:     hidden_global_offset_z
      - .offset:         128
        .size:           2
        .value_kind:     hidden_grid_dims
    .group_segment_fixed_size: 0
    .kernarg_segment_align: 8
    .kernarg_segment_size: 320
    .language:       OpenCL C
    .language_version:
      - 2
      - 0
    .max_flat_workgroup_size: 64
    .name:           _ZN2at6native12_GLOBAL__N_135GammaBetaBackwardCUDAKernelTemplateIffLj64ELj1ELj32ELb1ELb0ELb1EEEvllPKT_S5_PKT0_S8_PS3_S9_
    .private_segment_fixed_size: 0
    .sgpr_count:     38
    .sgpr_spill_count: 0
    .symbol:         _ZN2at6native12_GLOBAL__N_135GammaBetaBackwardCUDAKernelTemplateIffLj64ELj1ELj32ELb1ELb0ELb1EEEvllPKT_S5_PKT0_S8_PS3_S9_.kd
    .uniform_work_group_size: 1
    .uses_dynamic_stack: false
    .vgpr_count:     334
    .vgpr_spill_count: 0
    .wavefront_size: 32
  - .args:
      - .offset:         0
        .size:           8
        .value_kind:     by_value
      - .offset:         8
        .size:           8
        .value_kind:     by_value
      - .actual_access:  read_only
        .address_space:  global
        .offset:         16
        .size:           8
        .value_kind:     global_buffer
      - .actual_access:  read_only
        .address_space:  global
        .offset:         24
        .size:           8
        .value_kind:     global_buffer
      - .actual_access:  read_only
        .address_space:  global
        .offset:         32
        .size:           8
        .value_kind:     global_buffer
      - .actual_access:  read_only
        .address_space:  global
        .offset:         40
        .size:           8
        .value_kind:     global_buffer
      - .actual_access:  write_only
        .address_space:  global
        .offset:         48
        .size:           8
        .value_kind:     global_buffer
      - .actual_access:  read_only
        .address_space:  global
        .offset:         56
        .size:           8
        .value_kind:     global_buffer
      - .offset:         64
        .size:           4
        .value_kind:     hidden_block_count_x
      - .offset:         68
        .size:           4
        .value_kind:     hidden_block_count_y
      - .offset:         72
        .size:           4
        .value_kind:     hidden_block_count_z
      - .offset:         76
        .size:           2
        .value_kind:     hidden_group_size_x
      - .offset:         78
        .size:           2
        .value_kind:     hidden_group_size_y
      - .offset:         80
        .size:           2
        .value_kind:     hidden_group_size_z
      - .offset:         82
        .size:           2
        .value_kind:     hidden_remainder_x
      - .offset:         84
        .size:           2
        .value_kind:     hidden_remainder_y
      - .offset:         86
        .size:           2
        .value_kind:     hidden_remainder_z
      - .offset:         104
        .size:           8
        .value_kind:     hidden_global_offset_x
      - .offset:         112
        .size:           8
        .value_kind:     hidden_global_offset_y
      - .offset:         120
        .size:           8
        .value_kind:     hidden_global_offset_z
      - .offset:         128
        .size:           2
        .value_kind:     hidden_grid_dims
    .group_segment_fixed_size: 0
    .kernarg_segment_align: 8
    .kernarg_segment_size: 320
    .language:       OpenCL C
    .language_version:
      - 2
      - 0
    .max_flat_workgroup_size: 64
    .name:           _ZN2at6native12_GLOBAL__N_135GammaBetaBackwardCUDAKernelTemplateIffLj64ELj1ELj8ELb1ELb1ELb1EEEvllPKT_S5_PKT0_S8_PS3_S9_
    .private_segment_fixed_size: 0
    .sgpr_count:     27
    .sgpr_spill_count: 0
    .symbol:         _ZN2at6native12_GLOBAL__N_135GammaBetaBackwardCUDAKernelTemplateIffLj64ELj1ELj8ELb1ELb1ELb1EEEvllPKT_S5_PKT0_S8_PS3_S9_.kd
    .uniform_work_group_size: 1
    .uses_dynamic_stack: false
    .vgpr_count:     42
    .vgpr_spill_count: 0
    .wavefront_size: 32
  - .args:
      - .offset:         0
        .size:           8
        .value_kind:     by_value
      - .offset:         8
        .size:           8
        .value_kind:     by_value
      - .actual_access:  read_only
        .address_space:  global
        .offset:         16
        .size:           8
        .value_kind:     global_buffer
      - .actual_access:  read_only
        .address_space:  global
        .offset:         24
        .size:           8
        .value_kind:     global_buffer
      - .actual_access:  read_only
        .address_space:  global
        .offset:         32
        .size:           8
        .value_kind:     global_buffer
      - .actual_access:  read_only
        .address_space:  global
        .offset:         40
        .size:           8
        .value_kind:     global_buffer
      - .actual_access:  write_only
        .address_space:  global
        .offset:         48
        .size:           8
        .value_kind:     global_buffer
      - .actual_access:  read_only
        .address_space:  global
        .offset:         56
        .size:           8
        .value_kind:     global_buffer
      - .offset:         64
        .size:           4
        .value_kind:     hidden_block_count_x
      - .offset:         68
        .size:           4
        .value_kind:     hidden_block_count_y
      - .offset:         72
        .size:           4
        .value_kind:     hidden_block_count_z
      - .offset:         76
        .size:           2
        .value_kind:     hidden_group_size_x
      - .offset:         78
        .size:           2
        .value_kind:     hidden_group_size_y
      - .offset:         80
        .size:           2
        .value_kind:     hidden_group_size_z
      - .offset:         82
        .size:           2
        .value_kind:     hidden_remainder_x
      - .offset:         84
        .size:           2
        .value_kind:     hidden_remainder_y
      - .offset:         86
        .size:           2
        .value_kind:     hidden_remainder_z
      - .offset:         104
        .size:           8
        .value_kind:     hidden_global_offset_x
      - .offset:         112
        .size:           8
        .value_kind:     hidden_global_offset_y
      - .offset:         120
        .size:           8
        .value_kind:     hidden_global_offset_z
      - .offset:         128
        .size:           2
        .value_kind:     hidden_grid_dims
    .group_segment_fixed_size: 0
    .kernarg_segment_align: 8
    .kernarg_segment_size: 320
    .language:       OpenCL C
    .language_version:
      - 2
      - 0
    .max_flat_workgroup_size: 64
    .name:           _ZN2at6native12_GLOBAL__N_135GammaBetaBackwardCUDAKernelTemplateIffLj64ELj1ELj8ELb1ELb0ELb1EEEvllPKT_S5_PKT0_S8_PS3_S9_
    .private_segment_fixed_size: 0
    .sgpr_count:     38
    .sgpr_spill_count: 0
    .symbol:         _ZN2at6native12_GLOBAL__N_135GammaBetaBackwardCUDAKernelTemplateIffLj64ELj1ELj8ELb1ELb0ELb1EEEvllPKT_S5_PKT0_S8_PS3_S9_.kd
    .uniform_work_group_size: 1
    .uses_dynamic_stack: false
    .vgpr_count:     95
    .vgpr_spill_count: 0
    .wavefront_size: 32
  - .args:
      - .offset:         0
        .size:           8
        .value_kind:     by_value
      - .offset:         8
        .size:           8
        .value_kind:     by_value
      - .actual_access:  read_only
        .address_space:  global
        .offset:         16
        .size:           8
        .value_kind:     global_buffer
      - .actual_access:  read_only
        .address_space:  global
        .offset:         24
        .size:           8
        .value_kind:     global_buffer
      - .actual_access:  read_only
        .address_space:  global
        .offset:         32
        .size:           8
        .value_kind:     global_buffer
      - .actual_access:  read_only
        .address_space:  global
        .offset:         40
        .size:           8
        .value_kind:     global_buffer
      - .actual_access:  write_only
        .address_space:  global
        .offset:         48
        .size:           8
        .value_kind:     global_buffer
      - .actual_access:  read_only
        .address_space:  global
        .offset:         56
        .size:           8
        .value_kind:     global_buffer
      - .offset:         64
        .size:           4
        .value_kind:     hidden_block_count_x
      - .offset:         68
        .size:           4
        .value_kind:     hidden_block_count_y
      - .offset:         72
        .size:           4
        .value_kind:     hidden_block_count_z
      - .offset:         76
        .size:           2
        .value_kind:     hidden_group_size_x
      - .offset:         78
        .size:           2
        .value_kind:     hidden_group_size_y
      - .offset:         80
        .size:           2
        .value_kind:     hidden_group_size_z
      - .offset:         82
        .size:           2
        .value_kind:     hidden_remainder_x
      - .offset:         84
        .size:           2
        .value_kind:     hidden_remainder_y
      - .offset:         86
        .size:           2
        .value_kind:     hidden_remainder_z
      - .offset:         104
        .size:           8
        .value_kind:     hidden_global_offset_x
      - .offset:         112
        .size:           8
        .value_kind:     hidden_global_offset_y
      - .offset:         120
        .size:           8
        .value_kind:     hidden_global_offset_z
      - .offset:         128
        .size:           2
        .value_kind:     hidden_grid_dims
      - .offset:         184
        .size:           4
        .value_kind:     hidden_dynamic_lds_size
    .group_segment_fixed_size: 0
    .kernarg_segment_align: 8
    .kernarg_segment_size: 320
    .language:       OpenCL C
    .language_version:
      - 2
      - 0
    .max_flat_workgroup_size: 512
    .name:           _ZN2at6native12_GLOBAL__N_135GammaBetaBackwardCUDAKernelTemplateIffLj64ELj8ELj64ELb0ELb1ELb1EEEvllPKT_S5_PKT0_S8_PS3_S9_
    .private_segment_fixed_size: 0
    .sgpr_count:     24
    .sgpr_spill_count: 0
    .symbol:         _ZN2at6native12_GLOBAL__N_135GammaBetaBackwardCUDAKernelTemplateIffLj64ELj8ELj64ELb0ELb1ELb1EEEvllPKT_S5_PKT0_S8_PS3_S9_.kd
    .uniform_work_group_size: 1
    .uses_dynamic_stack: false
    .vgpr_count:     42
    .vgpr_spill_count: 0
    .wavefront_size: 32
  - .args:
      - .offset:         0
        .size:           8
        .value_kind:     by_value
      - .offset:         8
        .size:           8
        .value_kind:     by_value
      - .actual_access:  read_only
        .address_space:  global
        .offset:         16
        .size:           8
        .value_kind:     global_buffer
      - .actual_access:  read_only
        .address_space:  global
        .offset:         24
        .size:           8
        .value_kind:     global_buffer
      - .actual_access:  read_only
        .address_space:  global
        .offset:         32
        .size:           8
        .value_kind:     global_buffer
      - .actual_access:  read_only
        .address_space:  global
        .offset:         40
        .size:           8
        .value_kind:     global_buffer
      - .actual_access:  write_only
        .address_space:  global
        .offset:         48
        .size:           8
        .value_kind:     global_buffer
      - .actual_access:  read_only
        .address_space:  global
        .offset:         56
        .size:           8
        .value_kind:     global_buffer
      - .offset:         64
        .size:           4
        .value_kind:     hidden_block_count_x
      - .offset:         68
        .size:           4
        .value_kind:     hidden_block_count_y
      - .offset:         72
        .size:           4
        .value_kind:     hidden_block_count_z
      - .offset:         76
        .size:           2
        .value_kind:     hidden_group_size_x
      - .offset:         78
        .size:           2
        .value_kind:     hidden_group_size_y
      - .offset:         80
        .size:           2
        .value_kind:     hidden_group_size_z
      - .offset:         82
        .size:           2
        .value_kind:     hidden_remainder_x
      - .offset:         84
        .size:           2
        .value_kind:     hidden_remainder_y
      - .offset:         86
        .size:           2
        .value_kind:     hidden_remainder_z
      - .offset:         104
        .size:           8
        .value_kind:     hidden_global_offset_x
      - .offset:         112
        .size:           8
        .value_kind:     hidden_global_offset_y
      - .offset:         120
        .size:           8
        .value_kind:     hidden_global_offset_z
      - .offset:         128
        .size:           2
        .value_kind:     hidden_grid_dims
      - .offset:         184
        .size:           4
        .value_kind:     hidden_dynamic_lds_size
    .group_segment_fixed_size: 0
    .kernarg_segment_align: 8
    .kernarg_segment_size: 320
    .language:       OpenCL C
    .language_version:
      - 2
      - 0
    .max_flat_workgroup_size: 512
    .name:           _ZN2at6native12_GLOBAL__N_135GammaBetaBackwardCUDAKernelTemplateIffLj64ELj8ELj64ELb0ELb0ELb1EEEvllPKT_S5_PKT0_S8_PS3_S9_
    .private_segment_fixed_size: 0
    .sgpr_count:     52
    .sgpr_spill_count: 0
    .symbol:         _ZN2at6native12_GLOBAL__N_135GammaBetaBackwardCUDAKernelTemplateIffLj64ELj8ELj64ELb0ELb0ELb1EEEvllPKT_S5_PKT0_S8_PS3_S9_.kd
    .uniform_work_group_size: 1
    .uses_dynamic_stack: false
    .vgpr_count:     95
    .vgpr_spill_count: 0
    .wavefront_size: 32
  - .args:
      - .offset:         0
        .size:           8
        .value_kind:     by_value
      - .offset:         8
        .size:           8
        .value_kind:     by_value
      - .actual_access:  read_only
        .address_space:  global
        .offset:         16
        .size:           8
        .value_kind:     global_buffer
      - .actual_access:  read_only
        .address_space:  global
        .offset:         24
        .size:           8
        .value_kind:     global_buffer
      - .actual_access:  read_only
        .address_space:  global
        .offset:         32
        .size:           8
        .value_kind:     global_buffer
      - .actual_access:  read_only
        .address_space:  global
        .offset:         40
        .size:           8
        .value_kind:     global_buffer
      - .actual_access:  write_only
        .address_space:  global
        .offset:         48
        .size:           8
        .value_kind:     global_buffer
      - .actual_access:  read_only
        .address_space:  global
        .offset:         56
        .size:           8
        .value_kind:     global_buffer
      - .offset:         64
        .size:           4
        .value_kind:     hidden_block_count_x
      - .offset:         68
        .size:           4
        .value_kind:     hidden_block_count_y
      - .offset:         72
        .size:           4
        .value_kind:     hidden_block_count_z
      - .offset:         76
        .size:           2
        .value_kind:     hidden_group_size_x
      - .offset:         78
        .size:           2
        .value_kind:     hidden_group_size_y
      - .offset:         80
        .size:           2
        .value_kind:     hidden_group_size_z
      - .offset:         82
        .size:           2
        .value_kind:     hidden_remainder_x
      - .offset:         84
        .size:           2
        .value_kind:     hidden_remainder_y
      - .offset:         86
        .size:           2
        .value_kind:     hidden_remainder_z
      - .offset:         104
        .size:           8
        .value_kind:     hidden_global_offset_x
      - .offset:         112
        .size:           8
        .value_kind:     hidden_global_offset_y
      - .offset:         120
        .size:           8
        .value_kind:     hidden_global_offset_z
      - .offset:         128
        .size:           2
        .value_kind:     hidden_grid_dims
      - .offset:         184
        .size:           4
        .value_kind:     hidden_dynamic_lds_size
    .group_segment_fixed_size: 0
    .kernarg_segment_align: 8
    .kernarg_segment_size: 320
    .language:       OpenCL C
    .language_version:
      - 2
      - 0
    .max_flat_workgroup_size: 1024
    .name:           _ZN2at6native12_GLOBAL__N_135GammaBetaBackwardCUDAKernelTemplateIffLj64ELj16ELj128ELb0ELb1ELb1EEEvllPKT_S5_PKT0_S8_PS3_S9_
    .private_segment_fixed_size: 0
    .sgpr_count:     24
    .sgpr_spill_count: 0
    .symbol:         _ZN2at6native12_GLOBAL__N_135GammaBetaBackwardCUDAKernelTemplateIffLj64ELj16ELj128ELb0ELb1ELb1EEEvllPKT_S5_PKT0_S8_PS3_S9_.kd
    .uniform_work_group_size: 1
    .uses_dynamic_stack: false
    .vgpr_count:     42
    .vgpr_spill_count: 0
    .wavefront_size: 32
  - .args:
      - .offset:         0
        .size:           8
        .value_kind:     by_value
      - .offset:         8
        .size:           8
        .value_kind:     by_value
      - .actual_access:  read_only
        .address_space:  global
        .offset:         16
        .size:           8
        .value_kind:     global_buffer
      - .actual_access:  read_only
        .address_space:  global
        .offset:         24
        .size:           8
        .value_kind:     global_buffer
      - .actual_access:  read_only
        .address_space:  global
        .offset:         32
        .size:           8
        .value_kind:     global_buffer
      - .actual_access:  read_only
        .address_space:  global
        .offset:         40
        .size:           8
        .value_kind:     global_buffer
      - .actual_access:  write_only
        .address_space:  global
        .offset:         48
        .size:           8
        .value_kind:     global_buffer
      - .actual_access:  read_only
        .address_space:  global
        .offset:         56
        .size:           8
        .value_kind:     global_buffer
      - .offset:         64
        .size:           4
        .value_kind:     hidden_block_count_x
      - .offset:         68
        .size:           4
        .value_kind:     hidden_block_count_y
      - .offset:         72
        .size:           4
        .value_kind:     hidden_block_count_z
      - .offset:         76
        .size:           2
        .value_kind:     hidden_group_size_x
      - .offset:         78
        .size:           2
        .value_kind:     hidden_group_size_y
      - .offset:         80
        .size:           2
        .value_kind:     hidden_group_size_z
      - .offset:         82
        .size:           2
        .value_kind:     hidden_remainder_x
      - .offset:         84
        .size:           2
        .value_kind:     hidden_remainder_y
      - .offset:         86
        .size:           2
        .value_kind:     hidden_remainder_z
      - .offset:         104
        .size:           8
        .value_kind:     hidden_global_offset_x
      - .offset:         112
        .size:           8
        .value_kind:     hidden_global_offset_y
      - .offset:         120
        .size:           8
        .value_kind:     hidden_global_offset_z
      - .offset:         128
        .size:           2
        .value_kind:     hidden_grid_dims
      - .offset:         184
        .size:           4
        .value_kind:     hidden_dynamic_lds_size
    .group_segment_fixed_size: 0
    .kernarg_segment_align: 8
    .kernarg_segment_size: 320
    .language:       OpenCL C
    .language_version:
      - 2
      - 0
    .max_flat_workgroup_size: 1024
    .name:           _ZN2at6native12_GLOBAL__N_135GammaBetaBackwardCUDAKernelTemplateIffLj64ELj16ELj128ELb0ELb0ELb1EEEvllPKT_S5_PKT0_S8_PS3_S9_
    .private_segment_fixed_size: 0
    .sgpr_count:     52
    .sgpr_spill_count: 0
    .symbol:         _ZN2at6native12_GLOBAL__N_135GammaBetaBackwardCUDAKernelTemplateIffLj64ELj16ELj128ELb0ELb0ELb1EEEvllPKT_S5_PKT0_S8_PS3_S9_.kd
    .uniform_work_group_size: 1
    .uses_dynamic_stack: false
    .vgpr_count:     95
    .vgpr_spill_count: 0
    .wavefront_size: 32
  - .args:
      - .offset:         0
        .size:           8
        .value_kind:     by_value
      - .offset:         8
        .size:           8
        .value_kind:     by_value
      - .actual_access:  read_only
        .address_space:  global
        .offset:         16
        .size:           8
        .value_kind:     global_buffer
      - .actual_access:  read_only
        .address_space:  global
        .offset:         24
        .size:           8
        .value_kind:     global_buffer
      - .actual_access:  read_only
        .address_space:  global
        .offset:         32
        .size:           8
        .value_kind:     global_buffer
      - .actual_access:  read_only
        .address_space:  global
        .offset:         40
        .size:           8
        .value_kind:     global_buffer
      - .actual_access:  write_only
        .address_space:  global
        .offset:         48
        .size:           8
        .value_kind:     global_buffer
      - .actual_access:  read_only
        .address_space:  global
        .offset:         56
        .size:           8
        .value_kind:     global_buffer
      - .offset:         64
        .size:           4
        .value_kind:     hidden_block_count_x
      - .offset:         68
        .size:           4
        .value_kind:     hidden_block_count_y
      - .offset:         72
        .size:           4
        .value_kind:     hidden_block_count_z
      - .offset:         76
        .size:           2
        .value_kind:     hidden_group_size_x
      - .offset:         78
        .size:           2
        .value_kind:     hidden_group_size_y
      - .offset:         80
        .size:           2
        .value_kind:     hidden_group_size_z
      - .offset:         82
        .size:           2
        .value_kind:     hidden_remainder_x
      - .offset:         84
        .size:           2
        .value_kind:     hidden_remainder_y
      - .offset:         86
        .size:           2
        .value_kind:     hidden_remainder_z
      - .offset:         104
        .size:           8
        .value_kind:     hidden_global_offset_x
      - .offset:         112
        .size:           8
        .value_kind:     hidden_global_offset_y
      - .offset:         120
        .size:           8
        .value_kind:     hidden_global_offset_z
      - .offset:         128
        .size:           2
        .value_kind:     hidden_grid_dims
      - .offset:         184
        .size:           4
        .value_kind:     hidden_dynamic_lds_size
    .group_segment_fixed_size: 0
    .kernarg_segment_align: 8
    .kernarg_segment_size: 320
    .language:       OpenCL C
    .language_version:
      - 2
      - 0
    .max_flat_workgroup_size: 1024
    .name:           _ZN2at6native12_GLOBAL__N_135GammaBetaBackwardCUDAKernelTemplateIffLj64ELj16ELj256ELb0ELb1ELb1EEEvllPKT_S5_PKT0_S8_PS3_S9_
    .private_segment_fixed_size: 0
    .sgpr_count:     24
    .sgpr_spill_count: 0
    .symbol:         _ZN2at6native12_GLOBAL__N_135GammaBetaBackwardCUDAKernelTemplateIffLj64ELj16ELj256ELb0ELb1ELb1EEEvllPKT_S5_PKT0_S8_PS3_S9_.kd
    .uniform_work_group_size: 1
    .uses_dynamic_stack: false
    .vgpr_count:     64
    .vgpr_spill_count: 0
    .wavefront_size: 32
  - .args:
      - .offset:         0
        .size:           8
        .value_kind:     by_value
      - .offset:         8
        .size:           8
        .value_kind:     by_value
      - .actual_access:  read_only
        .address_space:  global
        .offset:         16
        .size:           8
        .value_kind:     global_buffer
      - .actual_access:  read_only
        .address_space:  global
        .offset:         24
        .size:           8
        .value_kind:     global_buffer
      - .actual_access:  read_only
        .address_space:  global
        .offset:         32
        .size:           8
        .value_kind:     global_buffer
      - .actual_access:  read_only
        .address_space:  global
        .offset:         40
        .size:           8
        .value_kind:     global_buffer
      - .actual_access:  write_only
        .address_space:  global
        .offset:         48
        .size:           8
        .value_kind:     global_buffer
      - .actual_access:  read_only
        .address_space:  global
        .offset:         56
        .size:           8
        .value_kind:     global_buffer
      - .offset:         64
        .size:           4
        .value_kind:     hidden_block_count_x
      - .offset:         68
        .size:           4
        .value_kind:     hidden_block_count_y
      - .offset:         72
        .size:           4
        .value_kind:     hidden_block_count_z
      - .offset:         76
        .size:           2
        .value_kind:     hidden_group_size_x
      - .offset:         78
        .size:           2
        .value_kind:     hidden_group_size_y
      - .offset:         80
        .size:           2
        .value_kind:     hidden_group_size_z
      - .offset:         82
        .size:           2
        .value_kind:     hidden_remainder_x
      - .offset:         84
        .size:           2
        .value_kind:     hidden_remainder_y
      - .offset:         86
        .size:           2
        .value_kind:     hidden_remainder_z
      - .offset:         104
        .size:           8
        .value_kind:     hidden_global_offset_x
      - .offset:         112
        .size:           8
        .value_kind:     hidden_global_offset_y
      - .offset:         120
        .size:           8
        .value_kind:     hidden_global_offset_z
      - .offset:         128
        .size:           2
        .value_kind:     hidden_grid_dims
      - .offset:         184
        .size:           4
        .value_kind:     hidden_dynamic_lds_size
    .group_segment_fixed_size: 0
    .kernarg_segment_align: 8
    .kernarg_segment_size: 320
    .language:       OpenCL C
    .language_version:
      - 2
      - 0
    .max_flat_workgroup_size: 1024
    .name:           _ZN2at6native12_GLOBAL__N_135GammaBetaBackwardCUDAKernelTemplateIffLj64ELj16ELj256ELb0ELb0ELb1EEEvllPKT_S5_PKT0_S8_PS3_S9_
    .private_segment_fixed_size: 224
    .sgpr_count:     68
    .sgpr_spill_count: 0
    .symbol:         _ZN2at6native12_GLOBAL__N_135GammaBetaBackwardCUDAKernelTemplateIffLj64ELj16ELj256ELb0ELb0ELb1EEEvllPKT_S5_PKT0_S8_PS3_S9_.kd
    .uniform_work_group_size: 1
    .uses_dynamic_stack: false
    .vgpr_count:     128
    .vgpr_spill_count: 105
    .wavefront_size: 32
  - .args:
      - .offset:         0
        .size:           8
        .value_kind:     by_value
      - .offset:         8
        .size:           8
        .value_kind:     by_value
      - .actual_access:  read_only
        .address_space:  global
        .offset:         16
        .size:           8
        .value_kind:     global_buffer
      - .actual_access:  read_only
        .address_space:  global
        .offset:         24
        .size:           8
        .value_kind:     global_buffer
      - .actual_access:  read_only
        .address_space:  global
        .offset:         32
        .size:           8
        .value_kind:     global_buffer
      - .actual_access:  read_only
        .address_space:  global
        .offset:         40
        .size:           8
        .value_kind:     global_buffer
      - .actual_access:  write_only
        .address_space:  global
        .offset:         48
        .size:           8
        .value_kind:     global_buffer
      - .actual_access:  read_only
        .address_space:  global
        .offset:         56
        .size:           8
        .value_kind:     global_buffer
      - .offset:         64
        .size:           4
        .value_kind:     hidden_block_count_x
      - .offset:         68
        .size:           4
        .value_kind:     hidden_block_count_y
      - .offset:         72
        .size:           4
        .value_kind:     hidden_block_count_z
      - .offset:         76
        .size:           2
        .value_kind:     hidden_group_size_x
      - .offset:         78
        .size:           2
        .value_kind:     hidden_group_size_y
      - .offset:         80
        .size:           2
        .value_kind:     hidden_group_size_z
      - .offset:         82
        .size:           2
        .value_kind:     hidden_remainder_x
      - .offset:         84
        .size:           2
        .value_kind:     hidden_remainder_y
      - .offset:         86
        .size:           2
        .value_kind:     hidden_remainder_z
      - .offset:         104
        .size:           8
        .value_kind:     hidden_global_offset_x
      - .offset:         112
        .size:           8
        .value_kind:     hidden_global_offset_y
      - .offset:         120
        .size:           8
        .value_kind:     hidden_global_offset_z
      - .offset:         128
        .size:           2
        .value_kind:     hidden_grid_dims
    .group_segment_fixed_size: 0
    .kernarg_segment_align: 8
    .kernarg_segment_size: 320
    .language:       OpenCL C
    .language_version:
      - 2
      - 0
    .max_flat_workgroup_size: 32
    .name:           _ZN2at6native12_GLOBAL__N_135GammaBetaBackwardCUDAKernelTemplateIffLj32ELj1ELj32ELb1ELb1ELb1EEEvllPKT_S5_PKT0_S8_PS3_S9_
    .private_segment_fixed_size: 0
    .sgpr_count:     25
    .sgpr_spill_count: 0
    .symbol:         _ZN2at6native12_GLOBAL__N_135GammaBetaBackwardCUDAKernelTemplateIffLj32ELj1ELj32ELb1ELb1ELb1EEEvllPKT_S5_PKT0_S8_PS3_S9_.kd
    .uniform_work_group_size: 1
    .uses_dynamic_stack: false
    .vgpr_count:     98
    .vgpr_spill_count: 0
    .wavefront_size: 32
  - .args:
      - .offset:         0
        .size:           8
        .value_kind:     by_value
      - .offset:         8
        .size:           8
        .value_kind:     by_value
      - .actual_access:  read_only
        .address_space:  global
        .offset:         16
        .size:           8
        .value_kind:     global_buffer
      - .actual_access:  read_only
        .address_space:  global
        .offset:         24
        .size:           8
        .value_kind:     global_buffer
      - .actual_access:  read_only
        .address_space:  global
        .offset:         32
        .size:           8
        .value_kind:     global_buffer
      - .actual_access:  read_only
        .address_space:  global
        .offset:         40
        .size:           8
        .value_kind:     global_buffer
      - .actual_access:  write_only
        .address_space:  global
        .offset:         48
        .size:           8
        .value_kind:     global_buffer
      - .actual_access:  read_only
        .address_space:  global
        .offset:         56
        .size:           8
        .value_kind:     global_buffer
      - .offset:         64
        .size:           4
        .value_kind:     hidden_block_count_x
      - .offset:         68
        .size:           4
        .value_kind:     hidden_block_count_y
      - .offset:         72
        .size:           4
        .value_kind:     hidden_block_count_z
      - .offset:         76
        .size:           2
        .value_kind:     hidden_group_size_x
      - .offset:         78
        .size:           2
        .value_kind:     hidden_group_size_y
      - .offset:         80
        .size:           2
        .value_kind:     hidden_group_size_z
      - .offset:         82
        .size:           2
        .value_kind:     hidden_remainder_x
      - .offset:         84
        .size:           2
        .value_kind:     hidden_remainder_y
      - .offset:         86
        .size:           2
        .value_kind:     hidden_remainder_z
      - .offset:         104
        .size:           8
        .value_kind:     hidden_global_offset_x
      - .offset:         112
        .size:           8
        .value_kind:     hidden_global_offset_y
      - .offset:         120
        .size:           8
        .value_kind:     hidden_global_offset_z
      - .offset:         128
        .size:           2
        .value_kind:     hidden_grid_dims
    .group_segment_fixed_size: 0
    .kernarg_segment_align: 8
    .kernarg_segment_size: 320
    .language:       OpenCL C
    .language_version:
      - 2
      - 0
    .max_flat_workgroup_size: 32
    .name:           _ZN2at6native12_GLOBAL__N_135GammaBetaBackwardCUDAKernelTemplateIffLj32ELj1ELj32ELb1ELb0ELb1EEEvllPKT_S5_PKT0_S8_PS3_S9_
    .private_segment_fixed_size: 0
    .sgpr_count:     38
    .sgpr_spill_count: 0
    .symbol:         _ZN2at6native12_GLOBAL__N_135GammaBetaBackwardCUDAKernelTemplateIffLj32ELj1ELj32ELb1ELb0ELb1EEEvllPKT_S5_PKT0_S8_PS3_S9_.kd
    .uniform_work_group_size: 1
    .uses_dynamic_stack: false
    .vgpr_count:     334
    .vgpr_spill_count: 0
    .wavefront_size: 32
  - .args:
      - .offset:         0
        .size:           8
        .value_kind:     by_value
      - .offset:         8
        .size:           8
        .value_kind:     by_value
      - .actual_access:  read_only
        .address_space:  global
        .offset:         16
        .size:           8
        .value_kind:     global_buffer
      - .actual_access:  read_only
        .address_space:  global
        .offset:         24
        .size:           8
        .value_kind:     global_buffer
      - .actual_access:  read_only
        .address_space:  global
        .offset:         32
        .size:           8
        .value_kind:     global_buffer
      - .actual_access:  read_only
        .address_space:  global
        .offset:         40
        .size:           8
        .value_kind:     global_buffer
      - .actual_access:  write_only
        .address_space:  global
        .offset:         48
        .size:           8
        .value_kind:     global_buffer
      - .actual_access:  read_only
        .address_space:  global
        .offset:         56
        .size:           8
        .value_kind:     global_buffer
      - .offset:         64
        .size:           4
        .value_kind:     hidden_block_count_x
      - .offset:         68
        .size:           4
        .value_kind:     hidden_block_count_y
      - .offset:         72
        .size:           4
        .value_kind:     hidden_block_count_z
      - .offset:         76
        .size:           2
        .value_kind:     hidden_group_size_x
      - .offset:         78
        .size:           2
        .value_kind:     hidden_group_size_y
      - .offset:         80
        .size:           2
        .value_kind:     hidden_group_size_z
      - .offset:         82
        .size:           2
        .value_kind:     hidden_remainder_x
      - .offset:         84
        .size:           2
        .value_kind:     hidden_remainder_y
      - .offset:         86
        .size:           2
        .value_kind:     hidden_remainder_z
      - .offset:         104
        .size:           8
        .value_kind:     hidden_global_offset_x
      - .offset:         112
        .size:           8
        .value_kind:     hidden_global_offset_y
      - .offset:         120
        .size:           8
        .value_kind:     hidden_global_offset_z
      - .offset:         128
        .size:           2
        .value_kind:     hidden_grid_dims
    .group_segment_fixed_size: 0
    .kernarg_segment_align: 8
    .kernarg_segment_size: 320
    .language:       OpenCL C
    .language_version:
      - 2
      - 0
    .max_flat_workgroup_size: 32
    .name:           _ZN2at6native12_GLOBAL__N_135GammaBetaBackwardCUDAKernelTemplateIffLj32ELj1ELj8ELb1ELb1ELb1EEEvllPKT_S5_PKT0_S8_PS3_S9_
    .private_segment_fixed_size: 0
    .sgpr_count:     27
    .sgpr_spill_count: 0
    .symbol:         _ZN2at6native12_GLOBAL__N_135GammaBetaBackwardCUDAKernelTemplateIffLj32ELj1ELj8ELb1ELb1ELb1EEEvllPKT_S5_PKT0_S8_PS3_S9_.kd
    .uniform_work_group_size: 1
    .uses_dynamic_stack: false
    .vgpr_count:     42
    .vgpr_spill_count: 0
    .wavefront_size: 32
  - .args:
      - .offset:         0
        .size:           8
        .value_kind:     by_value
      - .offset:         8
        .size:           8
        .value_kind:     by_value
      - .actual_access:  read_only
        .address_space:  global
        .offset:         16
        .size:           8
        .value_kind:     global_buffer
      - .actual_access:  read_only
        .address_space:  global
        .offset:         24
        .size:           8
        .value_kind:     global_buffer
      - .actual_access:  read_only
        .address_space:  global
        .offset:         32
        .size:           8
        .value_kind:     global_buffer
      - .actual_access:  read_only
        .address_space:  global
        .offset:         40
        .size:           8
        .value_kind:     global_buffer
      - .actual_access:  write_only
        .address_space:  global
        .offset:         48
        .size:           8
        .value_kind:     global_buffer
      - .actual_access:  read_only
        .address_space:  global
        .offset:         56
        .size:           8
        .value_kind:     global_buffer
      - .offset:         64
        .size:           4
        .value_kind:     hidden_block_count_x
      - .offset:         68
        .size:           4
        .value_kind:     hidden_block_count_y
      - .offset:         72
        .size:           4
        .value_kind:     hidden_block_count_z
      - .offset:         76
        .size:           2
        .value_kind:     hidden_group_size_x
      - .offset:         78
        .size:           2
        .value_kind:     hidden_group_size_y
      - .offset:         80
        .size:           2
        .value_kind:     hidden_group_size_z
      - .offset:         82
        .size:           2
        .value_kind:     hidden_remainder_x
      - .offset:         84
        .size:           2
        .value_kind:     hidden_remainder_y
      - .offset:         86
        .size:           2
        .value_kind:     hidden_remainder_z
      - .offset:         104
        .size:           8
        .value_kind:     hidden_global_offset_x
      - .offset:         112
        .size:           8
        .value_kind:     hidden_global_offset_y
      - .offset:         120
        .size:           8
        .value_kind:     hidden_global_offset_z
      - .offset:         128
        .size:           2
        .value_kind:     hidden_grid_dims
    .group_segment_fixed_size: 0
    .kernarg_segment_align: 8
    .kernarg_segment_size: 320
    .language:       OpenCL C
    .language_version:
      - 2
      - 0
    .max_flat_workgroup_size: 32
    .name:           _ZN2at6native12_GLOBAL__N_135GammaBetaBackwardCUDAKernelTemplateIffLj32ELj1ELj8ELb1ELb0ELb1EEEvllPKT_S5_PKT0_S8_PS3_S9_
    .private_segment_fixed_size: 0
    .sgpr_count:     38
    .sgpr_spill_count: 0
    .symbol:         _ZN2at6native12_GLOBAL__N_135GammaBetaBackwardCUDAKernelTemplateIffLj32ELj1ELj8ELb1ELb0ELb1EEEvllPKT_S5_PKT0_S8_PS3_S9_.kd
    .uniform_work_group_size: 1
    .uses_dynamic_stack: false
    .vgpr_count:     95
    .vgpr_spill_count: 0
    .wavefront_size: 32
  - .args:
      - .offset:         0
        .size:           8
        .value_kind:     by_value
      - .offset:         8
        .size:           8
        .value_kind:     by_value
      - .actual_access:  read_only
        .address_space:  global
        .offset:         16
        .size:           8
        .value_kind:     global_buffer
      - .actual_access:  read_only
        .address_space:  global
        .offset:         24
        .size:           8
        .value_kind:     global_buffer
      - .actual_access:  read_only
        .address_space:  global
        .offset:         32
        .size:           8
        .value_kind:     global_buffer
      - .actual_access:  read_only
        .address_space:  global
        .offset:         40
        .size:           8
        .value_kind:     global_buffer
      - .actual_access:  write_only
        .address_space:  global
        .offset:         48
        .size:           8
        .value_kind:     global_buffer
      - .actual_access:  read_only
        .address_space:  global
        .offset:         56
        .size:           8
        .value_kind:     global_buffer
      - .offset:         64
        .size:           4
        .value_kind:     hidden_block_count_x
      - .offset:         68
        .size:           4
        .value_kind:     hidden_block_count_y
      - .offset:         72
        .size:           4
        .value_kind:     hidden_block_count_z
      - .offset:         76
        .size:           2
        .value_kind:     hidden_group_size_x
      - .offset:         78
        .size:           2
        .value_kind:     hidden_group_size_y
      - .offset:         80
        .size:           2
        .value_kind:     hidden_group_size_z
      - .offset:         82
        .size:           2
        .value_kind:     hidden_remainder_x
      - .offset:         84
        .size:           2
        .value_kind:     hidden_remainder_y
      - .offset:         86
        .size:           2
        .value_kind:     hidden_remainder_z
      - .offset:         104
        .size:           8
        .value_kind:     hidden_global_offset_x
      - .offset:         112
        .size:           8
        .value_kind:     hidden_global_offset_y
      - .offset:         120
        .size:           8
        .value_kind:     hidden_global_offset_z
      - .offset:         128
        .size:           2
        .value_kind:     hidden_grid_dims
      - .offset:         184
        .size:           4
        .value_kind:     hidden_dynamic_lds_size
    .group_segment_fixed_size: 0
    .kernarg_segment_align: 8
    .kernarg_segment_size: 320
    .language:       OpenCL C
    .language_version:
      - 2
      - 0
    .max_flat_workgroup_size: 256
    .name:           _ZN2at6native12_GLOBAL__N_135GammaBetaBackwardCUDAKernelTemplateIffLj32ELj8ELj64ELb0ELb1ELb1EEEvllPKT_S5_PKT0_S8_PS3_S9_
    .private_segment_fixed_size: 0
    .sgpr_count:     24
    .sgpr_spill_count: 0
    .symbol:         _ZN2at6native12_GLOBAL__N_135GammaBetaBackwardCUDAKernelTemplateIffLj32ELj8ELj64ELb0ELb1ELb1EEEvllPKT_S5_PKT0_S8_PS3_S9_.kd
    .uniform_work_group_size: 1
    .uses_dynamic_stack: false
    .vgpr_count:     42
    .vgpr_spill_count: 0
    .wavefront_size: 32
  - .args:
      - .offset:         0
        .size:           8
        .value_kind:     by_value
      - .offset:         8
        .size:           8
        .value_kind:     by_value
      - .actual_access:  read_only
        .address_space:  global
        .offset:         16
        .size:           8
        .value_kind:     global_buffer
      - .actual_access:  read_only
        .address_space:  global
        .offset:         24
        .size:           8
        .value_kind:     global_buffer
      - .actual_access:  read_only
        .address_space:  global
        .offset:         32
        .size:           8
        .value_kind:     global_buffer
      - .actual_access:  read_only
        .address_space:  global
        .offset:         40
        .size:           8
        .value_kind:     global_buffer
      - .actual_access:  write_only
        .address_space:  global
        .offset:         48
        .size:           8
        .value_kind:     global_buffer
      - .actual_access:  read_only
        .address_space:  global
        .offset:         56
        .size:           8
        .value_kind:     global_buffer
      - .offset:         64
        .size:           4
        .value_kind:     hidden_block_count_x
      - .offset:         68
        .size:           4
        .value_kind:     hidden_block_count_y
      - .offset:         72
        .size:           4
        .value_kind:     hidden_block_count_z
      - .offset:         76
        .size:           2
        .value_kind:     hidden_group_size_x
      - .offset:         78
        .size:           2
        .value_kind:     hidden_group_size_y
      - .offset:         80
        .size:           2
        .value_kind:     hidden_group_size_z
      - .offset:         82
        .size:           2
        .value_kind:     hidden_remainder_x
      - .offset:         84
        .size:           2
        .value_kind:     hidden_remainder_y
      - .offset:         86
        .size:           2
        .value_kind:     hidden_remainder_z
      - .offset:         104
        .size:           8
        .value_kind:     hidden_global_offset_x
      - .offset:         112
        .size:           8
        .value_kind:     hidden_global_offset_y
      - .offset:         120
        .size:           8
        .value_kind:     hidden_global_offset_z
      - .offset:         128
        .size:           2
        .value_kind:     hidden_grid_dims
      - .offset:         184
        .size:           4
        .value_kind:     hidden_dynamic_lds_size
    .group_segment_fixed_size: 0
    .kernarg_segment_align: 8
    .kernarg_segment_size: 320
    .language:       OpenCL C
    .language_version:
      - 2
      - 0
    .max_flat_workgroup_size: 256
    .name:           _ZN2at6native12_GLOBAL__N_135GammaBetaBackwardCUDAKernelTemplateIffLj32ELj8ELj64ELb0ELb0ELb1EEEvllPKT_S5_PKT0_S8_PS3_S9_
    .private_segment_fixed_size: 0
    .sgpr_count:     52
    .sgpr_spill_count: 0
    .symbol:         _ZN2at6native12_GLOBAL__N_135GammaBetaBackwardCUDAKernelTemplateIffLj32ELj8ELj64ELb0ELb0ELb1EEEvllPKT_S5_PKT0_S8_PS3_S9_.kd
    .uniform_work_group_size: 1
    .uses_dynamic_stack: false
    .vgpr_count:     95
    .vgpr_spill_count: 0
    .wavefront_size: 32
  - .args:
      - .offset:         0
        .size:           8
        .value_kind:     by_value
      - .offset:         8
        .size:           8
        .value_kind:     by_value
      - .actual_access:  read_only
        .address_space:  global
        .offset:         16
        .size:           8
        .value_kind:     global_buffer
      - .actual_access:  read_only
        .address_space:  global
        .offset:         24
        .size:           8
        .value_kind:     global_buffer
      - .actual_access:  read_only
        .address_space:  global
        .offset:         32
        .size:           8
        .value_kind:     global_buffer
      - .actual_access:  read_only
        .address_space:  global
        .offset:         40
        .size:           8
        .value_kind:     global_buffer
      - .actual_access:  write_only
        .address_space:  global
        .offset:         48
        .size:           8
        .value_kind:     global_buffer
      - .actual_access:  read_only
        .address_space:  global
        .offset:         56
        .size:           8
        .value_kind:     global_buffer
      - .offset:         64
        .size:           4
        .value_kind:     hidden_block_count_x
      - .offset:         68
        .size:           4
        .value_kind:     hidden_block_count_y
      - .offset:         72
        .size:           4
        .value_kind:     hidden_block_count_z
      - .offset:         76
        .size:           2
        .value_kind:     hidden_group_size_x
      - .offset:         78
        .size:           2
        .value_kind:     hidden_group_size_y
      - .offset:         80
        .size:           2
        .value_kind:     hidden_group_size_z
      - .offset:         82
        .size:           2
        .value_kind:     hidden_remainder_x
      - .offset:         84
        .size:           2
        .value_kind:     hidden_remainder_y
      - .offset:         86
        .size:           2
        .value_kind:     hidden_remainder_z
      - .offset:         104
        .size:           8
        .value_kind:     hidden_global_offset_x
      - .offset:         112
        .size:           8
        .value_kind:     hidden_global_offset_y
      - .offset:         120
        .size:           8
        .value_kind:     hidden_global_offset_z
      - .offset:         128
        .size:           2
        .value_kind:     hidden_grid_dims
      - .offset:         184
        .size:           4
        .value_kind:     hidden_dynamic_lds_size
    .group_segment_fixed_size: 0
    .kernarg_segment_align: 8
    .kernarg_segment_size: 320
    .language:       OpenCL C
    .language_version:
      - 2
      - 0
    .max_flat_workgroup_size: 512
    .name:           _ZN2at6native12_GLOBAL__N_135GammaBetaBackwardCUDAKernelTemplateIffLj32ELj16ELj128ELb0ELb1ELb1EEEvllPKT_S5_PKT0_S8_PS3_S9_
    .private_segment_fixed_size: 0
    .sgpr_count:     24
    .sgpr_spill_count: 0
    .symbol:         _ZN2at6native12_GLOBAL__N_135GammaBetaBackwardCUDAKernelTemplateIffLj32ELj16ELj128ELb0ELb1ELb1EEEvllPKT_S5_PKT0_S8_PS3_S9_.kd
    .uniform_work_group_size: 1
    .uses_dynamic_stack: false
    .vgpr_count:     42
    .vgpr_spill_count: 0
    .wavefront_size: 32
  - .args:
      - .offset:         0
        .size:           8
        .value_kind:     by_value
      - .offset:         8
        .size:           8
        .value_kind:     by_value
      - .actual_access:  read_only
        .address_space:  global
        .offset:         16
        .size:           8
        .value_kind:     global_buffer
      - .actual_access:  read_only
        .address_space:  global
        .offset:         24
        .size:           8
        .value_kind:     global_buffer
      - .actual_access:  read_only
        .address_space:  global
        .offset:         32
        .size:           8
        .value_kind:     global_buffer
      - .actual_access:  read_only
        .address_space:  global
        .offset:         40
        .size:           8
        .value_kind:     global_buffer
      - .actual_access:  write_only
        .address_space:  global
        .offset:         48
        .size:           8
        .value_kind:     global_buffer
      - .actual_access:  read_only
        .address_space:  global
        .offset:         56
        .size:           8
        .value_kind:     global_buffer
      - .offset:         64
        .size:           4
        .value_kind:     hidden_block_count_x
      - .offset:         68
        .size:           4
        .value_kind:     hidden_block_count_y
      - .offset:         72
        .size:           4
        .value_kind:     hidden_block_count_z
      - .offset:         76
        .size:           2
        .value_kind:     hidden_group_size_x
      - .offset:         78
        .size:           2
        .value_kind:     hidden_group_size_y
      - .offset:         80
        .size:           2
        .value_kind:     hidden_group_size_z
      - .offset:         82
        .size:           2
        .value_kind:     hidden_remainder_x
      - .offset:         84
        .size:           2
        .value_kind:     hidden_remainder_y
      - .offset:         86
        .size:           2
        .value_kind:     hidden_remainder_z
      - .offset:         104
        .size:           8
        .value_kind:     hidden_global_offset_x
      - .offset:         112
        .size:           8
        .value_kind:     hidden_global_offset_y
      - .offset:         120
        .size:           8
        .value_kind:     hidden_global_offset_z
      - .offset:         128
        .size:           2
        .value_kind:     hidden_grid_dims
      - .offset:         184
        .size:           4
        .value_kind:     hidden_dynamic_lds_size
    .group_segment_fixed_size: 0
    .kernarg_segment_align: 8
    .kernarg_segment_size: 320
    .language:       OpenCL C
    .language_version:
      - 2
      - 0
    .max_flat_workgroup_size: 512
    .name:           _ZN2at6native12_GLOBAL__N_135GammaBetaBackwardCUDAKernelTemplateIffLj32ELj16ELj128ELb0ELb0ELb1EEEvllPKT_S5_PKT0_S8_PS3_S9_
    .private_segment_fixed_size: 0
    .sgpr_count:     52
    .sgpr_spill_count: 0
    .symbol:         _ZN2at6native12_GLOBAL__N_135GammaBetaBackwardCUDAKernelTemplateIffLj32ELj16ELj128ELb0ELb0ELb1EEEvllPKT_S5_PKT0_S8_PS3_S9_.kd
    .uniform_work_group_size: 1
    .uses_dynamic_stack: false
    .vgpr_count:     95
    .vgpr_spill_count: 0
    .wavefront_size: 32
  - .args:
      - .offset:         0
        .size:           8
        .value_kind:     by_value
      - .offset:         8
        .size:           8
        .value_kind:     by_value
      - .actual_access:  read_only
        .address_space:  global
        .offset:         16
        .size:           8
        .value_kind:     global_buffer
      - .actual_access:  read_only
        .address_space:  global
        .offset:         24
        .size:           8
        .value_kind:     global_buffer
      - .actual_access:  read_only
        .address_space:  global
        .offset:         32
        .size:           8
        .value_kind:     global_buffer
      - .actual_access:  read_only
        .address_space:  global
        .offset:         40
        .size:           8
        .value_kind:     global_buffer
      - .actual_access:  write_only
        .address_space:  global
        .offset:         48
        .size:           8
        .value_kind:     global_buffer
      - .actual_access:  read_only
        .address_space:  global
        .offset:         56
        .size:           8
        .value_kind:     global_buffer
      - .offset:         64
        .size:           4
        .value_kind:     hidden_block_count_x
      - .offset:         68
        .size:           4
        .value_kind:     hidden_block_count_y
      - .offset:         72
        .size:           4
        .value_kind:     hidden_block_count_z
      - .offset:         76
        .size:           2
        .value_kind:     hidden_group_size_x
      - .offset:         78
        .size:           2
        .value_kind:     hidden_group_size_y
      - .offset:         80
        .size:           2
        .value_kind:     hidden_group_size_z
      - .offset:         82
        .size:           2
        .value_kind:     hidden_remainder_x
      - .offset:         84
        .size:           2
        .value_kind:     hidden_remainder_y
      - .offset:         86
        .size:           2
        .value_kind:     hidden_remainder_z
      - .offset:         104
        .size:           8
        .value_kind:     hidden_global_offset_x
      - .offset:         112
        .size:           8
        .value_kind:     hidden_global_offset_y
      - .offset:         120
        .size:           8
        .value_kind:     hidden_global_offset_z
      - .offset:         128
        .size:           2
        .value_kind:     hidden_grid_dims
      - .offset:         184
        .size:           4
        .value_kind:     hidden_dynamic_lds_size
    .group_segment_fixed_size: 0
    .kernarg_segment_align: 8
    .kernarg_segment_size: 320
    .language:       OpenCL C
    .language_version:
      - 2
      - 0
    .max_flat_workgroup_size: 1024
    .name:           _ZN2at6native12_GLOBAL__N_135GammaBetaBackwardCUDAKernelTemplateIffLj32ELj32ELj256ELb0ELb1ELb1EEEvllPKT_S5_PKT0_S8_PS3_S9_
    .private_segment_fixed_size: 0
    .sgpr_count:     24
    .sgpr_spill_count: 0
    .symbol:         _ZN2at6native12_GLOBAL__N_135GammaBetaBackwardCUDAKernelTemplateIffLj32ELj32ELj256ELb0ELb1ELb1EEEvllPKT_S5_PKT0_S8_PS3_S9_.kd
    .uniform_work_group_size: 1
    .uses_dynamic_stack: false
    .vgpr_count:     42
    .vgpr_spill_count: 0
    .wavefront_size: 32
  - .args:
      - .offset:         0
        .size:           8
        .value_kind:     by_value
      - .offset:         8
        .size:           8
        .value_kind:     by_value
      - .actual_access:  read_only
        .address_space:  global
        .offset:         16
        .size:           8
        .value_kind:     global_buffer
      - .actual_access:  read_only
        .address_space:  global
        .offset:         24
        .size:           8
        .value_kind:     global_buffer
      - .actual_access:  read_only
        .address_space:  global
        .offset:         32
        .size:           8
        .value_kind:     global_buffer
      - .actual_access:  read_only
        .address_space:  global
        .offset:         40
        .size:           8
        .value_kind:     global_buffer
      - .actual_access:  write_only
        .address_space:  global
        .offset:         48
        .size:           8
        .value_kind:     global_buffer
      - .actual_access:  read_only
        .address_space:  global
        .offset:         56
        .size:           8
        .value_kind:     global_buffer
      - .offset:         64
        .size:           4
        .value_kind:     hidden_block_count_x
      - .offset:         68
        .size:           4
        .value_kind:     hidden_block_count_y
      - .offset:         72
        .size:           4
        .value_kind:     hidden_block_count_z
      - .offset:         76
        .size:           2
        .value_kind:     hidden_group_size_x
      - .offset:         78
        .size:           2
        .value_kind:     hidden_group_size_y
      - .offset:         80
        .size:           2
        .value_kind:     hidden_group_size_z
      - .offset:         82
        .size:           2
        .value_kind:     hidden_remainder_x
      - .offset:         84
        .size:           2
        .value_kind:     hidden_remainder_y
      - .offset:         86
        .size:           2
        .value_kind:     hidden_remainder_z
      - .offset:         104
        .size:           8
        .value_kind:     hidden_global_offset_x
      - .offset:         112
        .size:           8
        .value_kind:     hidden_global_offset_y
      - .offset:         120
        .size:           8
        .value_kind:     hidden_global_offset_z
      - .offset:         128
        .size:           2
        .value_kind:     hidden_grid_dims
      - .offset:         184
        .size:           4
        .value_kind:     hidden_dynamic_lds_size
    .group_segment_fixed_size: 0
    .kernarg_segment_align: 8
    .kernarg_segment_size: 320
    .language:       OpenCL C
    .language_version:
      - 2
      - 0
    .max_flat_workgroup_size: 1024
    .name:           _ZN2at6native12_GLOBAL__N_135GammaBetaBackwardCUDAKernelTemplateIffLj32ELj32ELj256ELb0ELb0ELb1EEEvllPKT_S5_PKT0_S8_PS3_S9_
    .private_segment_fixed_size: 0
    .sgpr_count:     52
    .sgpr_spill_count: 0
    .symbol:         _ZN2at6native12_GLOBAL__N_135GammaBetaBackwardCUDAKernelTemplateIffLj32ELj32ELj256ELb0ELb0ELb1EEEvllPKT_S5_PKT0_S8_PS3_S9_.kd
    .uniform_work_group_size: 1
    .uses_dynamic_stack: false
    .vgpr_count:     95
    .vgpr_spill_count: 0
    .wavefront_size: 32
  - .args:
      - .actual_access:  read_only
        .address_space:  global
        .offset:         0
        .size:           8
        .value_kind:     global_buffer
      - .actual_access:  read_only
        .address_space:  global
        .offset:         8
        .size:           8
        .value_kind:     global_buffer
      - .offset:         16
        .size:           8
        .value_kind:     by_value
      - .offset:         24
        .size:           8
        .value_kind:     by_value
      - .actual_access:  read_only
        .address_space:  global
        .offset:         32
        .size:           8
        .value_kind:     global_buffer
      - .actual_access:  read_only
        .address_space:  global
        .offset:         40
        .size:           8
        .value_kind:     global_buffer
      - .address_space:  global
        .offset:         48
        .size:           8
        .value_kind:     global_buffer
      - .address_space:  global
        .offset:         56
        .size:           8
        .value_kind:     global_buffer
      - .offset:         64
        .size:           4
        .value_kind:     hidden_block_count_x
      - .offset:         68
        .size:           4
        .value_kind:     hidden_block_count_y
      - .offset:         72
        .size:           4
        .value_kind:     hidden_block_count_z
      - .offset:         76
        .size:           2
        .value_kind:     hidden_group_size_x
      - .offset:         78
        .size:           2
        .value_kind:     hidden_group_size_y
      - .offset:         80
        .size:           2
        .value_kind:     hidden_group_size_z
      - .offset:         82
        .size:           2
        .value_kind:     hidden_remainder_x
      - .offset:         84
        .size:           2
        .value_kind:     hidden_remainder_y
      - .offset:         86
        .size:           2
        .value_kind:     hidden_remainder_z
      - .offset:         104
        .size:           8
        .value_kind:     hidden_global_offset_x
      - .offset:         112
        .size:           8
        .value_kind:     hidden_global_offset_y
      - .offset:         120
        .size:           8
        .value_kind:     hidden_global_offset_z
      - .offset:         128
        .size:           2
        .value_kind:     hidden_grid_dims
      - .offset:         184
        .size:           4
        .value_kind:     hidden_dynamic_lds_size
    .group_segment_fixed_size: 0
    .kernarg_segment_align: 8
    .kernarg_segment_size: 320
    .language:       OpenCL C
    .language_version:
      - 2
      - 0
    .max_flat_workgroup_size: 1024
    .name:           _ZN2at6native12_GLOBAL__N_118cuComputeGradInputIN3c104HalfEfLb1EEEvPKT_S7_llPKT0_SA_S7_PS5_
    .private_segment_fixed_size: 0
    .sgpr_count:     41
    .sgpr_spill_count: 0
    .symbol:         _ZN2at6native12_GLOBAL__N_118cuComputeGradInputIN3c104HalfEfLb1EEEvPKT_S7_llPKT0_SA_S7_PS5_.kd
    .uniform_work_group_size: 1
    .uses_dynamic_stack: false
    .vgpr_count:     28
    .vgpr_spill_count: 0
    .wavefront_size: 32
  - .args:
      - .actual_access:  read_only
        .address_space:  global
        .offset:         0
        .size:           8
        .value_kind:     global_buffer
      - .actual_access:  read_only
        .address_space:  global
        .offset:         8
        .size:           8
        .value_kind:     global_buffer
      - .actual_access:  read_only
        .address_space:  global
        .offset:         16
        .size:           8
        .value_kind:     global_buffer
      - .actual_access:  read_only
        .address_space:  global
        .offset:         24
        .size:           8
        .value_kind:     global_buffer
      - .actual_access:  read_only
        .address_space:  global
        .offset:         32
        .size:           8
        .value_kind:     global_buffer
      - .address_space:  global
        .offset:         40
        .size:           8
        .value_kind:     global_buffer
      - .offset:         48
        .size:           4
        .value_kind:     by_value
      - .offset:         56
        .size:           4
        .value_kind:     hidden_block_count_x
      - .offset:         60
        .size:           4
        .value_kind:     hidden_block_count_y
      - .offset:         64
        .size:           4
        .value_kind:     hidden_block_count_z
      - .offset:         68
        .size:           2
        .value_kind:     hidden_group_size_x
      - .offset:         70
        .size:           2
        .value_kind:     hidden_group_size_y
      - .offset:         72
        .size:           2
        .value_kind:     hidden_group_size_z
      - .offset:         74
        .size:           2
        .value_kind:     hidden_remainder_x
      - .offset:         76
        .size:           2
        .value_kind:     hidden_remainder_y
      - .offset:         78
        .size:           2
        .value_kind:     hidden_remainder_z
      - .offset:         96
        .size:           8
        .value_kind:     hidden_global_offset_x
      - .offset:         104
        .size:           8
        .value_kind:     hidden_global_offset_y
      - .offset:         112
        .size:           8
        .value_kind:     hidden_global_offset_z
      - .offset:         120
        .size:           2
        .value_kind:     hidden_grid_dims
      - .offset:         176
        .size:           4
        .value_kind:     hidden_dynamic_lds_size
    .group_segment_fixed_size: 0
    .kernarg_segment_align: 8
    .kernarg_segment_size: 312
    .language:       OpenCL C
    .language_version:
      - 2
      - 0
    .max_flat_workgroup_size: 1024
    .name:           _ZN2at6native12_GLOBAL__N_128layer_norm_grad_input_kernelIN3c104HalfEfLb1EEEvPKT_S7_PKT0_SA_S7_PS5_i
    .private_segment_fixed_size: 0
    .sgpr_count:     24
    .sgpr_spill_count: 0
    .symbol:         _ZN2at6native12_GLOBAL__N_128layer_norm_grad_input_kernelIN3c104HalfEfLb1EEEvPKT_S7_PKT0_SA_S7_PS5_i.kd
    .uniform_work_group_size: 1
    .uses_dynamic_stack: false
    .vgpr_count:     20
    .vgpr_spill_count: 0
    .wavefront_size: 32
  - .args:
      - .offset:         0
        .size:           8
        .value_kind:     by_value
      - .offset:         8
        .size:           8
        .value_kind:     by_value
      - .address_space:  global
        .offset:         16
        .size:           8
        .value_kind:     global_buffer
      - .address_space:  global
        .offset:         24
        .size:           8
        .value_kind:     global_buffer
      - .address_space:  global
        .offset:         32
        .size:           8
        .value_kind:     global_buffer
      - .address_space:  global
        .offset:         40
        .size:           8
        .value_kind:     global_buffer
      - .address_space:  global
        .offset:         48
        .size:           8
        .value_kind:     global_buffer
      - .address_space:  global
        .offset:         56
        .size:           8
        .value_kind:     global_buffer
      - .offset:         64
        .size:           4
        .value_kind:     hidden_block_count_x
      - .offset:         68
        .size:           4
        .value_kind:     hidden_block_count_y
      - .offset:         72
        .size:           4
        .value_kind:     hidden_block_count_z
      - .offset:         76
        .size:           2
        .value_kind:     hidden_group_size_x
      - .offset:         78
        .size:           2
        .value_kind:     hidden_group_size_y
      - .offset:         80
        .size:           2
        .value_kind:     hidden_group_size_z
      - .offset:         82
        .size:           2
        .value_kind:     hidden_remainder_x
      - .offset:         84
        .size:           2
        .value_kind:     hidden_remainder_y
      - .offset:         86
        .size:           2
        .value_kind:     hidden_remainder_z
      - .offset:         104
        .size:           8
        .value_kind:     hidden_global_offset_x
      - .offset:         112
        .size:           8
        .value_kind:     hidden_global_offset_y
      - .offset:         120
        .size:           8
        .value_kind:     hidden_global_offset_z
      - .offset:         128
        .size:           2
        .value_kind:     hidden_grid_dims
    .group_segment_fixed_size: 0
    .kernarg_segment_align: 8
    .kernarg_segment_size: 320
    .language:       OpenCL C
    .language_version:
      - 2
      - 0
    .max_flat_workgroup_size: 1024
    .name:           _ZN2at6native12_GLOBAL__N_133GammaBetaBackwardSimpleCUDAKernelIN3c104HalfEfLb1EEEvllPKT_S7_PKT0_SA_PS5_SB_
    .private_segment_fixed_size: 0
    .sgpr_count:     18
    .sgpr_spill_count: 0
    .symbol:         _ZN2at6native12_GLOBAL__N_133GammaBetaBackwardSimpleCUDAKernelIN3c104HalfEfLb1EEEvllPKT_S7_PKT0_SA_PS5_SB_.kd
    .uniform_work_group_size: 1
    .uses_dynamic_stack: false
    .vgpr_count:     11
    .vgpr_spill_count: 0
    .wavefront_size: 32
  - .args:
      - .offset:         0
        .size:           8
        .value_kind:     by_value
      - .offset:         8
        .size:           8
        .value_kind:     by_value
      - .actual_access:  read_only
        .address_space:  global
        .offset:         16
        .size:           8
        .value_kind:     global_buffer
      - .actual_access:  read_only
        .address_space:  global
        .offset:         24
        .size:           8
        .value_kind:     global_buffer
      - .actual_access:  read_only
        .address_space:  global
        .offset:         32
        .size:           8
        .value_kind:     global_buffer
      - .actual_access:  read_only
        .address_space:  global
        .offset:         40
        .size:           8
        .value_kind:     global_buffer
      - .actual_access:  write_only
        .address_space:  global
        .offset:         48
        .size:           8
        .value_kind:     global_buffer
      - .actual_access:  read_only
        .address_space:  global
        .offset:         56
        .size:           8
        .value_kind:     global_buffer
      - .offset:         64
        .size:           4
        .value_kind:     hidden_block_count_x
      - .offset:         68
        .size:           4
        .value_kind:     hidden_block_count_y
      - .offset:         72
        .size:           4
        .value_kind:     hidden_block_count_z
      - .offset:         76
        .size:           2
        .value_kind:     hidden_group_size_x
      - .offset:         78
        .size:           2
        .value_kind:     hidden_group_size_y
      - .offset:         80
        .size:           2
        .value_kind:     hidden_group_size_z
      - .offset:         82
        .size:           2
        .value_kind:     hidden_remainder_x
      - .offset:         84
        .size:           2
        .value_kind:     hidden_remainder_y
      - .offset:         86
        .size:           2
        .value_kind:     hidden_remainder_z
      - .offset:         104
        .size:           8
        .value_kind:     hidden_global_offset_x
      - .offset:         112
        .size:           8
        .value_kind:     hidden_global_offset_y
      - .offset:         120
        .size:           8
        .value_kind:     hidden_global_offset_z
      - .offset:         128
        .size:           2
        .value_kind:     hidden_grid_dims
    .group_segment_fixed_size: 0
    .kernarg_segment_align: 8
    .kernarg_segment_size: 320
    .language:       OpenCL C
    .language_version:
      - 2
      - 0
    .max_flat_workgroup_size: 64
    .name:           _ZN2at6native12_GLOBAL__N_135GammaBetaBackwardCUDAKernelTemplateIN3c104HalfEfLj64ELj1ELj32ELb1ELb1ELb1EEEvllPKT_S7_PKT0_SA_PS5_SB_
    .private_segment_fixed_size: 0
    .sgpr_count:     25
    .sgpr_spill_count: 0
    .symbol:         _ZN2at6native12_GLOBAL__N_135GammaBetaBackwardCUDAKernelTemplateIN3c104HalfEfLj64ELj1ELj32ELb1ELb1ELb1EEEvllPKT_S7_PKT0_SA_PS5_SB_.kd
    .uniform_work_group_size: 1
    .uses_dynamic_stack: false
    .vgpr_count:     68
    .vgpr_spill_count: 0
    .wavefront_size: 32
  - .args:
      - .offset:         0
        .size:           8
        .value_kind:     by_value
      - .offset:         8
        .size:           8
        .value_kind:     by_value
      - .actual_access:  read_only
        .address_space:  global
        .offset:         16
        .size:           8
        .value_kind:     global_buffer
      - .actual_access:  read_only
        .address_space:  global
        .offset:         24
        .size:           8
        .value_kind:     global_buffer
      - .actual_access:  read_only
        .address_space:  global
        .offset:         32
        .size:           8
        .value_kind:     global_buffer
      - .actual_access:  read_only
        .address_space:  global
        .offset:         40
        .size:           8
        .value_kind:     global_buffer
      - .actual_access:  write_only
        .address_space:  global
        .offset:         48
        .size:           8
        .value_kind:     global_buffer
      - .actual_access:  read_only
        .address_space:  global
        .offset:         56
        .size:           8
        .value_kind:     global_buffer
      - .offset:         64
        .size:           4
        .value_kind:     hidden_block_count_x
      - .offset:         68
        .size:           4
        .value_kind:     hidden_block_count_y
      - .offset:         72
        .size:           4
        .value_kind:     hidden_block_count_z
      - .offset:         76
        .size:           2
        .value_kind:     hidden_group_size_x
      - .offset:         78
        .size:           2
        .value_kind:     hidden_group_size_y
      - .offset:         80
        .size:           2
        .value_kind:     hidden_group_size_z
      - .offset:         82
        .size:           2
        .value_kind:     hidden_remainder_x
      - .offset:         84
        .size:           2
        .value_kind:     hidden_remainder_y
      - .offset:         86
        .size:           2
        .value_kind:     hidden_remainder_z
      - .offset:         104
        .size:           8
        .value_kind:     hidden_global_offset_x
      - .offset:         112
        .size:           8
        .value_kind:     hidden_global_offset_y
      - .offset:         120
        .size:           8
        .value_kind:     hidden_global_offset_z
      - .offset:         128
        .size:           2
        .value_kind:     hidden_grid_dims
    .group_segment_fixed_size: 0
    .kernarg_segment_align: 8
    .kernarg_segment_size: 320
    .language:       OpenCL C
    .language_version:
      - 2
      - 0
    .max_flat_workgroup_size: 64
    .name:           _ZN2at6native12_GLOBAL__N_135GammaBetaBackwardCUDAKernelTemplateIN3c104HalfEfLj64ELj1ELj32ELb1ELb0ELb1EEEvllPKT_S7_PKT0_SA_PS5_SB_
    .private_segment_fixed_size: 0
    .sgpr_count:     38
    .sgpr_spill_count: 0
    .symbol:         _ZN2at6native12_GLOBAL__N_135GammaBetaBackwardCUDAKernelTemplateIN3c104HalfEfLj64ELj1ELj32ELb1ELb0ELb1EEEvllPKT_S7_PKT0_SA_PS5_SB_.kd
    .uniform_work_group_size: 1
    .uses_dynamic_stack: false
    .vgpr_count:     332
    .vgpr_spill_count: 0
    .wavefront_size: 32
  - .args:
      - .offset:         0
        .size:           8
        .value_kind:     by_value
      - .offset:         8
        .size:           8
        .value_kind:     by_value
      - .actual_access:  read_only
        .address_space:  global
        .offset:         16
        .size:           8
        .value_kind:     global_buffer
      - .actual_access:  read_only
        .address_space:  global
        .offset:         24
        .size:           8
        .value_kind:     global_buffer
      - .actual_access:  read_only
        .address_space:  global
        .offset:         32
        .size:           8
        .value_kind:     global_buffer
      - .actual_access:  read_only
        .address_space:  global
        .offset:         40
        .size:           8
        .value_kind:     global_buffer
      - .actual_access:  write_only
        .address_space:  global
        .offset:         48
        .size:           8
        .value_kind:     global_buffer
      - .actual_access:  read_only
        .address_space:  global
        .offset:         56
        .size:           8
        .value_kind:     global_buffer
      - .offset:         64
        .size:           4
        .value_kind:     hidden_block_count_x
      - .offset:         68
        .size:           4
        .value_kind:     hidden_block_count_y
      - .offset:         72
        .size:           4
        .value_kind:     hidden_block_count_z
      - .offset:         76
        .size:           2
        .value_kind:     hidden_group_size_x
      - .offset:         78
        .size:           2
        .value_kind:     hidden_group_size_y
      - .offset:         80
        .size:           2
        .value_kind:     hidden_group_size_z
      - .offset:         82
        .size:           2
        .value_kind:     hidden_remainder_x
      - .offset:         84
        .size:           2
        .value_kind:     hidden_remainder_y
      - .offset:         86
        .size:           2
        .value_kind:     hidden_remainder_z
      - .offset:         104
        .size:           8
        .value_kind:     hidden_global_offset_x
      - .offset:         112
        .size:           8
        .value_kind:     hidden_global_offset_y
      - .offset:         120
        .size:           8
        .value_kind:     hidden_global_offset_z
      - .offset:         128
        .size:           2
        .value_kind:     hidden_grid_dims
    .group_segment_fixed_size: 0
    .kernarg_segment_align: 8
    .kernarg_segment_size: 320
    .language:       OpenCL C
    .language_version:
      - 2
      - 0
    .max_flat_workgroup_size: 64
    .name:           _ZN2at6native12_GLOBAL__N_135GammaBetaBackwardCUDAKernelTemplateIN3c104HalfEfLj64ELj1ELj8ELb1ELb1ELb1EEEvllPKT_S7_PKT0_SA_PS5_SB_
    .private_segment_fixed_size: 0
    .sgpr_count:     27
    .sgpr_spill_count: 0
    .symbol:         _ZN2at6native12_GLOBAL__N_135GammaBetaBackwardCUDAKernelTemplateIN3c104HalfEfLj64ELj1ELj8ELb1ELb1ELb1EEEvllPKT_S7_PKT0_SA_PS5_SB_.kd
    .uniform_work_group_size: 1
    .uses_dynamic_stack: false
    .vgpr_count:     43
    .vgpr_spill_count: 0
    .wavefront_size: 32
  - .args:
      - .offset:         0
        .size:           8
        .value_kind:     by_value
      - .offset:         8
        .size:           8
        .value_kind:     by_value
      - .actual_access:  read_only
        .address_space:  global
        .offset:         16
        .size:           8
        .value_kind:     global_buffer
      - .actual_access:  read_only
        .address_space:  global
        .offset:         24
        .size:           8
        .value_kind:     global_buffer
      - .actual_access:  read_only
        .address_space:  global
        .offset:         32
        .size:           8
        .value_kind:     global_buffer
      - .actual_access:  read_only
        .address_space:  global
        .offset:         40
        .size:           8
        .value_kind:     global_buffer
      - .actual_access:  write_only
        .address_space:  global
        .offset:         48
        .size:           8
        .value_kind:     global_buffer
      - .actual_access:  read_only
        .address_space:  global
        .offset:         56
        .size:           8
        .value_kind:     global_buffer
      - .offset:         64
        .size:           4
        .value_kind:     hidden_block_count_x
      - .offset:         68
        .size:           4
        .value_kind:     hidden_block_count_y
      - .offset:         72
        .size:           4
        .value_kind:     hidden_block_count_z
      - .offset:         76
        .size:           2
        .value_kind:     hidden_group_size_x
      - .offset:         78
        .size:           2
        .value_kind:     hidden_group_size_y
      - .offset:         80
        .size:           2
        .value_kind:     hidden_group_size_z
      - .offset:         82
        .size:           2
        .value_kind:     hidden_remainder_x
      - .offset:         84
        .size:           2
        .value_kind:     hidden_remainder_y
      - .offset:         86
        .size:           2
        .value_kind:     hidden_remainder_z
      - .offset:         104
        .size:           8
        .value_kind:     hidden_global_offset_x
      - .offset:         112
        .size:           8
        .value_kind:     hidden_global_offset_y
      - .offset:         120
        .size:           8
        .value_kind:     hidden_global_offset_z
      - .offset:         128
        .size:           2
        .value_kind:     hidden_grid_dims
    .group_segment_fixed_size: 0
    .kernarg_segment_align: 8
    .kernarg_segment_size: 320
    .language:       OpenCL C
    .language_version:
      - 2
      - 0
    .max_flat_workgroup_size: 64
    .name:           _ZN2at6native12_GLOBAL__N_135GammaBetaBackwardCUDAKernelTemplateIN3c104HalfEfLj64ELj1ELj8ELb1ELb0ELb1EEEvllPKT_S7_PKT0_SA_PS5_SB_
    .private_segment_fixed_size: 0
    .sgpr_count:     38
    .sgpr_spill_count: 0
    .symbol:         _ZN2at6native12_GLOBAL__N_135GammaBetaBackwardCUDAKernelTemplateIN3c104HalfEfLj64ELj1ELj8ELb1ELb0ELb1EEEvllPKT_S7_PKT0_SA_PS5_SB_.kd
    .uniform_work_group_size: 1
    .uses_dynamic_stack: false
    .vgpr_count:     98
    .vgpr_spill_count: 0
    .wavefront_size: 32
  - .args:
      - .offset:         0
        .size:           8
        .value_kind:     by_value
      - .offset:         8
        .size:           8
        .value_kind:     by_value
      - .actual_access:  read_only
        .address_space:  global
        .offset:         16
        .size:           8
        .value_kind:     global_buffer
      - .actual_access:  read_only
        .address_space:  global
        .offset:         24
        .size:           8
        .value_kind:     global_buffer
      - .actual_access:  read_only
        .address_space:  global
        .offset:         32
        .size:           8
        .value_kind:     global_buffer
      - .actual_access:  read_only
        .address_space:  global
        .offset:         40
        .size:           8
        .value_kind:     global_buffer
      - .actual_access:  write_only
        .address_space:  global
        .offset:         48
        .size:           8
        .value_kind:     global_buffer
      - .actual_access:  read_only
        .address_space:  global
        .offset:         56
        .size:           8
        .value_kind:     global_buffer
      - .offset:         64
        .size:           4
        .value_kind:     hidden_block_count_x
      - .offset:         68
        .size:           4
        .value_kind:     hidden_block_count_y
      - .offset:         72
        .size:           4
        .value_kind:     hidden_block_count_z
      - .offset:         76
        .size:           2
        .value_kind:     hidden_group_size_x
      - .offset:         78
        .size:           2
        .value_kind:     hidden_group_size_y
      - .offset:         80
        .size:           2
        .value_kind:     hidden_group_size_z
      - .offset:         82
        .size:           2
        .value_kind:     hidden_remainder_x
      - .offset:         84
        .size:           2
        .value_kind:     hidden_remainder_y
      - .offset:         86
        .size:           2
        .value_kind:     hidden_remainder_z
      - .offset:         104
        .size:           8
        .value_kind:     hidden_global_offset_x
      - .offset:         112
        .size:           8
        .value_kind:     hidden_global_offset_y
      - .offset:         120
        .size:           8
        .value_kind:     hidden_global_offset_z
      - .offset:         128
        .size:           2
        .value_kind:     hidden_grid_dims
      - .offset:         184
        .size:           4
        .value_kind:     hidden_dynamic_lds_size
    .group_segment_fixed_size: 0
    .kernarg_segment_align: 8
    .kernarg_segment_size: 320
    .language:       OpenCL C
    .language_version:
      - 2
      - 0
    .max_flat_workgroup_size: 512
    .name:           _ZN2at6native12_GLOBAL__N_135GammaBetaBackwardCUDAKernelTemplateIN3c104HalfEfLj64ELj8ELj64ELb0ELb1ELb1EEEvllPKT_S7_PKT0_SA_PS5_SB_
    .private_segment_fixed_size: 0
    .sgpr_count:     24
    .sgpr_spill_count: 0
    .symbol:         _ZN2at6native12_GLOBAL__N_135GammaBetaBackwardCUDAKernelTemplateIN3c104HalfEfLj64ELj8ELj64ELb0ELb1ELb1EEEvllPKT_S7_PKT0_SA_PS5_SB_.kd
    .uniform_work_group_size: 1
    .uses_dynamic_stack: false
    .vgpr_count:     43
    .vgpr_spill_count: 0
    .wavefront_size: 32
  - .args:
      - .offset:         0
        .size:           8
        .value_kind:     by_value
      - .offset:         8
        .size:           8
        .value_kind:     by_value
      - .actual_access:  read_only
        .address_space:  global
        .offset:         16
        .size:           8
        .value_kind:     global_buffer
      - .actual_access:  read_only
        .address_space:  global
        .offset:         24
        .size:           8
        .value_kind:     global_buffer
      - .actual_access:  read_only
        .address_space:  global
        .offset:         32
        .size:           8
        .value_kind:     global_buffer
      - .actual_access:  read_only
        .address_space:  global
        .offset:         40
        .size:           8
        .value_kind:     global_buffer
      - .actual_access:  write_only
        .address_space:  global
        .offset:         48
        .size:           8
        .value_kind:     global_buffer
      - .actual_access:  read_only
        .address_space:  global
        .offset:         56
        .size:           8
        .value_kind:     global_buffer
      - .offset:         64
        .size:           4
        .value_kind:     hidden_block_count_x
      - .offset:         68
        .size:           4
        .value_kind:     hidden_block_count_y
      - .offset:         72
        .size:           4
        .value_kind:     hidden_block_count_z
      - .offset:         76
        .size:           2
        .value_kind:     hidden_group_size_x
      - .offset:         78
        .size:           2
        .value_kind:     hidden_group_size_y
      - .offset:         80
        .size:           2
        .value_kind:     hidden_group_size_z
      - .offset:         82
        .size:           2
        .value_kind:     hidden_remainder_x
      - .offset:         84
        .size:           2
        .value_kind:     hidden_remainder_y
      - .offset:         86
        .size:           2
        .value_kind:     hidden_remainder_z
      - .offset:         104
        .size:           8
        .value_kind:     hidden_global_offset_x
      - .offset:         112
        .size:           8
        .value_kind:     hidden_global_offset_y
      - .offset:         120
        .size:           8
        .value_kind:     hidden_global_offset_z
      - .offset:         128
        .size:           2
        .value_kind:     hidden_grid_dims
      - .offset:         184
        .size:           4
        .value_kind:     hidden_dynamic_lds_size
    .group_segment_fixed_size: 0
    .kernarg_segment_align: 8
    .kernarg_segment_size: 320
    .language:       OpenCL C
    .language_version:
      - 2
      - 0
    .max_flat_workgroup_size: 512
    .name:           _ZN2at6native12_GLOBAL__N_135GammaBetaBackwardCUDAKernelTemplateIN3c104HalfEfLj64ELj8ELj64ELb0ELb0ELb1EEEvllPKT_S7_PKT0_SA_PS5_SB_
    .private_segment_fixed_size: 0
    .sgpr_count:     52
    .sgpr_spill_count: 0
    .symbol:         _ZN2at6native12_GLOBAL__N_135GammaBetaBackwardCUDAKernelTemplateIN3c104HalfEfLj64ELj8ELj64ELb0ELb0ELb1EEEvllPKT_S7_PKT0_SA_PS5_SB_.kd
    .uniform_work_group_size: 1
    .uses_dynamic_stack: false
    .vgpr_count:     98
    .vgpr_spill_count: 0
    .wavefront_size: 32
  - .args:
      - .offset:         0
        .size:           8
        .value_kind:     by_value
      - .offset:         8
        .size:           8
        .value_kind:     by_value
      - .actual_access:  read_only
        .address_space:  global
        .offset:         16
        .size:           8
        .value_kind:     global_buffer
      - .actual_access:  read_only
        .address_space:  global
        .offset:         24
        .size:           8
        .value_kind:     global_buffer
      - .actual_access:  read_only
        .address_space:  global
        .offset:         32
        .size:           8
        .value_kind:     global_buffer
      - .actual_access:  read_only
        .address_space:  global
        .offset:         40
        .size:           8
        .value_kind:     global_buffer
      - .actual_access:  write_only
        .address_space:  global
        .offset:         48
        .size:           8
        .value_kind:     global_buffer
      - .actual_access:  read_only
        .address_space:  global
        .offset:         56
        .size:           8
        .value_kind:     global_buffer
      - .offset:         64
        .size:           4
        .value_kind:     hidden_block_count_x
      - .offset:         68
        .size:           4
        .value_kind:     hidden_block_count_y
      - .offset:         72
        .size:           4
        .value_kind:     hidden_block_count_z
      - .offset:         76
        .size:           2
        .value_kind:     hidden_group_size_x
      - .offset:         78
        .size:           2
        .value_kind:     hidden_group_size_y
      - .offset:         80
        .size:           2
        .value_kind:     hidden_group_size_z
      - .offset:         82
        .size:           2
        .value_kind:     hidden_remainder_x
      - .offset:         84
        .size:           2
        .value_kind:     hidden_remainder_y
      - .offset:         86
        .size:           2
        .value_kind:     hidden_remainder_z
      - .offset:         104
        .size:           8
        .value_kind:     hidden_global_offset_x
      - .offset:         112
        .size:           8
        .value_kind:     hidden_global_offset_y
      - .offset:         120
        .size:           8
        .value_kind:     hidden_global_offset_z
      - .offset:         128
        .size:           2
        .value_kind:     hidden_grid_dims
      - .offset:         184
        .size:           4
        .value_kind:     hidden_dynamic_lds_size
    .group_segment_fixed_size: 0
    .kernarg_segment_align: 8
    .kernarg_segment_size: 320
    .language:       OpenCL C
    .language_version:
      - 2
      - 0
    .max_flat_workgroup_size: 1024
    .name:           _ZN2at6native12_GLOBAL__N_135GammaBetaBackwardCUDAKernelTemplateIN3c104HalfEfLj64ELj16ELj128ELb0ELb1ELb1EEEvllPKT_S7_PKT0_SA_PS5_SB_
    .private_segment_fixed_size: 0
    .sgpr_count:     24
    .sgpr_spill_count: 0
    .symbol:         _ZN2at6native12_GLOBAL__N_135GammaBetaBackwardCUDAKernelTemplateIN3c104HalfEfLj64ELj16ELj128ELb0ELb1ELb1EEEvllPKT_S7_PKT0_SA_PS5_SB_.kd
    .uniform_work_group_size: 1
    .uses_dynamic_stack: false
    .vgpr_count:     43
    .vgpr_spill_count: 0
    .wavefront_size: 32
  - .args:
      - .offset:         0
        .size:           8
        .value_kind:     by_value
      - .offset:         8
        .size:           8
        .value_kind:     by_value
      - .actual_access:  read_only
        .address_space:  global
        .offset:         16
        .size:           8
        .value_kind:     global_buffer
      - .actual_access:  read_only
        .address_space:  global
        .offset:         24
        .size:           8
        .value_kind:     global_buffer
      - .actual_access:  read_only
        .address_space:  global
        .offset:         32
        .size:           8
        .value_kind:     global_buffer
      - .actual_access:  read_only
        .address_space:  global
        .offset:         40
        .size:           8
        .value_kind:     global_buffer
      - .actual_access:  write_only
        .address_space:  global
        .offset:         48
        .size:           8
        .value_kind:     global_buffer
      - .actual_access:  read_only
        .address_space:  global
        .offset:         56
        .size:           8
        .value_kind:     global_buffer
      - .offset:         64
        .size:           4
        .value_kind:     hidden_block_count_x
      - .offset:         68
        .size:           4
        .value_kind:     hidden_block_count_y
      - .offset:         72
        .size:           4
        .value_kind:     hidden_block_count_z
      - .offset:         76
        .size:           2
        .value_kind:     hidden_group_size_x
      - .offset:         78
        .size:           2
        .value_kind:     hidden_group_size_y
      - .offset:         80
        .size:           2
        .value_kind:     hidden_group_size_z
      - .offset:         82
        .size:           2
        .value_kind:     hidden_remainder_x
      - .offset:         84
        .size:           2
        .value_kind:     hidden_remainder_y
      - .offset:         86
        .size:           2
        .value_kind:     hidden_remainder_z
      - .offset:         104
        .size:           8
        .value_kind:     hidden_global_offset_x
      - .offset:         112
        .size:           8
        .value_kind:     hidden_global_offset_y
      - .offset:         120
        .size:           8
        .value_kind:     hidden_global_offset_z
      - .offset:         128
        .size:           2
        .value_kind:     hidden_grid_dims
      - .offset:         184
        .size:           4
        .value_kind:     hidden_dynamic_lds_size
    .group_segment_fixed_size: 0
    .kernarg_segment_align: 8
    .kernarg_segment_size: 320
    .language:       OpenCL C
    .language_version:
      - 2
      - 0
    .max_flat_workgroup_size: 1024
    .name:           _ZN2at6native12_GLOBAL__N_135GammaBetaBackwardCUDAKernelTemplateIN3c104HalfEfLj64ELj16ELj128ELb0ELb0ELb1EEEvllPKT_S7_PKT0_SA_PS5_SB_
    .private_segment_fixed_size: 0
    .sgpr_count:     52
    .sgpr_spill_count: 0
    .symbol:         _ZN2at6native12_GLOBAL__N_135GammaBetaBackwardCUDAKernelTemplateIN3c104HalfEfLj64ELj16ELj128ELb0ELb0ELb1EEEvllPKT_S7_PKT0_SA_PS5_SB_.kd
    .uniform_work_group_size: 1
    .uses_dynamic_stack: false
    .vgpr_count:     96
    .vgpr_spill_count: 0
    .wavefront_size: 32
  - .args:
      - .offset:         0
        .size:           8
        .value_kind:     by_value
      - .offset:         8
        .size:           8
        .value_kind:     by_value
      - .actual_access:  read_only
        .address_space:  global
        .offset:         16
        .size:           8
        .value_kind:     global_buffer
      - .actual_access:  read_only
        .address_space:  global
        .offset:         24
        .size:           8
        .value_kind:     global_buffer
      - .actual_access:  read_only
        .address_space:  global
        .offset:         32
        .size:           8
        .value_kind:     global_buffer
      - .actual_access:  read_only
        .address_space:  global
        .offset:         40
        .size:           8
        .value_kind:     global_buffer
      - .actual_access:  write_only
        .address_space:  global
        .offset:         48
        .size:           8
        .value_kind:     global_buffer
      - .actual_access:  read_only
        .address_space:  global
        .offset:         56
        .size:           8
        .value_kind:     global_buffer
      - .offset:         64
        .size:           4
        .value_kind:     hidden_block_count_x
      - .offset:         68
        .size:           4
        .value_kind:     hidden_block_count_y
      - .offset:         72
        .size:           4
        .value_kind:     hidden_block_count_z
      - .offset:         76
        .size:           2
        .value_kind:     hidden_group_size_x
      - .offset:         78
        .size:           2
        .value_kind:     hidden_group_size_y
      - .offset:         80
        .size:           2
        .value_kind:     hidden_group_size_z
      - .offset:         82
        .size:           2
        .value_kind:     hidden_remainder_x
      - .offset:         84
        .size:           2
        .value_kind:     hidden_remainder_y
      - .offset:         86
        .size:           2
        .value_kind:     hidden_remainder_z
      - .offset:         104
        .size:           8
        .value_kind:     hidden_global_offset_x
      - .offset:         112
        .size:           8
        .value_kind:     hidden_global_offset_y
      - .offset:         120
        .size:           8
        .value_kind:     hidden_global_offset_z
      - .offset:         128
        .size:           2
        .value_kind:     hidden_grid_dims
      - .offset:         184
        .size:           4
        .value_kind:     hidden_dynamic_lds_size
    .group_segment_fixed_size: 0
    .kernarg_segment_align: 8
    .kernarg_segment_size: 320
    .language:       OpenCL C
    .language_version:
      - 2
      - 0
    .max_flat_workgroup_size: 1024
    .name:           _ZN2at6native12_GLOBAL__N_135GammaBetaBackwardCUDAKernelTemplateIN3c104HalfEfLj64ELj16ELj256ELb0ELb1ELb1EEEvllPKT_S7_PKT0_SA_PS5_SB_
    .private_segment_fixed_size: 0
    .sgpr_count:     24
    .sgpr_spill_count: 0
    .symbol:         _ZN2at6native12_GLOBAL__N_135GammaBetaBackwardCUDAKernelTemplateIN3c104HalfEfLj64ELj16ELj256ELb0ELb1ELb1EEEvllPKT_S7_PKT0_SA_PS5_SB_.kd
    .uniform_work_group_size: 1
    .uses_dynamic_stack: false
    .vgpr_count:     68
    .vgpr_spill_count: 0
    .wavefront_size: 32
  - .args:
      - .offset:         0
        .size:           8
        .value_kind:     by_value
      - .offset:         8
        .size:           8
        .value_kind:     by_value
      - .actual_access:  read_only
        .address_space:  global
        .offset:         16
        .size:           8
        .value_kind:     global_buffer
      - .actual_access:  read_only
        .address_space:  global
        .offset:         24
        .size:           8
        .value_kind:     global_buffer
      - .actual_access:  read_only
        .address_space:  global
        .offset:         32
        .size:           8
        .value_kind:     global_buffer
      - .actual_access:  read_only
        .address_space:  global
        .offset:         40
        .size:           8
        .value_kind:     global_buffer
      - .actual_access:  write_only
        .address_space:  global
        .offset:         48
        .size:           8
        .value_kind:     global_buffer
      - .actual_access:  read_only
        .address_space:  global
        .offset:         56
        .size:           8
        .value_kind:     global_buffer
      - .offset:         64
        .size:           4
        .value_kind:     hidden_block_count_x
      - .offset:         68
        .size:           4
        .value_kind:     hidden_block_count_y
      - .offset:         72
        .size:           4
        .value_kind:     hidden_block_count_z
      - .offset:         76
        .size:           2
        .value_kind:     hidden_group_size_x
      - .offset:         78
        .size:           2
        .value_kind:     hidden_group_size_y
      - .offset:         80
        .size:           2
        .value_kind:     hidden_group_size_z
      - .offset:         82
        .size:           2
        .value_kind:     hidden_remainder_x
      - .offset:         84
        .size:           2
        .value_kind:     hidden_remainder_y
      - .offset:         86
        .size:           2
        .value_kind:     hidden_remainder_z
      - .offset:         104
        .size:           8
        .value_kind:     hidden_global_offset_x
      - .offset:         112
        .size:           8
        .value_kind:     hidden_global_offset_y
      - .offset:         120
        .size:           8
        .value_kind:     hidden_global_offset_z
      - .offset:         128
        .size:           2
        .value_kind:     hidden_grid_dims
      - .offset:         184
        .size:           4
        .value_kind:     hidden_dynamic_lds_size
    .group_segment_fixed_size: 0
    .kernarg_segment_align: 8
    .kernarg_segment_size: 320
    .language:       OpenCL C
    .language_version:
      - 2
      - 0
    .max_flat_workgroup_size: 1024
    .name:           _ZN2at6native12_GLOBAL__N_135GammaBetaBackwardCUDAKernelTemplateIN3c104HalfEfLj64ELj16ELj256ELb0ELb0ELb1EEEvllPKT_S7_PKT0_SA_PS5_SB_
    .private_segment_fixed_size: 176
    .sgpr_count:     68
    .sgpr_spill_count: 0
    .symbol:         _ZN2at6native12_GLOBAL__N_135GammaBetaBackwardCUDAKernelTemplateIN3c104HalfEfLj64ELj16ELj256ELb0ELb0ELb1EEEvllPKT_S7_PKT0_SA_PS5_SB_.kd
    .uniform_work_group_size: 1
    .uses_dynamic_stack: false
    .vgpr_count:     128
    .vgpr_spill_count: 81
    .wavefront_size: 32
  - .args:
      - .offset:         0
        .size:           8
        .value_kind:     by_value
      - .offset:         8
        .size:           8
        .value_kind:     by_value
      - .actual_access:  read_only
        .address_space:  global
        .offset:         16
        .size:           8
        .value_kind:     global_buffer
      - .actual_access:  read_only
        .address_space:  global
        .offset:         24
        .size:           8
        .value_kind:     global_buffer
      - .actual_access:  read_only
        .address_space:  global
        .offset:         32
        .size:           8
        .value_kind:     global_buffer
      - .actual_access:  read_only
        .address_space:  global
        .offset:         40
        .size:           8
        .value_kind:     global_buffer
      - .actual_access:  write_only
        .address_space:  global
        .offset:         48
        .size:           8
        .value_kind:     global_buffer
      - .actual_access:  read_only
        .address_space:  global
        .offset:         56
        .size:           8
        .value_kind:     global_buffer
      - .offset:         64
        .size:           4
        .value_kind:     hidden_block_count_x
      - .offset:         68
        .size:           4
        .value_kind:     hidden_block_count_y
      - .offset:         72
        .size:           4
        .value_kind:     hidden_block_count_z
      - .offset:         76
        .size:           2
        .value_kind:     hidden_group_size_x
      - .offset:         78
        .size:           2
        .value_kind:     hidden_group_size_y
      - .offset:         80
        .size:           2
        .value_kind:     hidden_group_size_z
      - .offset:         82
        .size:           2
        .value_kind:     hidden_remainder_x
      - .offset:         84
        .size:           2
        .value_kind:     hidden_remainder_y
      - .offset:         86
        .size:           2
        .value_kind:     hidden_remainder_z
      - .offset:         104
        .size:           8
        .value_kind:     hidden_global_offset_x
      - .offset:         112
        .size:           8
        .value_kind:     hidden_global_offset_y
      - .offset:         120
        .size:           8
        .value_kind:     hidden_global_offset_z
      - .offset:         128
        .size:           2
        .value_kind:     hidden_grid_dims
    .group_segment_fixed_size: 0
    .kernarg_segment_align: 8
    .kernarg_segment_size: 320
    .language:       OpenCL C
    .language_version:
      - 2
      - 0
    .max_flat_workgroup_size: 32
    .name:           _ZN2at6native12_GLOBAL__N_135GammaBetaBackwardCUDAKernelTemplateIN3c104HalfEfLj32ELj1ELj32ELb1ELb1ELb1EEEvllPKT_S7_PKT0_SA_PS5_SB_
    .private_segment_fixed_size: 0
    .sgpr_count:     25
    .sgpr_spill_count: 0
    .symbol:         _ZN2at6native12_GLOBAL__N_135GammaBetaBackwardCUDAKernelTemplateIN3c104HalfEfLj32ELj1ELj32ELb1ELb1ELb1EEEvllPKT_S7_PKT0_SA_PS5_SB_.kd
    .uniform_work_group_size: 1
    .uses_dynamic_stack: false
    .vgpr_count:     68
    .vgpr_spill_count: 0
    .wavefront_size: 32
  - .args:
      - .offset:         0
        .size:           8
        .value_kind:     by_value
      - .offset:         8
        .size:           8
        .value_kind:     by_value
      - .actual_access:  read_only
        .address_space:  global
        .offset:         16
        .size:           8
        .value_kind:     global_buffer
      - .actual_access:  read_only
        .address_space:  global
        .offset:         24
        .size:           8
        .value_kind:     global_buffer
      - .actual_access:  read_only
        .address_space:  global
        .offset:         32
        .size:           8
        .value_kind:     global_buffer
      - .actual_access:  read_only
        .address_space:  global
        .offset:         40
        .size:           8
        .value_kind:     global_buffer
      - .actual_access:  write_only
        .address_space:  global
        .offset:         48
        .size:           8
        .value_kind:     global_buffer
      - .actual_access:  read_only
        .address_space:  global
        .offset:         56
        .size:           8
        .value_kind:     global_buffer
      - .offset:         64
        .size:           4
        .value_kind:     hidden_block_count_x
      - .offset:         68
        .size:           4
        .value_kind:     hidden_block_count_y
      - .offset:         72
        .size:           4
        .value_kind:     hidden_block_count_z
      - .offset:         76
        .size:           2
        .value_kind:     hidden_group_size_x
      - .offset:         78
        .size:           2
        .value_kind:     hidden_group_size_y
      - .offset:         80
        .size:           2
        .value_kind:     hidden_group_size_z
      - .offset:         82
        .size:           2
        .value_kind:     hidden_remainder_x
      - .offset:         84
        .size:           2
        .value_kind:     hidden_remainder_y
      - .offset:         86
        .size:           2
        .value_kind:     hidden_remainder_z
      - .offset:         104
        .size:           8
        .value_kind:     hidden_global_offset_x
      - .offset:         112
        .size:           8
        .value_kind:     hidden_global_offset_y
      - .offset:         120
        .size:           8
        .value_kind:     hidden_global_offset_z
      - .offset:         128
        .size:           2
        .value_kind:     hidden_grid_dims
    .group_segment_fixed_size: 0
    .kernarg_segment_align: 8
    .kernarg_segment_size: 320
    .language:       OpenCL C
    .language_version:
      - 2
      - 0
    .max_flat_workgroup_size: 32
    .name:           _ZN2at6native12_GLOBAL__N_135GammaBetaBackwardCUDAKernelTemplateIN3c104HalfEfLj32ELj1ELj32ELb1ELb0ELb1EEEvllPKT_S7_PKT0_SA_PS5_SB_
    .private_segment_fixed_size: 0
    .sgpr_count:     38
    .sgpr_spill_count: 0
    .symbol:         _ZN2at6native12_GLOBAL__N_135GammaBetaBackwardCUDAKernelTemplateIN3c104HalfEfLj32ELj1ELj32ELb1ELb0ELb1EEEvllPKT_S7_PKT0_SA_PS5_SB_.kd
    .uniform_work_group_size: 1
    .uses_dynamic_stack: false
    .vgpr_count:     332
    .vgpr_spill_count: 0
    .wavefront_size: 32
  - .args:
      - .offset:         0
        .size:           8
        .value_kind:     by_value
      - .offset:         8
        .size:           8
        .value_kind:     by_value
      - .actual_access:  read_only
        .address_space:  global
        .offset:         16
        .size:           8
        .value_kind:     global_buffer
      - .actual_access:  read_only
        .address_space:  global
        .offset:         24
        .size:           8
        .value_kind:     global_buffer
      - .actual_access:  read_only
        .address_space:  global
        .offset:         32
        .size:           8
        .value_kind:     global_buffer
      - .actual_access:  read_only
        .address_space:  global
        .offset:         40
        .size:           8
        .value_kind:     global_buffer
      - .actual_access:  write_only
        .address_space:  global
        .offset:         48
        .size:           8
        .value_kind:     global_buffer
      - .actual_access:  read_only
        .address_space:  global
        .offset:         56
        .size:           8
        .value_kind:     global_buffer
      - .offset:         64
        .size:           4
        .value_kind:     hidden_block_count_x
      - .offset:         68
        .size:           4
        .value_kind:     hidden_block_count_y
      - .offset:         72
        .size:           4
        .value_kind:     hidden_block_count_z
      - .offset:         76
        .size:           2
        .value_kind:     hidden_group_size_x
      - .offset:         78
        .size:           2
        .value_kind:     hidden_group_size_y
      - .offset:         80
        .size:           2
        .value_kind:     hidden_group_size_z
      - .offset:         82
        .size:           2
        .value_kind:     hidden_remainder_x
      - .offset:         84
        .size:           2
        .value_kind:     hidden_remainder_y
      - .offset:         86
        .size:           2
        .value_kind:     hidden_remainder_z
      - .offset:         104
        .size:           8
        .value_kind:     hidden_global_offset_x
      - .offset:         112
        .size:           8
        .value_kind:     hidden_global_offset_y
      - .offset:         120
        .size:           8
        .value_kind:     hidden_global_offset_z
      - .offset:         128
        .size:           2
        .value_kind:     hidden_grid_dims
    .group_segment_fixed_size: 0
    .kernarg_segment_align: 8
    .kernarg_segment_size: 320
    .language:       OpenCL C
    .language_version:
      - 2
      - 0
    .max_flat_workgroup_size: 32
    .name:           _ZN2at6native12_GLOBAL__N_135GammaBetaBackwardCUDAKernelTemplateIN3c104HalfEfLj32ELj1ELj8ELb1ELb1ELb1EEEvllPKT_S7_PKT0_SA_PS5_SB_
    .private_segment_fixed_size: 0
    .sgpr_count:     27
    .sgpr_spill_count: 0
    .symbol:         _ZN2at6native12_GLOBAL__N_135GammaBetaBackwardCUDAKernelTemplateIN3c104HalfEfLj32ELj1ELj8ELb1ELb1ELb1EEEvllPKT_S7_PKT0_SA_PS5_SB_.kd
    .uniform_work_group_size: 1
    .uses_dynamic_stack: false
    .vgpr_count:     43
    .vgpr_spill_count: 0
    .wavefront_size: 32
  - .args:
      - .offset:         0
        .size:           8
        .value_kind:     by_value
      - .offset:         8
        .size:           8
        .value_kind:     by_value
      - .actual_access:  read_only
        .address_space:  global
        .offset:         16
        .size:           8
        .value_kind:     global_buffer
      - .actual_access:  read_only
        .address_space:  global
        .offset:         24
        .size:           8
        .value_kind:     global_buffer
      - .actual_access:  read_only
        .address_space:  global
        .offset:         32
        .size:           8
        .value_kind:     global_buffer
      - .actual_access:  read_only
        .address_space:  global
        .offset:         40
        .size:           8
        .value_kind:     global_buffer
      - .actual_access:  write_only
        .address_space:  global
        .offset:         48
        .size:           8
        .value_kind:     global_buffer
      - .actual_access:  read_only
        .address_space:  global
        .offset:         56
        .size:           8
        .value_kind:     global_buffer
      - .offset:         64
        .size:           4
        .value_kind:     hidden_block_count_x
      - .offset:         68
        .size:           4
        .value_kind:     hidden_block_count_y
      - .offset:         72
        .size:           4
        .value_kind:     hidden_block_count_z
      - .offset:         76
        .size:           2
        .value_kind:     hidden_group_size_x
      - .offset:         78
        .size:           2
        .value_kind:     hidden_group_size_y
      - .offset:         80
        .size:           2
        .value_kind:     hidden_group_size_z
      - .offset:         82
        .size:           2
        .value_kind:     hidden_remainder_x
      - .offset:         84
        .size:           2
        .value_kind:     hidden_remainder_y
      - .offset:         86
        .size:           2
        .value_kind:     hidden_remainder_z
      - .offset:         104
        .size:           8
        .value_kind:     hidden_global_offset_x
      - .offset:         112
        .size:           8
        .value_kind:     hidden_global_offset_y
      - .offset:         120
        .size:           8
        .value_kind:     hidden_global_offset_z
      - .offset:         128
        .size:           2
        .value_kind:     hidden_grid_dims
    .group_segment_fixed_size: 0
    .kernarg_segment_align: 8
    .kernarg_segment_size: 320
    .language:       OpenCL C
    .language_version:
      - 2
      - 0
    .max_flat_workgroup_size: 32
    .name:           _ZN2at6native12_GLOBAL__N_135GammaBetaBackwardCUDAKernelTemplateIN3c104HalfEfLj32ELj1ELj8ELb1ELb0ELb1EEEvllPKT_S7_PKT0_SA_PS5_SB_
    .private_segment_fixed_size: 0
    .sgpr_count:     38
    .sgpr_spill_count: 0
    .symbol:         _ZN2at6native12_GLOBAL__N_135GammaBetaBackwardCUDAKernelTemplateIN3c104HalfEfLj32ELj1ELj8ELb1ELb0ELb1EEEvllPKT_S7_PKT0_SA_PS5_SB_.kd
    .uniform_work_group_size: 1
    .uses_dynamic_stack: false
    .vgpr_count:     98
    .vgpr_spill_count: 0
    .wavefront_size: 32
  - .args:
      - .offset:         0
        .size:           8
        .value_kind:     by_value
      - .offset:         8
        .size:           8
        .value_kind:     by_value
      - .actual_access:  read_only
        .address_space:  global
        .offset:         16
        .size:           8
        .value_kind:     global_buffer
      - .actual_access:  read_only
        .address_space:  global
        .offset:         24
        .size:           8
        .value_kind:     global_buffer
      - .actual_access:  read_only
        .address_space:  global
        .offset:         32
        .size:           8
        .value_kind:     global_buffer
      - .actual_access:  read_only
        .address_space:  global
        .offset:         40
        .size:           8
        .value_kind:     global_buffer
      - .actual_access:  write_only
        .address_space:  global
        .offset:         48
        .size:           8
        .value_kind:     global_buffer
      - .actual_access:  read_only
        .address_space:  global
        .offset:         56
        .size:           8
        .value_kind:     global_buffer
      - .offset:         64
        .size:           4
        .value_kind:     hidden_block_count_x
      - .offset:         68
        .size:           4
        .value_kind:     hidden_block_count_y
      - .offset:         72
        .size:           4
        .value_kind:     hidden_block_count_z
      - .offset:         76
        .size:           2
        .value_kind:     hidden_group_size_x
      - .offset:         78
        .size:           2
        .value_kind:     hidden_group_size_y
      - .offset:         80
        .size:           2
        .value_kind:     hidden_group_size_z
      - .offset:         82
        .size:           2
        .value_kind:     hidden_remainder_x
      - .offset:         84
        .size:           2
        .value_kind:     hidden_remainder_y
      - .offset:         86
        .size:           2
        .value_kind:     hidden_remainder_z
      - .offset:         104
        .size:           8
        .value_kind:     hidden_global_offset_x
      - .offset:         112
        .size:           8
        .value_kind:     hidden_global_offset_y
      - .offset:         120
        .size:           8
        .value_kind:     hidden_global_offset_z
      - .offset:         128
        .size:           2
        .value_kind:     hidden_grid_dims
      - .offset:         184
        .size:           4
        .value_kind:     hidden_dynamic_lds_size
    .group_segment_fixed_size: 0
    .kernarg_segment_align: 8
    .kernarg_segment_size: 320
    .language:       OpenCL C
    .language_version:
      - 2
      - 0
    .max_flat_workgroup_size: 256
    .name:           _ZN2at6native12_GLOBAL__N_135GammaBetaBackwardCUDAKernelTemplateIN3c104HalfEfLj32ELj8ELj64ELb0ELb1ELb1EEEvllPKT_S7_PKT0_SA_PS5_SB_
    .private_segment_fixed_size: 0
    .sgpr_count:     24
    .sgpr_spill_count: 0
    .symbol:         _ZN2at6native12_GLOBAL__N_135GammaBetaBackwardCUDAKernelTemplateIN3c104HalfEfLj32ELj8ELj64ELb0ELb1ELb1EEEvllPKT_S7_PKT0_SA_PS5_SB_.kd
    .uniform_work_group_size: 1
    .uses_dynamic_stack: false
    .vgpr_count:     43
    .vgpr_spill_count: 0
    .wavefront_size: 32
  - .args:
      - .offset:         0
        .size:           8
        .value_kind:     by_value
      - .offset:         8
        .size:           8
        .value_kind:     by_value
      - .actual_access:  read_only
        .address_space:  global
        .offset:         16
        .size:           8
        .value_kind:     global_buffer
      - .actual_access:  read_only
        .address_space:  global
        .offset:         24
        .size:           8
        .value_kind:     global_buffer
      - .actual_access:  read_only
        .address_space:  global
        .offset:         32
        .size:           8
        .value_kind:     global_buffer
      - .actual_access:  read_only
        .address_space:  global
        .offset:         40
        .size:           8
        .value_kind:     global_buffer
      - .actual_access:  write_only
        .address_space:  global
        .offset:         48
        .size:           8
        .value_kind:     global_buffer
      - .actual_access:  read_only
        .address_space:  global
        .offset:         56
        .size:           8
        .value_kind:     global_buffer
      - .offset:         64
        .size:           4
        .value_kind:     hidden_block_count_x
      - .offset:         68
        .size:           4
        .value_kind:     hidden_block_count_y
      - .offset:         72
        .size:           4
        .value_kind:     hidden_block_count_z
      - .offset:         76
        .size:           2
        .value_kind:     hidden_group_size_x
      - .offset:         78
        .size:           2
        .value_kind:     hidden_group_size_y
      - .offset:         80
        .size:           2
        .value_kind:     hidden_group_size_z
      - .offset:         82
        .size:           2
        .value_kind:     hidden_remainder_x
      - .offset:         84
        .size:           2
        .value_kind:     hidden_remainder_y
      - .offset:         86
        .size:           2
        .value_kind:     hidden_remainder_z
      - .offset:         104
        .size:           8
        .value_kind:     hidden_global_offset_x
      - .offset:         112
        .size:           8
        .value_kind:     hidden_global_offset_y
      - .offset:         120
        .size:           8
        .value_kind:     hidden_global_offset_z
      - .offset:         128
        .size:           2
        .value_kind:     hidden_grid_dims
      - .offset:         184
        .size:           4
        .value_kind:     hidden_dynamic_lds_size
    .group_segment_fixed_size: 0
    .kernarg_segment_align: 8
    .kernarg_segment_size: 320
    .language:       OpenCL C
    .language_version:
      - 2
      - 0
    .max_flat_workgroup_size: 256
    .name:           _ZN2at6native12_GLOBAL__N_135GammaBetaBackwardCUDAKernelTemplateIN3c104HalfEfLj32ELj8ELj64ELb0ELb0ELb1EEEvllPKT_S7_PKT0_SA_PS5_SB_
    .private_segment_fixed_size: 0
    .sgpr_count:     52
    .sgpr_spill_count: 0
    .symbol:         _ZN2at6native12_GLOBAL__N_135GammaBetaBackwardCUDAKernelTemplateIN3c104HalfEfLj32ELj8ELj64ELb0ELb0ELb1EEEvllPKT_S7_PKT0_SA_PS5_SB_.kd
    .uniform_work_group_size: 1
    .uses_dynamic_stack: false
    .vgpr_count:     98
    .vgpr_spill_count: 0
    .wavefront_size: 32
  - .args:
      - .offset:         0
        .size:           8
        .value_kind:     by_value
      - .offset:         8
        .size:           8
        .value_kind:     by_value
      - .actual_access:  read_only
        .address_space:  global
        .offset:         16
        .size:           8
        .value_kind:     global_buffer
      - .actual_access:  read_only
        .address_space:  global
        .offset:         24
        .size:           8
        .value_kind:     global_buffer
      - .actual_access:  read_only
        .address_space:  global
        .offset:         32
        .size:           8
        .value_kind:     global_buffer
      - .actual_access:  read_only
        .address_space:  global
        .offset:         40
        .size:           8
        .value_kind:     global_buffer
      - .actual_access:  write_only
        .address_space:  global
        .offset:         48
        .size:           8
        .value_kind:     global_buffer
      - .actual_access:  read_only
        .address_space:  global
        .offset:         56
        .size:           8
        .value_kind:     global_buffer
      - .offset:         64
        .size:           4
        .value_kind:     hidden_block_count_x
      - .offset:         68
        .size:           4
        .value_kind:     hidden_block_count_y
      - .offset:         72
        .size:           4
        .value_kind:     hidden_block_count_z
      - .offset:         76
        .size:           2
        .value_kind:     hidden_group_size_x
      - .offset:         78
        .size:           2
        .value_kind:     hidden_group_size_y
      - .offset:         80
        .size:           2
        .value_kind:     hidden_group_size_z
      - .offset:         82
        .size:           2
        .value_kind:     hidden_remainder_x
      - .offset:         84
        .size:           2
        .value_kind:     hidden_remainder_y
      - .offset:         86
        .size:           2
        .value_kind:     hidden_remainder_z
      - .offset:         104
        .size:           8
        .value_kind:     hidden_global_offset_x
      - .offset:         112
        .size:           8
        .value_kind:     hidden_global_offset_y
      - .offset:         120
        .size:           8
        .value_kind:     hidden_global_offset_z
      - .offset:         128
        .size:           2
        .value_kind:     hidden_grid_dims
      - .offset:         184
        .size:           4
        .value_kind:     hidden_dynamic_lds_size
    .group_segment_fixed_size: 0
    .kernarg_segment_align: 8
    .kernarg_segment_size: 320
    .language:       OpenCL C
    .language_version:
      - 2
      - 0
    .max_flat_workgroup_size: 512
    .name:           _ZN2at6native12_GLOBAL__N_135GammaBetaBackwardCUDAKernelTemplateIN3c104HalfEfLj32ELj16ELj128ELb0ELb1ELb1EEEvllPKT_S7_PKT0_SA_PS5_SB_
    .private_segment_fixed_size: 0
    .sgpr_count:     24
    .sgpr_spill_count: 0
    .symbol:         _ZN2at6native12_GLOBAL__N_135GammaBetaBackwardCUDAKernelTemplateIN3c104HalfEfLj32ELj16ELj128ELb0ELb1ELb1EEEvllPKT_S7_PKT0_SA_PS5_SB_.kd
    .uniform_work_group_size: 1
    .uses_dynamic_stack: false
    .vgpr_count:     43
    .vgpr_spill_count: 0
    .wavefront_size: 32
  - .args:
      - .offset:         0
        .size:           8
        .value_kind:     by_value
      - .offset:         8
        .size:           8
        .value_kind:     by_value
      - .actual_access:  read_only
        .address_space:  global
        .offset:         16
        .size:           8
        .value_kind:     global_buffer
      - .actual_access:  read_only
        .address_space:  global
        .offset:         24
        .size:           8
        .value_kind:     global_buffer
      - .actual_access:  read_only
        .address_space:  global
        .offset:         32
        .size:           8
        .value_kind:     global_buffer
      - .actual_access:  read_only
        .address_space:  global
        .offset:         40
        .size:           8
        .value_kind:     global_buffer
      - .actual_access:  write_only
        .address_space:  global
        .offset:         48
        .size:           8
        .value_kind:     global_buffer
      - .actual_access:  read_only
        .address_space:  global
        .offset:         56
        .size:           8
        .value_kind:     global_buffer
      - .offset:         64
        .size:           4
        .value_kind:     hidden_block_count_x
      - .offset:         68
        .size:           4
        .value_kind:     hidden_block_count_y
      - .offset:         72
        .size:           4
        .value_kind:     hidden_block_count_z
      - .offset:         76
        .size:           2
        .value_kind:     hidden_group_size_x
      - .offset:         78
        .size:           2
        .value_kind:     hidden_group_size_y
      - .offset:         80
        .size:           2
        .value_kind:     hidden_group_size_z
      - .offset:         82
        .size:           2
        .value_kind:     hidden_remainder_x
      - .offset:         84
        .size:           2
        .value_kind:     hidden_remainder_y
      - .offset:         86
        .size:           2
        .value_kind:     hidden_remainder_z
      - .offset:         104
        .size:           8
        .value_kind:     hidden_global_offset_x
      - .offset:         112
        .size:           8
        .value_kind:     hidden_global_offset_y
      - .offset:         120
        .size:           8
        .value_kind:     hidden_global_offset_z
      - .offset:         128
        .size:           2
        .value_kind:     hidden_grid_dims
      - .offset:         184
        .size:           4
        .value_kind:     hidden_dynamic_lds_size
    .group_segment_fixed_size: 0
    .kernarg_segment_align: 8
    .kernarg_segment_size: 320
    .language:       OpenCL C
    .language_version:
      - 2
      - 0
    .max_flat_workgroup_size: 512
    .name:           _ZN2at6native12_GLOBAL__N_135GammaBetaBackwardCUDAKernelTemplateIN3c104HalfEfLj32ELj16ELj128ELb0ELb0ELb1EEEvllPKT_S7_PKT0_SA_PS5_SB_
    .private_segment_fixed_size: 0
    .sgpr_count:     52
    .sgpr_spill_count: 0
    .symbol:         _ZN2at6native12_GLOBAL__N_135GammaBetaBackwardCUDAKernelTemplateIN3c104HalfEfLj32ELj16ELj128ELb0ELb0ELb1EEEvllPKT_S7_PKT0_SA_PS5_SB_.kd
    .uniform_work_group_size: 1
    .uses_dynamic_stack: false
    .vgpr_count:     98
    .vgpr_spill_count: 0
    .wavefront_size: 32
  - .args:
      - .offset:         0
        .size:           8
        .value_kind:     by_value
      - .offset:         8
        .size:           8
        .value_kind:     by_value
      - .actual_access:  read_only
        .address_space:  global
        .offset:         16
        .size:           8
        .value_kind:     global_buffer
      - .actual_access:  read_only
        .address_space:  global
        .offset:         24
        .size:           8
        .value_kind:     global_buffer
      - .actual_access:  read_only
        .address_space:  global
        .offset:         32
        .size:           8
        .value_kind:     global_buffer
      - .actual_access:  read_only
        .address_space:  global
        .offset:         40
        .size:           8
        .value_kind:     global_buffer
      - .actual_access:  write_only
        .address_space:  global
        .offset:         48
        .size:           8
        .value_kind:     global_buffer
      - .actual_access:  read_only
        .address_space:  global
        .offset:         56
        .size:           8
        .value_kind:     global_buffer
      - .offset:         64
        .size:           4
        .value_kind:     hidden_block_count_x
      - .offset:         68
        .size:           4
        .value_kind:     hidden_block_count_y
      - .offset:         72
        .size:           4
        .value_kind:     hidden_block_count_z
      - .offset:         76
        .size:           2
        .value_kind:     hidden_group_size_x
      - .offset:         78
        .size:           2
        .value_kind:     hidden_group_size_y
      - .offset:         80
        .size:           2
        .value_kind:     hidden_group_size_z
      - .offset:         82
        .size:           2
        .value_kind:     hidden_remainder_x
      - .offset:         84
        .size:           2
        .value_kind:     hidden_remainder_y
      - .offset:         86
        .size:           2
        .value_kind:     hidden_remainder_z
      - .offset:         104
        .size:           8
        .value_kind:     hidden_global_offset_x
      - .offset:         112
        .size:           8
        .value_kind:     hidden_global_offset_y
      - .offset:         120
        .size:           8
        .value_kind:     hidden_global_offset_z
      - .offset:         128
        .size:           2
        .value_kind:     hidden_grid_dims
      - .offset:         184
        .size:           4
        .value_kind:     hidden_dynamic_lds_size
    .group_segment_fixed_size: 0
    .kernarg_segment_align: 8
    .kernarg_segment_size: 320
    .language:       OpenCL C
    .language_version:
      - 2
      - 0
    .max_flat_workgroup_size: 1024
    .name:           _ZN2at6native12_GLOBAL__N_135GammaBetaBackwardCUDAKernelTemplateIN3c104HalfEfLj32ELj32ELj256ELb0ELb1ELb1EEEvllPKT_S7_PKT0_SA_PS5_SB_
    .private_segment_fixed_size: 0
    .sgpr_count:     24
    .sgpr_spill_count: 0
    .symbol:         _ZN2at6native12_GLOBAL__N_135GammaBetaBackwardCUDAKernelTemplateIN3c104HalfEfLj32ELj32ELj256ELb0ELb1ELb1EEEvllPKT_S7_PKT0_SA_PS5_SB_.kd
    .uniform_work_group_size: 1
    .uses_dynamic_stack: false
    .vgpr_count:     43
    .vgpr_spill_count: 0
    .wavefront_size: 32
  - .args:
      - .offset:         0
        .size:           8
        .value_kind:     by_value
      - .offset:         8
        .size:           8
        .value_kind:     by_value
      - .actual_access:  read_only
        .address_space:  global
        .offset:         16
        .size:           8
        .value_kind:     global_buffer
      - .actual_access:  read_only
        .address_space:  global
        .offset:         24
        .size:           8
        .value_kind:     global_buffer
      - .actual_access:  read_only
        .address_space:  global
        .offset:         32
        .size:           8
        .value_kind:     global_buffer
      - .actual_access:  read_only
        .address_space:  global
        .offset:         40
        .size:           8
        .value_kind:     global_buffer
      - .actual_access:  write_only
        .address_space:  global
        .offset:         48
        .size:           8
        .value_kind:     global_buffer
      - .actual_access:  read_only
        .address_space:  global
        .offset:         56
        .size:           8
        .value_kind:     global_buffer
      - .offset:         64
        .size:           4
        .value_kind:     hidden_block_count_x
      - .offset:         68
        .size:           4
        .value_kind:     hidden_block_count_y
      - .offset:         72
        .size:           4
        .value_kind:     hidden_block_count_z
      - .offset:         76
        .size:           2
        .value_kind:     hidden_group_size_x
      - .offset:         78
        .size:           2
        .value_kind:     hidden_group_size_y
      - .offset:         80
        .size:           2
        .value_kind:     hidden_group_size_z
      - .offset:         82
        .size:           2
        .value_kind:     hidden_remainder_x
      - .offset:         84
        .size:           2
        .value_kind:     hidden_remainder_y
      - .offset:         86
        .size:           2
        .value_kind:     hidden_remainder_z
      - .offset:         104
        .size:           8
        .value_kind:     hidden_global_offset_x
      - .offset:         112
        .size:           8
        .value_kind:     hidden_global_offset_y
      - .offset:         120
        .size:           8
        .value_kind:     hidden_global_offset_z
      - .offset:         128
        .size:           2
        .value_kind:     hidden_grid_dims
      - .offset:         184
        .size:           4
        .value_kind:     hidden_dynamic_lds_size
    .group_segment_fixed_size: 0
    .kernarg_segment_align: 8
    .kernarg_segment_size: 320
    .language:       OpenCL C
    .language_version:
      - 2
      - 0
    .max_flat_workgroup_size: 1024
    .name:           _ZN2at6native12_GLOBAL__N_135GammaBetaBackwardCUDAKernelTemplateIN3c104HalfEfLj32ELj32ELj256ELb0ELb0ELb1EEEvllPKT_S7_PKT0_SA_PS5_SB_
    .private_segment_fixed_size: 0
    .sgpr_count:     52
    .sgpr_spill_count: 0
    .symbol:         _ZN2at6native12_GLOBAL__N_135GammaBetaBackwardCUDAKernelTemplateIN3c104HalfEfLj32ELj32ELj256ELb0ELb0ELb1EEEvllPKT_S7_PKT0_SA_PS5_SB_.kd
    .uniform_work_group_size: 1
    .uses_dynamic_stack: false
    .vgpr_count:     96
    .vgpr_spill_count: 0
    .wavefront_size: 32
  - .args:
      - .actual_access:  read_only
        .address_space:  global
        .offset:         0
        .size:           8
        .value_kind:     global_buffer
      - .actual_access:  read_only
        .address_space:  global
        .offset:         8
        .size:           8
        .value_kind:     global_buffer
      - .offset:         16
        .size:           8
        .value_kind:     by_value
      - .offset:         24
        .size:           8
        .value_kind:     by_value
      - .actual_access:  read_only
        .address_space:  global
        .offset:         32
        .size:           8
        .value_kind:     global_buffer
      - .actual_access:  read_only
        .address_space:  global
        .offset:         40
        .size:           8
        .value_kind:     global_buffer
      - .address_space:  global
        .offset:         48
        .size:           8
        .value_kind:     global_buffer
      - .address_space:  global
        .offset:         56
        .size:           8
        .value_kind:     global_buffer
      - .offset:         64
        .size:           4
        .value_kind:     hidden_block_count_x
      - .offset:         68
        .size:           4
        .value_kind:     hidden_block_count_y
      - .offset:         72
        .size:           4
        .value_kind:     hidden_block_count_z
      - .offset:         76
        .size:           2
        .value_kind:     hidden_group_size_x
      - .offset:         78
        .size:           2
        .value_kind:     hidden_group_size_y
      - .offset:         80
        .size:           2
        .value_kind:     hidden_group_size_z
      - .offset:         82
        .size:           2
        .value_kind:     hidden_remainder_x
      - .offset:         84
        .size:           2
        .value_kind:     hidden_remainder_y
      - .offset:         86
        .size:           2
        .value_kind:     hidden_remainder_z
      - .offset:         104
        .size:           8
        .value_kind:     hidden_global_offset_x
      - .offset:         112
        .size:           8
        .value_kind:     hidden_global_offset_y
      - .offset:         120
        .size:           8
        .value_kind:     hidden_global_offset_z
      - .offset:         128
        .size:           2
        .value_kind:     hidden_grid_dims
      - .offset:         184
        .size:           4
        .value_kind:     hidden_dynamic_lds_size
    .group_segment_fixed_size: 0
    .kernarg_segment_align: 8
    .kernarg_segment_size: 320
    .language:       OpenCL C
    .language_version:
      - 2
      - 0
    .max_flat_workgroup_size: 1024
    .name:           _ZN2at6native12_GLOBAL__N_118cuComputeGradInputIN3c108BFloat16EfLb1EEEvPKT_S7_llPKT0_SA_S7_PS5_
    .private_segment_fixed_size: 0
    .sgpr_count:     41
    .sgpr_spill_count: 0
    .symbol:         _ZN2at6native12_GLOBAL__N_118cuComputeGradInputIN3c108BFloat16EfLb1EEEvPKT_S7_llPKT0_SA_S7_PS5_.kd
    .uniform_work_group_size: 1
    .uses_dynamic_stack: false
    .vgpr_count:     28
    .vgpr_spill_count: 0
    .wavefront_size: 32
  - .args:
      - .actual_access:  read_only
        .address_space:  global
        .offset:         0
        .size:           8
        .value_kind:     global_buffer
      - .actual_access:  read_only
        .address_space:  global
        .offset:         8
        .size:           8
        .value_kind:     global_buffer
      - .actual_access:  read_only
        .address_space:  global
        .offset:         16
        .size:           8
        .value_kind:     global_buffer
      - .actual_access:  read_only
        .address_space:  global
        .offset:         24
        .size:           8
        .value_kind:     global_buffer
      - .actual_access:  read_only
        .address_space:  global
        .offset:         32
        .size:           8
        .value_kind:     global_buffer
      - .address_space:  global
        .offset:         40
        .size:           8
        .value_kind:     global_buffer
      - .offset:         48
        .size:           4
        .value_kind:     by_value
      - .offset:         56
        .size:           4
        .value_kind:     hidden_block_count_x
      - .offset:         60
        .size:           4
        .value_kind:     hidden_block_count_y
      - .offset:         64
        .size:           4
        .value_kind:     hidden_block_count_z
      - .offset:         68
        .size:           2
        .value_kind:     hidden_group_size_x
      - .offset:         70
        .size:           2
        .value_kind:     hidden_group_size_y
      - .offset:         72
        .size:           2
        .value_kind:     hidden_group_size_z
      - .offset:         74
        .size:           2
        .value_kind:     hidden_remainder_x
      - .offset:         76
        .size:           2
        .value_kind:     hidden_remainder_y
      - .offset:         78
        .size:           2
        .value_kind:     hidden_remainder_z
      - .offset:         96
        .size:           8
        .value_kind:     hidden_global_offset_x
      - .offset:         104
        .size:           8
        .value_kind:     hidden_global_offset_y
      - .offset:         112
        .size:           8
        .value_kind:     hidden_global_offset_z
      - .offset:         120
        .size:           2
        .value_kind:     hidden_grid_dims
      - .offset:         176
        .size:           4
        .value_kind:     hidden_dynamic_lds_size
    .group_segment_fixed_size: 0
    .kernarg_segment_align: 8
    .kernarg_segment_size: 312
    .language:       OpenCL C
    .language_version:
      - 2
      - 0
    .max_flat_workgroup_size: 1024
    .name:           _ZN2at6native12_GLOBAL__N_128layer_norm_grad_input_kernelIN3c108BFloat16EfLb1EEEvPKT_S7_PKT0_SA_S7_PS5_i
    .private_segment_fixed_size: 0
    .sgpr_count:     24
    .sgpr_spill_count: 0
    .symbol:         _ZN2at6native12_GLOBAL__N_128layer_norm_grad_input_kernelIN3c108BFloat16EfLb1EEEvPKT_S7_PKT0_SA_S7_PS5_i.kd
    .uniform_work_group_size: 1
    .uses_dynamic_stack: false
    .vgpr_count:     20
    .vgpr_spill_count: 0
    .wavefront_size: 32
  - .args:
      - .offset:         0
        .size:           8
        .value_kind:     by_value
      - .offset:         8
        .size:           8
        .value_kind:     by_value
      - .address_space:  global
        .offset:         16
        .size:           8
        .value_kind:     global_buffer
      - .address_space:  global
        .offset:         24
        .size:           8
        .value_kind:     global_buffer
      - .address_space:  global
        .offset:         32
        .size:           8
        .value_kind:     global_buffer
      - .address_space:  global
        .offset:         40
        .size:           8
        .value_kind:     global_buffer
      - .address_space:  global
        .offset:         48
        .size:           8
        .value_kind:     global_buffer
      - .address_space:  global
        .offset:         56
        .size:           8
        .value_kind:     global_buffer
      - .offset:         64
        .size:           4
        .value_kind:     hidden_block_count_x
      - .offset:         68
        .size:           4
        .value_kind:     hidden_block_count_y
      - .offset:         72
        .size:           4
        .value_kind:     hidden_block_count_z
      - .offset:         76
        .size:           2
        .value_kind:     hidden_group_size_x
      - .offset:         78
        .size:           2
        .value_kind:     hidden_group_size_y
      - .offset:         80
        .size:           2
        .value_kind:     hidden_group_size_z
      - .offset:         82
        .size:           2
        .value_kind:     hidden_remainder_x
      - .offset:         84
        .size:           2
        .value_kind:     hidden_remainder_y
      - .offset:         86
        .size:           2
        .value_kind:     hidden_remainder_z
      - .offset:         104
        .size:           8
        .value_kind:     hidden_global_offset_x
      - .offset:         112
        .size:           8
        .value_kind:     hidden_global_offset_y
      - .offset:         120
        .size:           8
        .value_kind:     hidden_global_offset_z
      - .offset:         128
        .size:           2
        .value_kind:     hidden_grid_dims
    .group_segment_fixed_size: 0
    .kernarg_segment_align: 8
    .kernarg_segment_size: 320
    .language:       OpenCL C
    .language_version:
      - 2
      - 0
    .max_flat_workgroup_size: 1024
    .name:           _ZN2at6native12_GLOBAL__N_133GammaBetaBackwardSimpleCUDAKernelIN3c108BFloat16EfLb1EEEvllPKT_S7_PKT0_SA_PS5_SB_
    .private_segment_fixed_size: 0
    .sgpr_count:     18
    .sgpr_spill_count: 0
    .symbol:         _ZN2at6native12_GLOBAL__N_133GammaBetaBackwardSimpleCUDAKernelIN3c108BFloat16EfLb1EEEvllPKT_S7_PKT0_SA_PS5_SB_.kd
    .uniform_work_group_size: 1
    .uses_dynamic_stack: false
    .vgpr_count:     11
    .vgpr_spill_count: 0
    .wavefront_size: 32
  - .args:
      - .offset:         0
        .size:           8
        .value_kind:     by_value
      - .offset:         8
        .size:           8
        .value_kind:     by_value
      - .actual_access:  read_only
        .address_space:  global
        .offset:         16
        .size:           8
        .value_kind:     global_buffer
      - .actual_access:  read_only
        .address_space:  global
        .offset:         24
        .size:           8
        .value_kind:     global_buffer
      - .actual_access:  read_only
        .address_space:  global
        .offset:         32
        .size:           8
        .value_kind:     global_buffer
      - .actual_access:  read_only
        .address_space:  global
        .offset:         40
        .size:           8
        .value_kind:     global_buffer
      - .actual_access:  write_only
        .address_space:  global
        .offset:         48
        .size:           8
        .value_kind:     global_buffer
      - .actual_access:  read_only
        .address_space:  global
        .offset:         56
        .size:           8
        .value_kind:     global_buffer
      - .offset:         64
        .size:           4
        .value_kind:     hidden_block_count_x
      - .offset:         68
        .size:           4
        .value_kind:     hidden_block_count_y
      - .offset:         72
        .size:           4
        .value_kind:     hidden_block_count_z
      - .offset:         76
        .size:           2
        .value_kind:     hidden_group_size_x
      - .offset:         78
        .size:           2
        .value_kind:     hidden_group_size_y
      - .offset:         80
        .size:           2
        .value_kind:     hidden_group_size_z
      - .offset:         82
        .size:           2
        .value_kind:     hidden_remainder_x
      - .offset:         84
        .size:           2
        .value_kind:     hidden_remainder_y
      - .offset:         86
        .size:           2
        .value_kind:     hidden_remainder_z
      - .offset:         104
        .size:           8
        .value_kind:     hidden_global_offset_x
      - .offset:         112
        .size:           8
        .value_kind:     hidden_global_offset_y
      - .offset:         120
        .size:           8
        .value_kind:     hidden_global_offset_z
      - .offset:         128
        .size:           2
        .value_kind:     hidden_grid_dims
    .group_segment_fixed_size: 0
    .kernarg_segment_align: 8
    .kernarg_segment_size: 320
    .language:       OpenCL C
    .language_version:
      - 2
      - 0
    .max_flat_workgroup_size: 64
    .name:           _ZN2at6native12_GLOBAL__N_135GammaBetaBackwardCUDAKernelTemplateIN3c108BFloat16EfLj64ELj1ELj32ELb1ELb1ELb1EEEvllPKT_S7_PKT0_SA_PS5_SB_
    .private_segment_fixed_size: 0
    .sgpr_count:     25
    .sgpr_spill_count: 0
    .symbol:         _ZN2at6native12_GLOBAL__N_135GammaBetaBackwardCUDAKernelTemplateIN3c108BFloat16EfLj64ELj1ELj32ELb1ELb1ELb1EEEvllPKT_S7_PKT0_SA_PS5_SB_.kd
    .uniform_work_group_size: 1
    .uses_dynamic_stack: false
    .vgpr_count:     68
    .vgpr_spill_count: 0
    .wavefront_size: 32
  - .args:
      - .offset:         0
        .size:           8
        .value_kind:     by_value
      - .offset:         8
        .size:           8
        .value_kind:     by_value
      - .actual_access:  read_only
        .address_space:  global
        .offset:         16
        .size:           8
        .value_kind:     global_buffer
      - .actual_access:  read_only
        .address_space:  global
        .offset:         24
        .size:           8
        .value_kind:     global_buffer
      - .actual_access:  read_only
        .address_space:  global
        .offset:         32
        .size:           8
        .value_kind:     global_buffer
      - .actual_access:  read_only
        .address_space:  global
        .offset:         40
        .size:           8
        .value_kind:     global_buffer
      - .actual_access:  write_only
        .address_space:  global
        .offset:         48
        .size:           8
        .value_kind:     global_buffer
      - .actual_access:  read_only
        .address_space:  global
        .offset:         56
        .size:           8
        .value_kind:     global_buffer
      - .offset:         64
        .size:           4
        .value_kind:     hidden_block_count_x
      - .offset:         68
        .size:           4
        .value_kind:     hidden_block_count_y
      - .offset:         72
        .size:           4
        .value_kind:     hidden_block_count_z
      - .offset:         76
        .size:           2
        .value_kind:     hidden_group_size_x
      - .offset:         78
        .size:           2
        .value_kind:     hidden_group_size_y
      - .offset:         80
        .size:           2
        .value_kind:     hidden_group_size_z
      - .offset:         82
        .size:           2
        .value_kind:     hidden_remainder_x
      - .offset:         84
        .size:           2
        .value_kind:     hidden_remainder_y
      - .offset:         86
        .size:           2
        .value_kind:     hidden_remainder_z
      - .offset:         104
        .size:           8
        .value_kind:     hidden_global_offset_x
      - .offset:         112
        .size:           8
        .value_kind:     hidden_global_offset_y
      - .offset:         120
        .size:           8
        .value_kind:     hidden_global_offset_z
      - .offset:         128
        .size:           2
        .value_kind:     hidden_grid_dims
    .group_segment_fixed_size: 0
    .kernarg_segment_align: 8
    .kernarg_segment_size: 320
    .language:       OpenCL C
    .language_version:
      - 2
      - 0
    .max_flat_workgroup_size: 64
    .name:           _ZN2at6native12_GLOBAL__N_135GammaBetaBackwardCUDAKernelTemplateIN3c108BFloat16EfLj64ELj1ELj32ELb1ELb0ELb1EEEvllPKT_S7_PKT0_SA_PS5_SB_
    .private_segment_fixed_size: 0
    .sgpr_count:     38
    .sgpr_spill_count: 0
    .symbol:         _ZN2at6native12_GLOBAL__N_135GammaBetaBackwardCUDAKernelTemplateIN3c108BFloat16EfLj64ELj1ELj32ELb1ELb0ELb1EEEvllPKT_S7_PKT0_SA_PS5_SB_.kd
    .uniform_work_group_size: 1
    .uses_dynamic_stack: false
    .vgpr_count:     337
    .vgpr_spill_count: 0
    .wavefront_size: 32
  - .args:
      - .offset:         0
        .size:           8
        .value_kind:     by_value
      - .offset:         8
        .size:           8
        .value_kind:     by_value
      - .actual_access:  read_only
        .address_space:  global
        .offset:         16
        .size:           8
        .value_kind:     global_buffer
      - .actual_access:  read_only
        .address_space:  global
        .offset:         24
        .size:           8
        .value_kind:     global_buffer
      - .actual_access:  read_only
        .address_space:  global
        .offset:         32
        .size:           8
        .value_kind:     global_buffer
      - .actual_access:  read_only
        .address_space:  global
        .offset:         40
        .size:           8
        .value_kind:     global_buffer
      - .actual_access:  write_only
        .address_space:  global
        .offset:         48
        .size:           8
        .value_kind:     global_buffer
      - .actual_access:  read_only
        .address_space:  global
        .offset:         56
        .size:           8
        .value_kind:     global_buffer
      - .offset:         64
        .size:           4
        .value_kind:     hidden_block_count_x
      - .offset:         68
        .size:           4
        .value_kind:     hidden_block_count_y
      - .offset:         72
        .size:           4
        .value_kind:     hidden_block_count_z
      - .offset:         76
        .size:           2
        .value_kind:     hidden_group_size_x
      - .offset:         78
        .size:           2
        .value_kind:     hidden_group_size_y
      - .offset:         80
        .size:           2
        .value_kind:     hidden_group_size_z
      - .offset:         82
        .size:           2
        .value_kind:     hidden_remainder_x
      - .offset:         84
        .size:           2
        .value_kind:     hidden_remainder_y
      - .offset:         86
        .size:           2
        .value_kind:     hidden_remainder_z
      - .offset:         104
        .size:           8
        .value_kind:     hidden_global_offset_x
      - .offset:         112
        .size:           8
        .value_kind:     hidden_global_offset_y
      - .offset:         120
        .size:           8
        .value_kind:     hidden_global_offset_z
      - .offset:         128
        .size:           2
        .value_kind:     hidden_grid_dims
    .group_segment_fixed_size: 0
    .kernarg_segment_align: 8
    .kernarg_segment_size: 320
    .language:       OpenCL C
    .language_version:
      - 2
      - 0
    .max_flat_workgroup_size: 64
    .name:           _ZN2at6native12_GLOBAL__N_135GammaBetaBackwardCUDAKernelTemplateIN3c108BFloat16EfLj64ELj1ELj8ELb1ELb1ELb1EEEvllPKT_S7_PKT0_SA_PS5_SB_
    .private_segment_fixed_size: 0
    .sgpr_count:     27
    .sgpr_spill_count: 0
    .symbol:         _ZN2at6native12_GLOBAL__N_135GammaBetaBackwardCUDAKernelTemplateIN3c108BFloat16EfLj64ELj1ELj8ELb1ELb1ELb1EEEvllPKT_S7_PKT0_SA_PS5_SB_.kd
    .uniform_work_group_size: 1
    .uses_dynamic_stack: false
    .vgpr_count:     43
    .vgpr_spill_count: 0
    .wavefront_size: 32
  - .args:
      - .offset:         0
        .size:           8
        .value_kind:     by_value
      - .offset:         8
        .size:           8
        .value_kind:     by_value
      - .actual_access:  read_only
        .address_space:  global
        .offset:         16
        .size:           8
        .value_kind:     global_buffer
      - .actual_access:  read_only
        .address_space:  global
        .offset:         24
        .size:           8
        .value_kind:     global_buffer
      - .actual_access:  read_only
        .address_space:  global
        .offset:         32
        .size:           8
        .value_kind:     global_buffer
      - .actual_access:  read_only
        .address_space:  global
        .offset:         40
        .size:           8
        .value_kind:     global_buffer
      - .actual_access:  write_only
        .address_space:  global
        .offset:         48
        .size:           8
        .value_kind:     global_buffer
      - .actual_access:  read_only
        .address_space:  global
        .offset:         56
        .size:           8
        .value_kind:     global_buffer
      - .offset:         64
        .size:           4
        .value_kind:     hidden_block_count_x
      - .offset:         68
        .size:           4
        .value_kind:     hidden_block_count_y
      - .offset:         72
        .size:           4
        .value_kind:     hidden_block_count_z
      - .offset:         76
        .size:           2
        .value_kind:     hidden_group_size_x
      - .offset:         78
        .size:           2
        .value_kind:     hidden_group_size_y
      - .offset:         80
        .size:           2
        .value_kind:     hidden_group_size_z
      - .offset:         82
        .size:           2
        .value_kind:     hidden_remainder_x
      - .offset:         84
        .size:           2
        .value_kind:     hidden_remainder_y
      - .offset:         86
        .size:           2
        .value_kind:     hidden_remainder_z
      - .offset:         104
        .size:           8
        .value_kind:     hidden_global_offset_x
      - .offset:         112
        .size:           8
        .value_kind:     hidden_global_offset_y
      - .offset:         120
        .size:           8
        .value_kind:     hidden_global_offset_z
      - .offset:         128
        .size:           2
        .value_kind:     hidden_grid_dims
    .group_segment_fixed_size: 0
    .kernarg_segment_align: 8
    .kernarg_segment_size: 320
    .language:       OpenCL C
    .language_version:
      - 2
      - 0
    .max_flat_workgroup_size: 64
    .name:           _ZN2at6native12_GLOBAL__N_135GammaBetaBackwardCUDAKernelTemplateIN3c108BFloat16EfLj64ELj1ELj8ELb1ELb0ELb1EEEvllPKT_S7_PKT0_SA_PS5_SB_
    .private_segment_fixed_size: 0
    .sgpr_count:     38
    .sgpr_spill_count: 0
    .symbol:         _ZN2at6native12_GLOBAL__N_135GammaBetaBackwardCUDAKernelTemplateIN3c108BFloat16EfLj64ELj1ELj8ELb1ELb0ELb1EEEvllPKT_S7_PKT0_SA_PS5_SB_.kd
    .uniform_work_group_size: 1
    .uses_dynamic_stack: false
    .vgpr_count:     98
    .vgpr_spill_count: 0
    .wavefront_size: 32
  - .args:
      - .offset:         0
        .size:           8
        .value_kind:     by_value
      - .offset:         8
        .size:           8
        .value_kind:     by_value
      - .actual_access:  read_only
        .address_space:  global
        .offset:         16
        .size:           8
        .value_kind:     global_buffer
      - .actual_access:  read_only
        .address_space:  global
        .offset:         24
        .size:           8
        .value_kind:     global_buffer
      - .actual_access:  read_only
        .address_space:  global
        .offset:         32
        .size:           8
        .value_kind:     global_buffer
      - .actual_access:  read_only
        .address_space:  global
        .offset:         40
        .size:           8
        .value_kind:     global_buffer
      - .actual_access:  write_only
        .address_space:  global
        .offset:         48
        .size:           8
        .value_kind:     global_buffer
      - .actual_access:  read_only
        .address_space:  global
        .offset:         56
        .size:           8
        .value_kind:     global_buffer
      - .offset:         64
        .size:           4
        .value_kind:     hidden_block_count_x
      - .offset:         68
        .size:           4
        .value_kind:     hidden_block_count_y
      - .offset:         72
        .size:           4
        .value_kind:     hidden_block_count_z
      - .offset:         76
        .size:           2
        .value_kind:     hidden_group_size_x
      - .offset:         78
        .size:           2
        .value_kind:     hidden_group_size_y
      - .offset:         80
        .size:           2
        .value_kind:     hidden_group_size_z
      - .offset:         82
        .size:           2
        .value_kind:     hidden_remainder_x
      - .offset:         84
        .size:           2
        .value_kind:     hidden_remainder_y
      - .offset:         86
        .size:           2
        .value_kind:     hidden_remainder_z
      - .offset:         104
        .size:           8
        .value_kind:     hidden_global_offset_x
      - .offset:         112
        .size:           8
        .value_kind:     hidden_global_offset_y
      - .offset:         120
        .size:           8
        .value_kind:     hidden_global_offset_z
      - .offset:         128
        .size:           2
        .value_kind:     hidden_grid_dims
      - .offset:         184
        .size:           4
        .value_kind:     hidden_dynamic_lds_size
    .group_segment_fixed_size: 0
    .kernarg_segment_align: 8
    .kernarg_segment_size: 320
    .language:       OpenCL C
    .language_version:
      - 2
      - 0
    .max_flat_workgroup_size: 512
    .name:           _ZN2at6native12_GLOBAL__N_135GammaBetaBackwardCUDAKernelTemplateIN3c108BFloat16EfLj64ELj8ELj64ELb0ELb1ELb1EEEvllPKT_S7_PKT0_SA_PS5_SB_
    .private_segment_fixed_size: 0
    .sgpr_count:     24
    .sgpr_spill_count: 0
    .symbol:         _ZN2at6native12_GLOBAL__N_135GammaBetaBackwardCUDAKernelTemplateIN3c108BFloat16EfLj64ELj8ELj64ELb0ELb1ELb1EEEvllPKT_S7_PKT0_SA_PS5_SB_.kd
    .uniform_work_group_size: 1
    .uses_dynamic_stack: false
    .vgpr_count:     43
    .vgpr_spill_count: 0
    .wavefront_size: 32
  - .args:
      - .offset:         0
        .size:           8
        .value_kind:     by_value
      - .offset:         8
        .size:           8
        .value_kind:     by_value
      - .actual_access:  read_only
        .address_space:  global
        .offset:         16
        .size:           8
        .value_kind:     global_buffer
      - .actual_access:  read_only
        .address_space:  global
        .offset:         24
        .size:           8
        .value_kind:     global_buffer
      - .actual_access:  read_only
        .address_space:  global
        .offset:         32
        .size:           8
        .value_kind:     global_buffer
      - .actual_access:  read_only
        .address_space:  global
        .offset:         40
        .size:           8
        .value_kind:     global_buffer
      - .actual_access:  write_only
        .address_space:  global
        .offset:         48
        .size:           8
        .value_kind:     global_buffer
      - .actual_access:  read_only
        .address_space:  global
        .offset:         56
        .size:           8
        .value_kind:     global_buffer
      - .offset:         64
        .size:           4
        .value_kind:     hidden_block_count_x
      - .offset:         68
        .size:           4
        .value_kind:     hidden_block_count_y
      - .offset:         72
        .size:           4
        .value_kind:     hidden_block_count_z
      - .offset:         76
        .size:           2
        .value_kind:     hidden_group_size_x
      - .offset:         78
        .size:           2
        .value_kind:     hidden_group_size_y
      - .offset:         80
        .size:           2
        .value_kind:     hidden_group_size_z
      - .offset:         82
        .size:           2
        .value_kind:     hidden_remainder_x
      - .offset:         84
        .size:           2
        .value_kind:     hidden_remainder_y
      - .offset:         86
        .size:           2
        .value_kind:     hidden_remainder_z
      - .offset:         104
        .size:           8
        .value_kind:     hidden_global_offset_x
      - .offset:         112
        .size:           8
        .value_kind:     hidden_global_offset_y
      - .offset:         120
        .size:           8
        .value_kind:     hidden_global_offset_z
      - .offset:         128
        .size:           2
        .value_kind:     hidden_grid_dims
      - .offset:         184
        .size:           4
        .value_kind:     hidden_dynamic_lds_size
    .group_segment_fixed_size: 0
    .kernarg_segment_align: 8
    .kernarg_segment_size: 320
    .language:       OpenCL C
    .language_version:
      - 2
      - 0
    .max_flat_workgroup_size: 512
    .name:           _ZN2at6native12_GLOBAL__N_135GammaBetaBackwardCUDAKernelTemplateIN3c108BFloat16EfLj64ELj8ELj64ELb0ELb0ELb1EEEvllPKT_S7_PKT0_SA_PS5_SB_
    .private_segment_fixed_size: 0
    .sgpr_count:     52
    .sgpr_spill_count: 0
    .symbol:         _ZN2at6native12_GLOBAL__N_135GammaBetaBackwardCUDAKernelTemplateIN3c108BFloat16EfLj64ELj8ELj64ELb0ELb0ELb1EEEvllPKT_S7_PKT0_SA_PS5_SB_.kd
    .uniform_work_group_size: 1
    .uses_dynamic_stack: false
    .vgpr_count:     98
    .vgpr_spill_count: 0
    .wavefront_size: 32
  - .args:
      - .offset:         0
        .size:           8
        .value_kind:     by_value
      - .offset:         8
        .size:           8
        .value_kind:     by_value
      - .actual_access:  read_only
        .address_space:  global
        .offset:         16
        .size:           8
        .value_kind:     global_buffer
      - .actual_access:  read_only
        .address_space:  global
        .offset:         24
        .size:           8
        .value_kind:     global_buffer
      - .actual_access:  read_only
        .address_space:  global
        .offset:         32
        .size:           8
        .value_kind:     global_buffer
      - .actual_access:  read_only
        .address_space:  global
        .offset:         40
        .size:           8
        .value_kind:     global_buffer
      - .actual_access:  write_only
        .address_space:  global
        .offset:         48
        .size:           8
        .value_kind:     global_buffer
      - .actual_access:  read_only
        .address_space:  global
        .offset:         56
        .size:           8
        .value_kind:     global_buffer
      - .offset:         64
        .size:           4
        .value_kind:     hidden_block_count_x
      - .offset:         68
        .size:           4
        .value_kind:     hidden_block_count_y
      - .offset:         72
        .size:           4
        .value_kind:     hidden_block_count_z
      - .offset:         76
        .size:           2
        .value_kind:     hidden_group_size_x
      - .offset:         78
        .size:           2
        .value_kind:     hidden_group_size_y
      - .offset:         80
        .size:           2
        .value_kind:     hidden_group_size_z
      - .offset:         82
        .size:           2
        .value_kind:     hidden_remainder_x
      - .offset:         84
        .size:           2
        .value_kind:     hidden_remainder_y
      - .offset:         86
        .size:           2
        .value_kind:     hidden_remainder_z
      - .offset:         104
        .size:           8
        .value_kind:     hidden_global_offset_x
      - .offset:         112
        .size:           8
        .value_kind:     hidden_global_offset_y
      - .offset:         120
        .size:           8
        .value_kind:     hidden_global_offset_z
      - .offset:         128
        .size:           2
        .value_kind:     hidden_grid_dims
      - .offset:         184
        .size:           4
        .value_kind:     hidden_dynamic_lds_size
    .group_segment_fixed_size: 0
    .kernarg_segment_align: 8
    .kernarg_segment_size: 320
    .language:       OpenCL C
    .language_version:
      - 2
      - 0
    .max_flat_workgroup_size: 1024
    .name:           _ZN2at6native12_GLOBAL__N_135GammaBetaBackwardCUDAKernelTemplateIN3c108BFloat16EfLj64ELj16ELj128ELb0ELb1ELb1EEEvllPKT_S7_PKT0_SA_PS5_SB_
    .private_segment_fixed_size: 0
    .sgpr_count:     24
    .sgpr_spill_count: 0
    .symbol:         _ZN2at6native12_GLOBAL__N_135GammaBetaBackwardCUDAKernelTemplateIN3c108BFloat16EfLj64ELj16ELj128ELb0ELb1ELb1EEEvllPKT_S7_PKT0_SA_PS5_SB_.kd
    .uniform_work_group_size: 1
    .uses_dynamic_stack: false
    .vgpr_count:     43
    .vgpr_spill_count: 0
    .wavefront_size: 32
  - .args:
      - .offset:         0
        .size:           8
        .value_kind:     by_value
      - .offset:         8
        .size:           8
        .value_kind:     by_value
      - .actual_access:  read_only
        .address_space:  global
        .offset:         16
        .size:           8
        .value_kind:     global_buffer
      - .actual_access:  read_only
        .address_space:  global
        .offset:         24
        .size:           8
        .value_kind:     global_buffer
      - .actual_access:  read_only
        .address_space:  global
        .offset:         32
        .size:           8
        .value_kind:     global_buffer
      - .actual_access:  read_only
        .address_space:  global
        .offset:         40
        .size:           8
        .value_kind:     global_buffer
      - .actual_access:  write_only
        .address_space:  global
        .offset:         48
        .size:           8
        .value_kind:     global_buffer
      - .actual_access:  read_only
        .address_space:  global
        .offset:         56
        .size:           8
        .value_kind:     global_buffer
      - .offset:         64
        .size:           4
        .value_kind:     hidden_block_count_x
      - .offset:         68
        .size:           4
        .value_kind:     hidden_block_count_y
      - .offset:         72
        .size:           4
        .value_kind:     hidden_block_count_z
      - .offset:         76
        .size:           2
        .value_kind:     hidden_group_size_x
      - .offset:         78
        .size:           2
        .value_kind:     hidden_group_size_y
      - .offset:         80
        .size:           2
        .value_kind:     hidden_group_size_z
      - .offset:         82
        .size:           2
        .value_kind:     hidden_remainder_x
      - .offset:         84
        .size:           2
        .value_kind:     hidden_remainder_y
      - .offset:         86
        .size:           2
        .value_kind:     hidden_remainder_z
      - .offset:         104
        .size:           8
        .value_kind:     hidden_global_offset_x
      - .offset:         112
        .size:           8
        .value_kind:     hidden_global_offset_y
      - .offset:         120
        .size:           8
        .value_kind:     hidden_global_offset_z
      - .offset:         128
        .size:           2
        .value_kind:     hidden_grid_dims
      - .offset:         184
        .size:           4
        .value_kind:     hidden_dynamic_lds_size
    .group_segment_fixed_size: 0
    .kernarg_segment_align: 8
    .kernarg_segment_size: 320
    .language:       OpenCL C
    .language_version:
      - 2
      - 0
    .max_flat_workgroup_size: 1024
    .name:           _ZN2at6native12_GLOBAL__N_135GammaBetaBackwardCUDAKernelTemplateIN3c108BFloat16EfLj64ELj16ELj128ELb0ELb0ELb1EEEvllPKT_S7_PKT0_SA_PS5_SB_
    .private_segment_fixed_size: 0
    .sgpr_count:     52
    .sgpr_spill_count: 0
    .symbol:         _ZN2at6native12_GLOBAL__N_135GammaBetaBackwardCUDAKernelTemplateIN3c108BFloat16EfLj64ELj16ELj128ELb0ELb0ELb1EEEvllPKT_S7_PKT0_SA_PS5_SB_.kd
    .uniform_work_group_size: 1
    .uses_dynamic_stack: false
    .vgpr_count:     96
    .vgpr_spill_count: 0
    .wavefront_size: 32
  - .args:
      - .offset:         0
        .size:           8
        .value_kind:     by_value
      - .offset:         8
        .size:           8
        .value_kind:     by_value
      - .actual_access:  read_only
        .address_space:  global
        .offset:         16
        .size:           8
        .value_kind:     global_buffer
      - .actual_access:  read_only
        .address_space:  global
        .offset:         24
        .size:           8
        .value_kind:     global_buffer
      - .actual_access:  read_only
        .address_space:  global
        .offset:         32
        .size:           8
        .value_kind:     global_buffer
      - .actual_access:  read_only
        .address_space:  global
        .offset:         40
        .size:           8
        .value_kind:     global_buffer
      - .actual_access:  write_only
        .address_space:  global
        .offset:         48
        .size:           8
        .value_kind:     global_buffer
      - .actual_access:  read_only
        .address_space:  global
        .offset:         56
        .size:           8
        .value_kind:     global_buffer
      - .offset:         64
        .size:           4
        .value_kind:     hidden_block_count_x
      - .offset:         68
        .size:           4
        .value_kind:     hidden_block_count_y
      - .offset:         72
        .size:           4
        .value_kind:     hidden_block_count_z
      - .offset:         76
        .size:           2
        .value_kind:     hidden_group_size_x
      - .offset:         78
        .size:           2
        .value_kind:     hidden_group_size_y
      - .offset:         80
        .size:           2
        .value_kind:     hidden_group_size_z
      - .offset:         82
        .size:           2
        .value_kind:     hidden_remainder_x
      - .offset:         84
        .size:           2
        .value_kind:     hidden_remainder_y
      - .offset:         86
        .size:           2
        .value_kind:     hidden_remainder_z
      - .offset:         104
        .size:           8
        .value_kind:     hidden_global_offset_x
      - .offset:         112
        .size:           8
        .value_kind:     hidden_global_offset_y
      - .offset:         120
        .size:           8
        .value_kind:     hidden_global_offset_z
      - .offset:         128
        .size:           2
        .value_kind:     hidden_grid_dims
      - .offset:         184
        .size:           4
        .value_kind:     hidden_dynamic_lds_size
    .group_segment_fixed_size: 0
    .kernarg_segment_align: 8
    .kernarg_segment_size: 320
    .language:       OpenCL C
    .language_version:
      - 2
      - 0
    .max_flat_workgroup_size: 1024
    .name:           _ZN2at6native12_GLOBAL__N_135GammaBetaBackwardCUDAKernelTemplateIN3c108BFloat16EfLj64ELj16ELj256ELb0ELb1ELb1EEEvllPKT_S7_PKT0_SA_PS5_SB_
    .private_segment_fixed_size: 0
    .sgpr_count:     24
    .sgpr_spill_count: 0
    .symbol:         _ZN2at6native12_GLOBAL__N_135GammaBetaBackwardCUDAKernelTemplateIN3c108BFloat16EfLj64ELj16ELj256ELb0ELb1ELb1EEEvllPKT_S7_PKT0_SA_PS5_SB_.kd
    .uniform_work_group_size: 1
    .uses_dynamic_stack: false
    .vgpr_count:     68
    .vgpr_spill_count: 0
    .wavefront_size: 32
  - .args:
      - .offset:         0
        .size:           8
        .value_kind:     by_value
      - .offset:         8
        .size:           8
        .value_kind:     by_value
      - .actual_access:  read_only
        .address_space:  global
        .offset:         16
        .size:           8
        .value_kind:     global_buffer
      - .actual_access:  read_only
        .address_space:  global
        .offset:         24
        .size:           8
        .value_kind:     global_buffer
      - .actual_access:  read_only
        .address_space:  global
        .offset:         32
        .size:           8
        .value_kind:     global_buffer
      - .actual_access:  read_only
        .address_space:  global
        .offset:         40
        .size:           8
        .value_kind:     global_buffer
      - .actual_access:  write_only
        .address_space:  global
        .offset:         48
        .size:           8
        .value_kind:     global_buffer
      - .actual_access:  read_only
        .address_space:  global
        .offset:         56
        .size:           8
        .value_kind:     global_buffer
      - .offset:         64
        .size:           4
        .value_kind:     hidden_block_count_x
      - .offset:         68
        .size:           4
        .value_kind:     hidden_block_count_y
      - .offset:         72
        .size:           4
        .value_kind:     hidden_block_count_z
      - .offset:         76
        .size:           2
        .value_kind:     hidden_group_size_x
      - .offset:         78
        .size:           2
        .value_kind:     hidden_group_size_y
      - .offset:         80
        .size:           2
        .value_kind:     hidden_group_size_z
      - .offset:         82
        .size:           2
        .value_kind:     hidden_remainder_x
      - .offset:         84
        .size:           2
        .value_kind:     hidden_remainder_y
      - .offset:         86
        .size:           2
        .value_kind:     hidden_remainder_z
      - .offset:         104
        .size:           8
        .value_kind:     hidden_global_offset_x
      - .offset:         112
        .size:           8
        .value_kind:     hidden_global_offset_y
      - .offset:         120
        .size:           8
        .value_kind:     hidden_global_offset_z
      - .offset:         128
        .size:           2
        .value_kind:     hidden_grid_dims
      - .offset:         184
        .size:           4
        .value_kind:     hidden_dynamic_lds_size
    .group_segment_fixed_size: 0
    .kernarg_segment_align: 8
    .kernarg_segment_size: 320
    .language:       OpenCL C
    .language_version:
      - 2
      - 0
    .max_flat_workgroup_size: 1024
    .name:           _ZN2at6native12_GLOBAL__N_135GammaBetaBackwardCUDAKernelTemplateIN3c108BFloat16EfLj64ELj16ELj256ELb0ELb0ELb1EEEvllPKT_S7_PKT0_SA_PS5_SB_
    .private_segment_fixed_size: 192
    .sgpr_count:     68
    .sgpr_spill_count: 0
    .symbol:         _ZN2at6native12_GLOBAL__N_135GammaBetaBackwardCUDAKernelTemplateIN3c108BFloat16EfLj64ELj16ELj256ELb0ELb0ELb1EEEvllPKT_S7_PKT0_SA_PS5_SB_.kd
    .uniform_work_group_size: 1
    .uses_dynamic_stack: false
    .vgpr_count:     128
    .vgpr_spill_count: 89
    .wavefront_size: 32
  - .args:
      - .offset:         0
        .size:           8
        .value_kind:     by_value
      - .offset:         8
        .size:           8
        .value_kind:     by_value
      - .actual_access:  read_only
        .address_space:  global
        .offset:         16
        .size:           8
        .value_kind:     global_buffer
      - .actual_access:  read_only
        .address_space:  global
        .offset:         24
        .size:           8
        .value_kind:     global_buffer
      - .actual_access:  read_only
        .address_space:  global
        .offset:         32
        .size:           8
        .value_kind:     global_buffer
      - .actual_access:  read_only
        .address_space:  global
        .offset:         40
        .size:           8
        .value_kind:     global_buffer
      - .actual_access:  write_only
        .address_space:  global
        .offset:         48
        .size:           8
        .value_kind:     global_buffer
      - .actual_access:  read_only
        .address_space:  global
        .offset:         56
        .size:           8
        .value_kind:     global_buffer
      - .offset:         64
        .size:           4
        .value_kind:     hidden_block_count_x
      - .offset:         68
        .size:           4
        .value_kind:     hidden_block_count_y
      - .offset:         72
        .size:           4
        .value_kind:     hidden_block_count_z
      - .offset:         76
        .size:           2
        .value_kind:     hidden_group_size_x
      - .offset:         78
        .size:           2
        .value_kind:     hidden_group_size_y
      - .offset:         80
        .size:           2
        .value_kind:     hidden_group_size_z
      - .offset:         82
        .size:           2
        .value_kind:     hidden_remainder_x
      - .offset:         84
        .size:           2
        .value_kind:     hidden_remainder_y
      - .offset:         86
        .size:           2
        .value_kind:     hidden_remainder_z
      - .offset:         104
        .size:           8
        .value_kind:     hidden_global_offset_x
      - .offset:         112
        .size:           8
        .value_kind:     hidden_global_offset_y
      - .offset:         120
        .size:           8
        .value_kind:     hidden_global_offset_z
      - .offset:         128
        .size:           2
        .value_kind:     hidden_grid_dims
    .group_segment_fixed_size: 0
    .kernarg_segment_align: 8
    .kernarg_segment_size: 320
    .language:       OpenCL C
    .language_version:
      - 2
      - 0
    .max_flat_workgroup_size: 32
    .name:           _ZN2at6native12_GLOBAL__N_135GammaBetaBackwardCUDAKernelTemplateIN3c108BFloat16EfLj32ELj1ELj32ELb1ELb1ELb1EEEvllPKT_S7_PKT0_SA_PS5_SB_
    .private_segment_fixed_size: 0
    .sgpr_count:     25
    .sgpr_spill_count: 0
    .symbol:         _ZN2at6native12_GLOBAL__N_135GammaBetaBackwardCUDAKernelTemplateIN3c108BFloat16EfLj32ELj1ELj32ELb1ELb1ELb1EEEvllPKT_S7_PKT0_SA_PS5_SB_.kd
    .uniform_work_group_size: 1
    .uses_dynamic_stack: false
    .vgpr_count:     68
    .vgpr_spill_count: 0
    .wavefront_size: 32
  - .args:
      - .offset:         0
        .size:           8
        .value_kind:     by_value
      - .offset:         8
        .size:           8
        .value_kind:     by_value
      - .actual_access:  read_only
        .address_space:  global
        .offset:         16
        .size:           8
        .value_kind:     global_buffer
      - .actual_access:  read_only
        .address_space:  global
        .offset:         24
        .size:           8
        .value_kind:     global_buffer
      - .actual_access:  read_only
        .address_space:  global
        .offset:         32
        .size:           8
        .value_kind:     global_buffer
      - .actual_access:  read_only
        .address_space:  global
        .offset:         40
        .size:           8
        .value_kind:     global_buffer
      - .actual_access:  write_only
        .address_space:  global
        .offset:         48
        .size:           8
        .value_kind:     global_buffer
      - .actual_access:  read_only
        .address_space:  global
        .offset:         56
        .size:           8
        .value_kind:     global_buffer
      - .offset:         64
        .size:           4
        .value_kind:     hidden_block_count_x
      - .offset:         68
        .size:           4
        .value_kind:     hidden_block_count_y
      - .offset:         72
        .size:           4
        .value_kind:     hidden_block_count_z
      - .offset:         76
        .size:           2
        .value_kind:     hidden_group_size_x
      - .offset:         78
        .size:           2
        .value_kind:     hidden_group_size_y
      - .offset:         80
        .size:           2
        .value_kind:     hidden_group_size_z
      - .offset:         82
        .size:           2
        .value_kind:     hidden_remainder_x
      - .offset:         84
        .size:           2
        .value_kind:     hidden_remainder_y
      - .offset:         86
        .size:           2
        .value_kind:     hidden_remainder_z
      - .offset:         104
        .size:           8
        .value_kind:     hidden_global_offset_x
      - .offset:         112
        .size:           8
        .value_kind:     hidden_global_offset_y
      - .offset:         120
        .size:           8
        .value_kind:     hidden_global_offset_z
      - .offset:         128
        .size:           2
        .value_kind:     hidden_grid_dims
    .group_segment_fixed_size: 0
    .kernarg_segment_align: 8
    .kernarg_segment_size: 320
    .language:       OpenCL C
    .language_version:
      - 2
      - 0
    .max_flat_workgroup_size: 32
    .name:           _ZN2at6native12_GLOBAL__N_135GammaBetaBackwardCUDAKernelTemplateIN3c108BFloat16EfLj32ELj1ELj32ELb1ELb0ELb1EEEvllPKT_S7_PKT0_SA_PS5_SB_
    .private_segment_fixed_size: 0
    .sgpr_count:     38
    .sgpr_spill_count: 0
    .symbol:         _ZN2at6native12_GLOBAL__N_135GammaBetaBackwardCUDAKernelTemplateIN3c108BFloat16EfLj32ELj1ELj32ELb1ELb0ELb1EEEvllPKT_S7_PKT0_SA_PS5_SB_.kd
    .uniform_work_group_size: 1
    .uses_dynamic_stack: false
    .vgpr_count:     337
    .vgpr_spill_count: 0
    .wavefront_size: 32
  - .args:
      - .offset:         0
        .size:           8
        .value_kind:     by_value
      - .offset:         8
        .size:           8
        .value_kind:     by_value
      - .actual_access:  read_only
        .address_space:  global
        .offset:         16
        .size:           8
        .value_kind:     global_buffer
      - .actual_access:  read_only
        .address_space:  global
        .offset:         24
        .size:           8
        .value_kind:     global_buffer
      - .actual_access:  read_only
        .address_space:  global
        .offset:         32
        .size:           8
        .value_kind:     global_buffer
      - .actual_access:  read_only
        .address_space:  global
        .offset:         40
        .size:           8
        .value_kind:     global_buffer
      - .actual_access:  write_only
        .address_space:  global
        .offset:         48
        .size:           8
        .value_kind:     global_buffer
      - .actual_access:  read_only
        .address_space:  global
        .offset:         56
        .size:           8
        .value_kind:     global_buffer
      - .offset:         64
        .size:           4
        .value_kind:     hidden_block_count_x
      - .offset:         68
        .size:           4
        .value_kind:     hidden_block_count_y
      - .offset:         72
        .size:           4
        .value_kind:     hidden_block_count_z
      - .offset:         76
        .size:           2
        .value_kind:     hidden_group_size_x
      - .offset:         78
        .size:           2
        .value_kind:     hidden_group_size_y
      - .offset:         80
        .size:           2
        .value_kind:     hidden_group_size_z
      - .offset:         82
        .size:           2
        .value_kind:     hidden_remainder_x
      - .offset:         84
        .size:           2
        .value_kind:     hidden_remainder_y
      - .offset:         86
        .size:           2
        .value_kind:     hidden_remainder_z
      - .offset:         104
        .size:           8
        .value_kind:     hidden_global_offset_x
      - .offset:         112
        .size:           8
        .value_kind:     hidden_global_offset_y
      - .offset:         120
        .size:           8
        .value_kind:     hidden_global_offset_z
      - .offset:         128
        .size:           2
        .value_kind:     hidden_grid_dims
    .group_segment_fixed_size: 0
    .kernarg_segment_align: 8
    .kernarg_segment_size: 320
    .language:       OpenCL C
    .language_version:
      - 2
      - 0
    .max_flat_workgroup_size: 32
    .name:           _ZN2at6native12_GLOBAL__N_135GammaBetaBackwardCUDAKernelTemplateIN3c108BFloat16EfLj32ELj1ELj8ELb1ELb1ELb1EEEvllPKT_S7_PKT0_SA_PS5_SB_
    .private_segment_fixed_size: 0
    .sgpr_count:     27
    .sgpr_spill_count: 0
    .symbol:         _ZN2at6native12_GLOBAL__N_135GammaBetaBackwardCUDAKernelTemplateIN3c108BFloat16EfLj32ELj1ELj8ELb1ELb1ELb1EEEvllPKT_S7_PKT0_SA_PS5_SB_.kd
    .uniform_work_group_size: 1
    .uses_dynamic_stack: false
    .vgpr_count:     43
    .vgpr_spill_count: 0
    .wavefront_size: 32
  - .args:
      - .offset:         0
        .size:           8
        .value_kind:     by_value
      - .offset:         8
        .size:           8
        .value_kind:     by_value
      - .actual_access:  read_only
        .address_space:  global
        .offset:         16
        .size:           8
        .value_kind:     global_buffer
      - .actual_access:  read_only
        .address_space:  global
        .offset:         24
        .size:           8
        .value_kind:     global_buffer
      - .actual_access:  read_only
        .address_space:  global
        .offset:         32
        .size:           8
        .value_kind:     global_buffer
      - .actual_access:  read_only
        .address_space:  global
        .offset:         40
        .size:           8
        .value_kind:     global_buffer
      - .actual_access:  write_only
        .address_space:  global
        .offset:         48
        .size:           8
        .value_kind:     global_buffer
      - .actual_access:  read_only
        .address_space:  global
        .offset:         56
        .size:           8
        .value_kind:     global_buffer
      - .offset:         64
        .size:           4
        .value_kind:     hidden_block_count_x
      - .offset:         68
        .size:           4
        .value_kind:     hidden_block_count_y
      - .offset:         72
        .size:           4
        .value_kind:     hidden_block_count_z
      - .offset:         76
        .size:           2
        .value_kind:     hidden_group_size_x
      - .offset:         78
        .size:           2
        .value_kind:     hidden_group_size_y
      - .offset:         80
        .size:           2
        .value_kind:     hidden_group_size_z
      - .offset:         82
        .size:           2
        .value_kind:     hidden_remainder_x
      - .offset:         84
        .size:           2
        .value_kind:     hidden_remainder_y
      - .offset:         86
        .size:           2
        .value_kind:     hidden_remainder_z
      - .offset:         104
        .size:           8
        .value_kind:     hidden_global_offset_x
      - .offset:         112
        .size:           8
        .value_kind:     hidden_global_offset_y
      - .offset:         120
        .size:           8
        .value_kind:     hidden_global_offset_z
      - .offset:         128
        .size:           2
        .value_kind:     hidden_grid_dims
    .group_segment_fixed_size: 0
    .kernarg_segment_align: 8
    .kernarg_segment_size: 320
    .language:       OpenCL C
    .language_version:
      - 2
      - 0
    .max_flat_workgroup_size: 32
    .name:           _ZN2at6native12_GLOBAL__N_135GammaBetaBackwardCUDAKernelTemplateIN3c108BFloat16EfLj32ELj1ELj8ELb1ELb0ELb1EEEvllPKT_S7_PKT0_SA_PS5_SB_
    .private_segment_fixed_size: 0
    .sgpr_count:     38
    .sgpr_spill_count: 0
    .symbol:         _ZN2at6native12_GLOBAL__N_135GammaBetaBackwardCUDAKernelTemplateIN3c108BFloat16EfLj32ELj1ELj8ELb1ELb0ELb1EEEvllPKT_S7_PKT0_SA_PS5_SB_.kd
    .uniform_work_group_size: 1
    .uses_dynamic_stack: false
    .vgpr_count:     98
    .vgpr_spill_count: 0
    .wavefront_size: 32
  - .args:
      - .offset:         0
        .size:           8
        .value_kind:     by_value
      - .offset:         8
        .size:           8
        .value_kind:     by_value
      - .actual_access:  read_only
        .address_space:  global
        .offset:         16
        .size:           8
        .value_kind:     global_buffer
      - .actual_access:  read_only
        .address_space:  global
        .offset:         24
        .size:           8
        .value_kind:     global_buffer
      - .actual_access:  read_only
        .address_space:  global
        .offset:         32
        .size:           8
        .value_kind:     global_buffer
      - .actual_access:  read_only
        .address_space:  global
        .offset:         40
        .size:           8
        .value_kind:     global_buffer
      - .actual_access:  write_only
        .address_space:  global
        .offset:         48
        .size:           8
        .value_kind:     global_buffer
      - .actual_access:  read_only
        .address_space:  global
        .offset:         56
        .size:           8
        .value_kind:     global_buffer
      - .offset:         64
        .size:           4
        .value_kind:     hidden_block_count_x
      - .offset:         68
        .size:           4
        .value_kind:     hidden_block_count_y
      - .offset:         72
        .size:           4
        .value_kind:     hidden_block_count_z
      - .offset:         76
        .size:           2
        .value_kind:     hidden_group_size_x
      - .offset:         78
        .size:           2
        .value_kind:     hidden_group_size_y
      - .offset:         80
        .size:           2
        .value_kind:     hidden_group_size_z
      - .offset:         82
        .size:           2
        .value_kind:     hidden_remainder_x
      - .offset:         84
        .size:           2
        .value_kind:     hidden_remainder_y
      - .offset:         86
        .size:           2
        .value_kind:     hidden_remainder_z
      - .offset:         104
        .size:           8
        .value_kind:     hidden_global_offset_x
      - .offset:         112
        .size:           8
        .value_kind:     hidden_global_offset_y
      - .offset:         120
        .size:           8
        .value_kind:     hidden_global_offset_z
      - .offset:         128
        .size:           2
        .value_kind:     hidden_grid_dims
      - .offset:         184
        .size:           4
        .value_kind:     hidden_dynamic_lds_size
    .group_segment_fixed_size: 0
    .kernarg_segment_align: 8
    .kernarg_segment_size: 320
    .language:       OpenCL C
    .language_version:
      - 2
      - 0
    .max_flat_workgroup_size: 256
    .name:           _ZN2at6native12_GLOBAL__N_135GammaBetaBackwardCUDAKernelTemplateIN3c108BFloat16EfLj32ELj8ELj64ELb0ELb1ELb1EEEvllPKT_S7_PKT0_SA_PS5_SB_
    .private_segment_fixed_size: 0
    .sgpr_count:     24
    .sgpr_spill_count: 0
    .symbol:         _ZN2at6native12_GLOBAL__N_135GammaBetaBackwardCUDAKernelTemplateIN3c108BFloat16EfLj32ELj8ELj64ELb0ELb1ELb1EEEvllPKT_S7_PKT0_SA_PS5_SB_.kd
    .uniform_work_group_size: 1
    .uses_dynamic_stack: false
    .vgpr_count:     43
    .vgpr_spill_count: 0
    .wavefront_size: 32
  - .args:
      - .offset:         0
        .size:           8
        .value_kind:     by_value
      - .offset:         8
        .size:           8
        .value_kind:     by_value
      - .actual_access:  read_only
        .address_space:  global
        .offset:         16
        .size:           8
        .value_kind:     global_buffer
      - .actual_access:  read_only
        .address_space:  global
        .offset:         24
        .size:           8
        .value_kind:     global_buffer
      - .actual_access:  read_only
        .address_space:  global
        .offset:         32
        .size:           8
        .value_kind:     global_buffer
      - .actual_access:  read_only
        .address_space:  global
        .offset:         40
        .size:           8
        .value_kind:     global_buffer
      - .actual_access:  write_only
        .address_space:  global
        .offset:         48
        .size:           8
        .value_kind:     global_buffer
      - .actual_access:  read_only
        .address_space:  global
        .offset:         56
        .size:           8
        .value_kind:     global_buffer
      - .offset:         64
        .size:           4
        .value_kind:     hidden_block_count_x
      - .offset:         68
        .size:           4
        .value_kind:     hidden_block_count_y
      - .offset:         72
        .size:           4
        .value_kind:     hidden_block_count_z
      - .offset:         76
        .size:           2
        .value_kind:     hidden_group_size_x
      - .offset:         78
        .size:           2
        .value_kind:     hidden_group_size_y
      - .offset:         80
        .size:           2
        .value_kind:     hidden_group_size_z
      - .offset:         82
        .size:           2
        .value_kind:     hidden_remainder_x
      - .offset:         84
        .size:           2
        .value_kind:     hidden_remainder_y
      - .offset:         86
        .size:           2
        .value_kind:     hidden_remainder_z
      - .offset:         104
        .size:           8
        .value_kind:     hidden_global_offset_x
      - .offset:         112
        .size:           8
        .value_kind:     hidden_global_offset_y
      - .offset:         120
        .size:           8
        .value_kind:     hidden_global_offset_z
      - .offset:         128
        .size:           2
        .value_kind:     hidden_grid_dims
      - .offset:         184
        .size:           4
        .value_kind:     hidden_dynamic_lds_size
    .group_segment_fixed_size: 0
    .kernarg_segment_align: 8
    .kernarg_segment_size: 320
    .language:       OpenCL C
    .language_version:
      - 2
      - 0
    .max_flat_workgroup_size: 256
    .name:           _ZN2at6native12_GLOBAL__N_135GammaBetaBackwardCUDAKernelTemplateIN3c108BFloat16EfLj32ELj8ELj64ELb0ELb0ELb1EEEvllPKT_S7_PKT0_SA_PS5_SB_
    .private_segment_fixed_size: 0
    .sgpr_count:     52
    .sgpr_spill_count: 0
    .symbol:         _ZN2at6native12_GLOBAL__N_135GammaBetaBackwardCUDAKernelTemplateIN3c108BFloat16EfLj32ELj8ELj64ELb0ELb0ELb1EEEvllPKT_S7_PKT0_SA_PS5_SB_.kd
    .uniform_work_group_size: 1
    .uses_dynamic_stack: false
    .vgpr_count:     98
    .vgpr_spill_count: 0
    .wavefront_size: 32
  - .args:
      - .offset:         0
        .size:           8
        .value_kind:     by_value
      - .offset:         8
        .size:           8
        .value_kind:     by_value
      - .actual_access:  read_only
        .address_space:  global
        .offset:         16
        .size:           8
        .value_kind:     global_buffer
      - .actual_access:  read_only
        .address_space:  global
        .offset:         24
        .size:           8
        .value_kind:     global_buffer
      - .actual_access:  read_only
        .address_space:  global
        .offset:         32
        .size:           8
        .value_kind:     global_buffer
      - .actual_access:  read_only
        .address_space:  global
        .offset:         40
        .size:           8
        .value_kind:     global_buffer
      - .actual_access:  write_only
        .address_space:  global
        .offset:         48
        .size:           8
        .value_kind:     global_buffer
      - .actual_access:  read_only
        .address_space:  global
        .offset:         56
        .size:           8
        .value_kind:     global_buffer
      - .offset:         64
        .size:           4
        .value_kind:     hidden_block_count_x
      - .offset:         68
        .size:           4
        .value_kind:     hidden_block_count_y
      - .offset:         72
        .size:           4
        .value_kind:     hidden_block_count_z
      - .offset:         76
        .size:           2
        .value_kind:     hidden_group_size_x
      - .offset:         78
        .size:           2
        .value_kind:     hidden_group_size_y
      - .offset:         80
        .size:           2
        .value_kind:     hidden_group_size_z
      - .offset:         82
        .size:           2
        .value_kind:     hidden_remainder_x
      - .offset:         84
        .size:           2
        .value_kind:     hidden_remainder_y
      - .offset:         86
        .size:           2
        .value_kind:     hidden_remainder_z
      - .offset:         104
        .size:           8
        .value_kind:     hidden_global_offset_x
      - .offset:         112
        .size:           8
        .value_kind:     hidden_global_offset_y
      - .offset:         120
        .size:           8
        .value_kind:     hidden_global_offset_z
      - .offset:         128
        .size:           2
        .value_kind:     hidden_grid_dims
      - .offset:         184
        .size:           4
        .value_kind:     hidden_dynamic_lds_size
    .group_segment_fixed_size: 0
    .kernarg_segment_align: 8
    .kernarg_segment_size: 320
    .language:       OpenCL C
    .language_version:
      - 2
      - 0
    .max_flat_workgroup_size: 512
    .name:           _ZN2at6native12_GLOBAL__N_135GammaBetaBackwardCUDAKernelTemplateIN3c108BFloat16EfLj32ELj16ELj128ELb0ELb1ELb1EEEvllPKT_S7_PKT0_SA_PS5_SB_
    .private_segment_fixed_size: 0
    .sgpr_count:     24
    .sgpr_spill_count: 0
    .symbol:         _ZN2at6native12_GLOBAL__N_135GammaBetaBackwardCUDAKernelTemplateIN3c108BFloat16EfLj32ELj16ELj128ELb0ELb1ELb1EEEvllPKT_S7_PKT0_SA_PS5_SB_.kd
    .uniform_work_group_size: 1
    .uses_dynamic_stack: false
    .vgpr_count:     43
    .vgpr_spill_count: 0
    .wavefront_size: 32
  - .args:
      - .offset:         0
        .size:           8
        .value_kind:     by_value
      - .offset:         8
        .size:           8
        .value_kind:     by_value
      - .actual_access:  read_only
        .address_space:  global
        .offset:         16
        .size:           8
        .value_kind:     global_buffer
      - .actual_access:  read_only
        .address_space:  global
        .offset:         24
        .size:           8
        .value_kind:     global_buffer
      - .actual_access:  read_only
        .address_space:  global
        .offset:         32
        .size:           8
        .value_kind:     global_buffer
      - .actual_access:  read_only
        .address_space:  global
        .offset:         40
        .size:           8
        .value_kind:     global_buffer
      - .actual_access:  write_only
        .address_space:  global
        .offset:         48
        .size:           8
        .value_kind:     global_buffer
      - .actual_access:  read_only
        .address_space:  global
        .offset:         56
        .size:           8
        .value_kind:     global_buffer
      - .offset:         64
        .size:           4
        .value_kind:     hidden_block_count_x
      - .offset:         68
        .size:           4
        .value_kind:     hidden_block_count_y
      - .offset:         72
        .size:           4
        .value_kind:     hidden_block_count_z
      - .offset:         76
        .size:           2
        .value_kind:     hidden_group_size_x
      - .offset:         78
        .size:           2
        .value_kind:     hidden_group_size_y
      - .offset:         80
        .size:           2
        .value_kind:     hidden_group_size_z
      - .offset:         82
        .size:           2
        .value_kind:     hidden_remainder_x
      - .offset:         84
        .size:           2
        .value_kind:     hidden_remainder_y
      - .offset:         86
        .size:           2
        .value_kind:     hidden_remainder_z
      - .offset:         104
        .size:           8
        .value_kind:     hidden_global_offset_x
      - .offset:         112
        .size:           8
        .value_kind:     hidden_global_offset_y
      - .offset:         120
        .size:           8
        .value_kind:     hidden_global_offset_z
      - .offset:         128
        .size:           2
        .value_kind:     hidden_grid_dims
      - .offset:         184
        .size:           4
        .value_kind:     hidden_dynamic_lds_size
    .group_segment_fixed_size: 0
    .kernarg_segment_align: 8
    .kernarg_segment_size: 320
    .language:       OpenCL C
    .language_version:
      - 2
      - 0
    .max_flat_workgroup_size: 512
    .name:           _ZN2at6native12_GLOBAL__N_135GammaBetaBackwardCUDAKernelTemplateIN3c108BFloat16EfLj32ELj16ELj128ELb0ELb0ELb1EEEvllPKT_S7_PKT0_SA_PS5_SB_
    .private_segment_fixed_size: 0
    .sgpr_count:     52
    .sgpr_spill_count: 0
    .symbol:         _ZN2at6native12_GLOBAL__N_135GammaBetaBackwardCUDAKernelTemplateIN3c108BFloat16EfLj32ELj16ELj128ELb0ELb0ELb1EEEvllPKT_S7_PKT0_SA_PS5_SB_.kd
    .uniform_work_group_size: 1
    .uses_dynamic_stack: false
    .vgpr_count:     98
    .vgpr_spill_count: 0
    .wavefront_size: 32
  - .args:
      - .offset:         0
        .size:           8
        .value_kind:     by_value
      - .offset:         8
        .size:           8
        .value_kind:     by_value
      - .actual_access:  read_only
        .address_space:  global
        .offset:         16
        .size:           8
        .value_kind:     global_buffer
      - .actual_access:  read_only
        .address_space:  global
        .offset:         24
        .size:           8
        .value_kind:     global_buffer
      - .actual_access:  read_only
        .address_space:  global
        .offset:         32
        .size:           8
        .value_kind:     global_buffer
      - .actual_access:  read_only
        .address_space:  global
        .offset:         40
        .size:           8
        .value_kind:     global_buffer
      - .actual_access:  write_only
        .address_space:  global
        .offset:         48
        .size:           8
        .value_kind:     global_buffer
      - .actual_access:  read_only
        .address_space:  global
        .offset:         56
        .size:           8
        .value_kind:     global_buffer
      - .offset:         64
        .size:           4
        .value_kind:     hidden_block_count_x
      - .offset:         68
        .size:           4
        .value_kind:     hidden_block_count_y
      - .offset:         72
        .size:           4
        .value_kind:     hidden_block_count_z
      - .offset:         76
        .size:           2
        .value_kind:     hidden_group_size_x
      - .offset:         78
        .size:           2
        .value_kind:     hidden_group_size_y
      - .offset:         80
        .size:           2
        .value_kind:     hidden_group_size_z
      - .offset:         82
        .size:           2
        .value_kind:     hidden_remainder_x
      - .offset:         84
        .size:           2
        .value_kind:     hidden_remainder_y
      - .offset:         86
        .size:           2
        .value_kind:     hidden_remainder_z
      - .offset:         104
        .size:           8
        .value_kind:     hidden_global_offset_x
      - .offset:         112
        .size:           8
        .value_kind:     hidden_global_offset_y
      - .offset:         120
        .size:           8
        .value_kind:     hidden_global_offset_z
      - .offset:         128
        .size:           2
        .value_kind:     hidden_grid_dims
      - .offset:         184
        .size:           4
        .value_kind:     hidden_dynamic_lds_size
    .group_segment_fixed_size: 0
    .kernarg_segment_align: 8
    .kernarg_segment_size: 320
    .language:       OpenCL C
    .language_version:
      - 2
      - 0
    .max_flat_workgroup_size: 1024
    .name:           _ZN2at6native12_GLOBAL__N_135GammaBetaBackwardCUDAKernelTemplateIN3c108BFloat16EfLj32ELj32ELj256ELb0ELb1ELb1EEEvllPKT_S7_PKT0_SA_PS5_SB_
    .private_segment_fixed_size: 0
    .sgpr_count:     24
    .sgpr_spill_count: 0
    .symbol:         _ZN2at6native12_GLOBAL__N_135GammaBetaBackwardCUDAKernelTemplateIN3c108BFloat16EfLj32ELj32ELj256ELb0ELb1ELb1EEEvllPKT_S7_PKT0_SA_PS5_SB_.kd
    .uniform_work_group_size: 1
    .uses_dynamic_stack: false
    .vgpr_count:     43
    .vgpr_spill_count: 0
    .wavefront_size: 32
  - .args:
      - .offset:         0
        .size:           8
        .value_kind:     by_value
      - .offset:         8
        .size:           8
        .value_kind:     by_value
      - .actual_access:  read_only
        .address_space:  global
        .offset:         16
        .size:           8
        .value_kind:     global_buffer
      - .actual_access:  read_only
        .address_space:  global
        .offset:         24
        .size:           8
        .value_kind:     global_buffer
      - .actual_access:  read_only
        .address_space:  global
        .offset:         32
        .size:           8
        .value_kind:     global_buffer
      - .actual_access:  read_only
        .address_space:  global
        .offset:         40
        .size:           8
        .value_kind:     global_buffer
      - .actual_access:  write_only
        .address_space:  global
        .offset:         48
        .size:           8
        .value_kind:     global_buffer
      - .actual_access:  read_only
        .address_space:  global
        .offset:         56
        .size:           8
        .value_kind:     global_buffer
      - .offset:         64
        .size:           4
        .value_kind:     hidden_block_count_x
      - .offset:         68
        .size:           4
        .value_kind:     hidden_block_count_y
      - .offset:         72
        .size:           4
        .value_kind:     hidden_block_count_z
      - .offset:         76
        .size:           2
        .value_kind:     hidden_group_size_x
      - .offset:         78
        .size:           2
        .value_kind:     hidden_group_size_y
      - .offset:         80
        .size:           2
        .value_kind:     hidden_group_size_z
      - .offset:         82
        .size:           2
        .value_kind:     hidden_remainder_x
      - .offset:         84
        .size:           2
        .value_kind:     hidden_remainder_y
      - .offset:         86
        .size:           2
        .value_kind:     hidden_remainder_z
      - .offset:         104
        .size:           8
        .value_kind:     hidden_global_offset_x
      - .offset:         112
        .size:           8
        .value_kind:     hidden_global_offset_y
      - .offset:         120
        .size:           8
        .value_kind:     hidden_global_offset_z
      - .offset:         128
        .size:           2
        .value_kind:     hidden_grid_dims
      - .offset:         184
        .size:           4
        .value_kind:     hidden_dynamic_lds_size
    .group_segment_fixed_size: 0
    .kernarg_segment_align: 8
    .kernarg_segment_size: 320
    .language:       OpenCL C
    .language_version:
      - 2
      - 0
    .max_flat_workgroup_size: 1024
    .name:           _ZN2at6native12_GLOBAL__N_135GammaBetaBackwardCUDAKernelTemplateIN3c108BFloat16EfLj32ELj32ELj256ELb0ELb0ELb1EEEvllPKT_S7_PKT0_SA_PS5_SB_
    .private_segment_fixed_size: 0
    .sgpr_count:     52
    .sgpr_spill_count: 0
    .symbol:         _ZN2at6native12_GLOBAL__N_135GammaBetaBackwardCUDAKernelTemplateIN3c108BFloat16EfLj32ELj32ELj256ELb0ELb0ELb1EEEvllPKT_S7_PKT0_SA_PS5_SB_.kd
    .uniform_work_group_size: 1
    .uses_dynamic_stack: false
    .vgpr_count:     96
    .vgpr_spill_count: 0
    .wavefront_size: 32
amdhsa.target:   amdgcn-amd-amdhsa--gfx1250
amdhsa.version:
  - 1
  - 2
...

	.end_amdgpu_metadata
